;; amdgpu-corpus repo=ROCm/rocSPARSE kind=compiled arch=gfx1100 opt=O3
	.text
	.amdgcn_target "amdgcn-amd-amdhsa--gfx1100"
	.amdhsa_code_object_version 6
	.section	.text._ZN9rocsparseL19gebsrmvn_4xn_kernelILj128ELj1ELj4EfEEvi20rocsparse_direction_NS_24const_host_device_scalarIT2_EEPKiS6_PKS3_S8_S4_PS3_21rocsparse_index_base_b,"axG",@progbits,_ZN9rocsparseL19gebsrmvn_4xn_kernelILj128ELj1ELj4EfEEvi20rocsparse_direction_NS_24const_host_device_scalarIT2_EEPKiS6_PKS3_S8_S4_PS3_21rocsparse_index_base_b,comdat
	.globl	_ZN9rocsparseL19gebsrmvn_4xn_kernelILj128ELj1ELj4EfEEvi20rocsparse_direction_NS_24const_host_device_scalarIT2_EEPKiS6_PKS3_S8_S4_PS3_21rocsparse_index_base_b ; -- Begin function _ZN9rocsparseL19gebsrmvn_4xn_kernelILj128ELj1ELj4EfEEvi20rocsparse_direction_NS_24const_host_device_scalarIT2_EEPKiS6_PKS3_S8_S4_PS3_21rocsparse_index_base_b
	.p2align	8
	.type	_ZN9rocsparseL19gebsrmvn_4xn_kernelILj128ELj1ELj4EfEEvi20rocsparse_direction_NS_24const_host_device_scalarIT2_EEPKiS6_PKS3_S8_S4_PS3_21rocsparse_index_base_b,@function
_ZN9rocsparseL19gebsrmvn_4xn_kernelILj128ELj1ELj4EfEEvi20rocsparse_direction_NS_24const_host_device_scalarIT2_EEPKiS6_PKS3_S8_S4_PS3_21rocsparse_index_base_b: ; @_ZN9rocsparseL19gebsrmvn_4xn_kernelILj128ELj1ELj4EfEEvi20rocsparse_direction_NS_24const_host_device_scalarIT2_EEPKiS6_PKS3_S8_S4_PS3_21rocsparse_index_base_b
; %bb.0:
	s_clause 0x2
	s_load_b64 s[18:19], s[0:1], 0x40
	s_load_b64 s[16:17], s[0:1], 0x8
	;; [unrolled: 1-line block ×3, first 2 shown]
	s_waitcnt lgkmcnt(0)
	s_bitcmp1_b32 s19, 0
	s_cselect_b32 s2, -1, 0
	s_delay_alu instid0(SALU_CYCLE_1)
	s_and_b32 vcc_lo, exec_lo, s2
	s_xor_b32 s2, s2, -1
	s_cbranch_vccnz .LBB0_2
; %bb.1:
	s_load_b32 s16, s[16:17], 0x0
.LBB0_2:
	s_and_not1_b32 vcc_lo, exec_lo, s2
	s_cbranch_vccnz .LBB0_4
; %bb.3:
	s_load_b32 s12, s[12:13], 0x0
.LBB0_4:
	s_waitcnt lgkmcnt(0)
	v_cmp_eq_f32_e64 s2, s16, 0
	v_cmp_eq_f32_e64 s3, s12, 1.0
	s_delay_alu instid0(VALU_DEP_1) | instskip(NEXT) | instid1(SALU_CYCLE_1)
	s_and_b32 s2, s2, s3
	s_and_b32 vcc_lo, exec_lo, s2
	s_cbranch_vccnz .LBB0_23
; %bb.5:
	s_load_b64 s[2:3], s[0:1], 0x0
	v_lshrrev_b32_e32 v1, 2, v0
	s_delay_alu instid0(VALU_DEP_1) | instskip(SKIP_1) | instid1(VALU_DEP_1)
	v_lshl_or_b32 v4, s15, 5, v1
	s_waitcnt lgkmcnt(0)
	v_cmp_gt_i32_e32 vcc_lo, s2, v4
	s_and_saveexec_b32 s2, vcc_lo
	s_cbranch_execz .LBB0_23
; %bb.6:
	s_load_b256 s[4:11], s[0:1], 0x10
	v_ashrrev_i32_e32 v5, 31, v4
	v_and_b32_e32 v7, 3, v0
	s_cmp_lg_u32 s3, 0
	s_delay_alu instid0(VALU_DEP_2) | instskip(SKIP_1) | instid1(VALU_DEP_1)
	v_lshlrev_b64 v[1:2], 2, v[4:5]
	s_waitcnt lgkmcnt(0)
	v_add_co_u32 v1, vcc_lo, s4, v1
	s_delay_alu instid0(VALU_DEP_2) | instskip(SKIP_4) | instid1(VALU_DEP_2)
	v_add_co_ci_u32_e32 v2, vcc_lo, s5, v2, vcc_lo
	global_load_b64 v[1:2], v[1:2], off
	s_waitcnt vmcnt(0)
	v_subrev_nc_u32_e32 v0, s18, v1
	v_subrev_nc_u32_e32 v12, s18, v2
	v_add_nc_u32_e32 v0, v0, v7
	s_delay_alu instid0(VALU_DEP_1)
	v_cmp_lt_i32_e64 s2, v0, v12
	s_cbranch_scc0 .LBB0_12
; %bb.7:
	v_dual_mov_b32 v8, 0 :: v_dual_mov_b32 v9, 0
	v_dual_mov_b32 v10, 0 :: v_dual_mov_b32 v11, 0
	s_mov_b32 s3, 0
	s_and_saveexec_b32 s4, s2
	s_cbranch_execz .LBB0_11
; %bb.8:
	v_dual_mov_b32 v2, 0 :: v_dual_lshlrev_b32 v1, 2, v0
	v_mov_b32_e32 v5, v0
	s_mov_b32 s5, 0
	s_delay_alu instid0(VALU_DEP_2)
	v_mov_b32_e32 v8, v2
	v_mov_b32_e32 v9, v2
	;; [unrolled: 1-line block ×4, first 2 shown]
	s_set_inst_prefetch_distance 0x1
	.p2align	6
.LBB0_9:                                ; =>This Inner Loop Header: Depth=1
	v_ashrrev_i32_e32 v6, 31, v5
	v_mov_b32_e32 v15, v2
	s_delay_alu instid0(VALU_DEP_2) | instskip(NEXT) | instid1(VALU_DEP_1)
	v_lshlrev_b64 v[13:14], 2, v[5:6]
	v_add_co_u32 v13, vcc_lo, s6, v13
	s_delay_alu instid0(VALU_DEP_2) | instskip(SKIP_3) | instid1(VALU_DEP_2)
	v_add_co_ci_u32_e32 v14, vcc_lo, s7, v14, vcc_lo
	global_load_b32 v3, v[13:14], off
	v_lshlrev_b64 v[13:14], 2, v[1:2]
	v_add_nc_u32_e32 v1, 16, v1
	v_add_co_u32 v16, vcc_lo, s8, v13
	s_delay_alu instid0(VALU_DEP_3) | instskip(SKIP_2) | instid1(VALU_DEP_1)
	v_add_co_ci_u32_e32 v17, vcc_lo, s9, v14, vcc_lo
	s_waitcnt vmcnt(0)
	v_subrev_nc_u32_e32 v14, s18, v3
	v_lshlrev_b64 v[13:14], 2, v[14:15]
	s_delay_alu instid0(VALU_DEP_1) | instskip(NEXT) | instid1(VALU_DEP_2)
	v_add_co_u32 v18, vcc_lo, s10, v13
	v_add_co_ci_u32_e32 v19, vcc_lo, s11, v14, vcc_lo
	global_load_b128 v[13:16], v[16:17], off
	global_load_b32 v3, v[18:19], off
	s_waitcnt vmcnt(0)
	v_dual_fmac_f32 v10, v15, v3 :: v_dual_add_nc_u32 v5, 4, v5
	s_delay_alu instid0(VALU_DEP_1) | instskip(SKIP_4) | instid1(SALU_CYCLE_1)
	v_cmp_ge_i32_e32 vcc_lo, v5, v12
	v_fmac_f32_e32 v8, v13, v3
	v_fmac_f32_e32 v11, v14, v3
	;; [unrolled: 1-line block ×3, first 2 shown]
	s_or_b32 s5, vcc_lo, s5
	s_and_not1_b32 exec_lo, exec_lo, s5
	s_cbranch_execnz .LBB0_9
; %bb.10:
	s_set_inst_prefetch_distance 0x2
	s_or_b32 exec_lo, exec_lo, s5
.LBB0_11:
	s_delay_alu instid0(SALU_CYCLE_1) | instskip(NEXT) | instid1(SALU_CYCLE_1)
	s_or_b32 exec_lo, exec_lo, s4
	s_and_not1_b32 vcc_lo, exec_lo, s3
	s_cbranch_vccz .LBB0_13
	s_branch .LBB0_18
.LBB0_12:
                                        ; implicit-def: $vgpr8
                                        ; implicit-def: $vgpr9
                                        ; implicit-def: $vgpr10
                                        ; implicit-def: $vgpr11
.LBB0_13:
	v_dual_mov_b32 v8, 0 :: v_dual_mov_b32 v9, 0
	v_dual_mov_b32 v10, 0 :: v_dual_mov_b32 v11, 0
	s_delay_alu instid0(VALU_DEP_3)
	s_and_saveexec_b32 s3, s2
	s_cbranch_execz .LBB0_17
; %bb.14:
	v_dual_mov_b32 v3, 0 :: v_dual_lshlrev_b32 v2, 2, v0
	s_mov_b32 s2, 0
	s_delay_alu instid0(VALU_DEP_1)
	v_mov_b32_e32 v8, v3
	v_mov_b32_e32 v9, v3
	;; [unrolled: 1-line block ×4, first 2 shown]
	s_set_inst_prefetch_distance 0x1
	.p2align	6
.LBB0_15:                               ; =>This Inner Loop Header: Depth=1
	v_ashrrev_i32_e32 v1, 31, v0
	v_mov_b32_e32 v14, v3
	s_delay_alu instid0(VALU_DEP_2) | instskip(NEXT) | instid1(VALU_DEP_1)
	v_lshlrev_b64 v[5:6], 2, v[0:1]
	v_add_co_u32 v5, vcc_lo, s6, v5
	s_delay_alu instid0(VALU_DEP_2) | instskip(SKIP_3) | instid1(VALU_DEP_2)
	v_add_co_ci_u32_e32 v6, vcc_lo, s7, v6, vcc_lo
	global_load_b32 v1, v[5:6], off
	v_lshlrev_b64 v[5:6], 2, v[2:3]
	v_add_nc_u32_e32 v2, 16, v2
	v_add_co_u32 v5, vcc_lo, s8, v5
	s_delay_alu instid0(VALU_DEP_3) | instskip(SKIP_2) | instid1(VALU_DEP_1)
	v_add_co_ci_u32_e32 v6, vcc_lo, s9, v6, vcc_lo
	s_waitcnt vmcnt(0)
	v_subrev_nc_u32_e32 v13, s18, v1
	v_lshlrev_b64 v[13:14], 2, v[13:14]
	s_delay_alu instid0(VALU_DEP_1) | instskip(NEXT) | instid1(VALU_DEP_2)
	v_add_co_u32 v17, vcc_lo, s10, v13
	v_add_co_ci_u32_e32 v18, vcc_lo, s11, v14, vcc_lo
	global_load_b128 v[13:16], v[5:6], off
	global_load_b32 v1, v[17:18], off
	s_waitcnt vmcnt(0)
	v_dual_fmac_f32 v11, v14, v1 :: v_dual_add_nc_u32 v0, 4, v0
	s_delay_alu instid0(VALU_DEP_1) | instskip(SKIP_4) | instid1(SALU_CYCLE_1)
	v_cmp_ge_i32_e32 vcc_lo, v0, v12
	v_fmac_f32_e32 v8, v13, v1
	v_fmac_f32_e32 v10, v15, v1
	;; [unrolled: 1-line block ×3, first 2 shown]
	s_or_b32 s2, vcc_lo, s2
	s_and_not1_b32 exec_lo, exec_lo, s2
	s_cbranch_execnz .LBB0_15
; %bb.16:
	s_set_inst_prefetch_distance 0x2
	s_or_b32 exec_lo, exec_lo, s2
.LBB0_17:
	s_delay_alu instid0(SALU_CYCLE_1)
	s_or_b32 exec_lo, exec_lo, s3
.LBB0_18:
	v_mbcnt_lo_u32_b32 v0, -1, 0
	s_mov_b32 s2, -1
	s_delay_alu instid0(VALU_DEP_1) | instskip(NEXT) | instid1(VALU_DEP_1)
	v_xor_b32_e32 v1, 2, v0
	v_cmp_gt_i32_e32 vcc_lo, 32, v1
	v_cndmask_b32_e32 v1, v0, v1, vcc_lo
	s_delay_alu instid0(VALU_DEP_1)
	v_lshlrev_b32_e32 v1, 2, v1
	ds_bpermute_b32 v2, v1, v8
	ds_bpermute_b32 v3, v1, v11
	;; [unrolled: 1-line block ×4, first 2 shown]
	v_xor_b32_e32 v1, 1, v0
	s_delay_alu instid0(VALU_DEP_1) | instskip(SKIP_3) | instid1(VALU_DEP_2)
	v_cmp_gt_i32_e32 vcc_lo, 32, v1
	v_cndmask_b32_e32 v0, v0, v1, vcc_lo
	v_cmp_eq_u32_e32 vcc_lo, 3, v7
	s_waitcnt lgkmcnt(2)
	v_dual_add_f32 v1, v11, v3 :: v_dual_lshlrev_b32 v12, 2, v0
	v_add_f32_e32 v0, v8, v2
	s_waitcnt lgkmcnt(0)
	v_dual_add_f32 v2, v10, v5 :: v_dual_add_f32 v3, v9, v6
	ds_bpermute_b32 v6, v12, v1
	ds_bpermute_b32 v5, v12, v0
	;; [unrolled: 1-line block ×4, first 2 shown]
	s_and_b32 exec_lo, exec_lo, vcc_lo
	s_cbranch_execz .LBB0_23
; %bb.19:
	s_load_b64 s[0:1], s[0:1], 0x38
	s_waitcnt lgkmcnt(0)
	v_dual_add_f32 v0, v0, v5 :: v_dual_add_f32 v1, v1, v6
	v_dual_add_f32 v2, v2, v8 :: v_dual_add_f32 v3, v3, v9
	v_cmp_eq_f32_e64 s3, s12, 0
	s_delay_alu instid0(VALU_DEP_3) | instskip(NEXT) | instid1(VALU_DEP_3)
	v_dual_mul_f32 v0, s16, v0 :: v_dual_mul_f32 v1, s16, v1
	v_dual_mul_f32 v2, s16, v2 :: v_dual_mul_f32 v3, s16, v3
	v_lshlrev_b32_e32 v4, 2, v4
	s_delay_alu instid0(VALU_DEP_4)
	s_and_b32 vcc_lo, exec_lo, s3
	s_cbranch_vccz .LBB0_21
; %bb.20:
	s_delay_alu instid0(VALU_DEP_1) | instskip(SKIP_1) | instid1(VALU_DEP_1)
	v_ashrrev_i32_e32 v5, 31, v4
	s_mov_b32 s2, 0
	v_lshlrev_b64 v[5:6], 2, v[4:5]
	s_delay_alu instid0(VALU_DEP_1) | instskip(NEXT) | instid1(VALU_DEP_2)
	v_add_co_u32 v5, vcc_lo, s0, v5
	v_add_co_ci_u32_e32 v6, vcc_lo, s1, v6, vcc_lo
	global_store_b128 v[5:6], v[0:3], off
.LBB0_21:
	s_and_not1_b32 vcc_lo, exec_lo, s2
	s_cbranch_vccnz .LBB0_23
; %bb.22:
	v_ashrrev_i32_e32 v5, 31, v4
	s_delay_alu instid0(VALU_DEP_1) | instskip(NEXT) | instid1(VALU_DEP_1)
	v_lshlrev_b64 v[4:5], 2, v[4:5]
	v_add_co_u32 v8, vcc_lo, s0, v4
	s_delay_alu instid0(VALU_DEP_2)
	v_add_co_ci_u32_e32 v9, vcc_lo, s1, v5, vcc_lo
	global_load_b128 v[4:7], v[8:9], off
	s_waitcnt vmcnt(0)
	v_dual_fmac_f32 v0, s12, v4 :: v_dual_fmac_f32 v1, s12, v5
	v_dual_fmac_f32 v2, s12, v6 :: v_dual_fmac_f32 v3, s12, v7
	global_store_b128 v[8:9], v[0:3], off
.LBB0_23:
	s_nop 0
	s_sendmsg sendmsg(MSG_DEALLOC_VGPRS)
	s_endpgm
	.section	.rodata,"a",@progbits
	.p2align	6, 0x0
	.amdhsa_kernel _ZN9rocsparseL19gebsrmvn_4xn_kernelILj128ELj1ELj4EfEEvi20rocsparse_direction_NS_24const_host_device_scalarIT2_EEPKiS6_PKS3_S8_S4_PS3_21rocsparse_index_base_b
		.amdhsa_group_segment_fixed_size 0
		.amdhsa_private_segment_fixed_size 0
		.amdhsa_kernarg_size 72
		.amdhsa_user_sgpr_count 15
		.amdhsa_user_sgpr_dispatch_ptr 0
		.amdhsa_user_sgpr_queue_ptr 0
		.amdhsa_user_sgpr_kernarg_segment_ptr 1
		.amdhsa_user_sgpr_dispatch_id 0
		.amdhsa_user_sgpr_private_segment_size 0
		.amdhsa_wavefront_size32 1
		.amdhsa_uses_dynamic_stack 0
		.amdhsa_enable_private_segment 0
		.amdhsa_system_sgpr_workgroup_id_x 1
		.amdhsa_system_sgpr_workgroup_id_y 0
		.amdhsa_system_sgpr_workgroup_id_z 0
		.amdhsa_system_sgpr_workgroup_info 0
		.amdhsa_system_vgpr_workitem_id 0
		.amdhsa_next_free_vgpr 20
		.amdhsa_next_free_sgpr 20
		.amdhsa_reserve_vcc 1
		.amdhsa_float_round_mode_32 0
		.amdhsa_float_round_mode_16_64 0
		.amdhsa_float_denorm_mode_32 3
		.amdhsa_float_denorm_mode_16_64 3
		.amdhsa_dx10_clamp 1
		.amdhsa_ieee_mode 1
		.amdhsa_fp16_overflow 0
		.amdhsa_workgroup_processor_mode 1
		.amdhsa_memory_ordered 1
		.amdhsa_forward_progress 0
		.amdhsa_shared_vgpr_count 0
		.amdhsa_exception_fp_ieee_invalid_op 0
		.amdhsa_exception_fp_denorm_src 0
		.amdhsa_exception_fp_ieee_div_zero 0
		.amdhsa_exception_fp_ieee_overflow 0
		.amdhsa_exception_fp_ieee_underflow 0
		.amdhsa_exception_fp_ieee_inexact 0
		.amdhsa_exception_int_div_zero 0
	.end_amdhsa_kernel
	.section	.text._ZN9rocsparseL19gebsrmvn_4xn_kernelILj128ELj1ELj4EfEEvi20rocsparse_direction_NS_24const_host_device_scalarIT2_EEPKiS6_PKS3_S8_S4_PS3_21rocsparse_index_base_b,"axG",@progbits,_ZN9rocsparseL19gebsrmvn_4xn_kernelILj128ELj1ELj4EfEEvi20rocsparse_direction_NS_24const_host_device_scalarIT2_EEPKiS6_PKS3_S8_S4_PS3_21rocsparse_index_base_b,comdat
.Lfunc_end0:
	.size	_ZN9rocsparseL19gebsrmvn_4xn_kernelILj128ELj1ELj4EfEEvi20rocsparse_direction_NS_24const_host_device_scalarIT2_EEPKiS6_PKS3_S8_S4_PS3_21rocsparse_index_base_b, .Lfunc_end0-_ZN9rocsparseL19gebsrmvn_4xn_kernelILj128ELj1ELj4EfEEvi20rocsparse_direction_NS_24const_host_device_scalarIT2_EEPKiS6_PKS3_S8_S4_PS3_21rocsparse_index_base_b
                                        ; -- End function
	.section	.AMDGPU.csdata,"",@progbits
; Kernel info:
; codeLenInByte = 1112
; NumSgprs: 22
; NumVgprs: 20
; ScratchSize: 0
; MemoryBound: 0
; FloatMode: 240
; IeeeMode: 1
; LDSByteSize: 0 bytes/workgroup (compile time only)
; SGPRBlocks: 2
; VGPRBlocks: 2
; NumSGPRsForWavesPerEU: 22
; NumVGPRsForWavesPerEU: 20
; Occupancy: 16
; WaveLimiterHint : 1
; COMPUTE_PGM_RSRC2:SCRATCH_EN: 0
; COMPUTE_PGM_RSRC2:USER_SGPR: 15
; COMPUTE_PGM_RSRC2:TRAP_HANDLER: 0
; COMPUTE_PGM_RSRC2:TGID_X_EN: 1
; COMPUTE_PGM_RSRC2:TGID_Y_EN: 0
; COMPUTE_PGM_RSRC2:TGID_Z_EN: 0
; COMPUTE_PGM_RSRC2:TIDIG_COMP_CNT: 0
	.section	.text._ZN9rocsparseL19gebsrmvn_4xn_kernelILj128ELj1ELj8EfEEvi20rocsparse_direction_NS_24const_host_device_scalarIT2_EEPKiS6_PKS3_S8_S4_PS3_21rocsparse_index_base_b,"axG",@progbits,_ZN9rocsparseL19gebsrmvn_4xn_kernelILj128ELj1ELj8EfEEvi20rocsparse_direction_NS_24const_host_device_scalarIT2_EEPKiS6_PKS3_S8_S4_PS3_21rocsparse_index_base_b,comdat
	.globl	_ZN9rocsparseL19gebsrmvn_4xn_kernelILj128ELj1ELj8EfEEvi20rocsparse_direction_NS_24const_host_device_scalarIT2_EEPKiS6_PKS3_S8_S4_PS3_21rocsparse_index_base_b ; -- Begin function _ZN9rocsparseL19gebsrmvn_4xn_kernelILj128ELj1ELj8EfEEvi20rocsparse_direction_NS_24const_host_device_scalarIT2_EEPKiS6_PKS3_S8_S4_PS3_21rocsparse_index_base_b
	.p2align	8
	.type	_ZN9rocsparseL19gebsrmvn_4xn_kernelILj128ELj1ELj8EfEEvi20rocsparse_direction_NS_24const_host_device_scalarIT2_EEPKiS6_PKS3_S8_S4_PS3_21rocsparse_index_base_b,@function
_ZN9rocsparseL19gebsrmvn_4xn_kernelILj128ELj1ELj8EfEEvi20rocsparse_direction_NS_24const_host_device_scalarIT2_EEPKiS6_PKS3_S8_S4_PS3_21rocsparse_index_base_b: ; @_ZN9rocsparseL19gebsrmvn_4xn_kernelILj128ELj1ELj8EfEEvi20rocsparse_direction_NS_24const_host_device_scalarIT2_EEPKiS6_PKS3_S8_S4_PS3_21rocsparse_index_base_b
; %bb.0:
	s_clause 0x2
	s_load_b64 s[18:19], s[0:1], 0x40
	s_load_b64 s[16:17], s[0:1], 0x8
	;; [unrolled: 1-line block ×3, first 2 shown]
	s_waitcnt lgkmcnt(0)
	s_bitcmp1_b32 s19, 0
	s_cselect_b32 s2, -1, 0
	s_delay_alu instid0(SALU_CYCLE_1)
	s_and_b32 vcc_lo, exec_lo, s2
	s_xor_b32 s2, s2, -1
	s_cbranch_vccnz .LBB1_2
; %bb.1:
	s_load_b32 s16, s[16:17], 0x0
.LBB1_2:
	s_and_not1_b32 vcc_lo, exec_lo, s2
	s_cbranch_vccnz .LBB1_4
; %bb.3:
	s_load_b32 s12, s[12:13], 0x0
.LBB1_4:
	s_waitcnt lgkmcnt(0)
	v_cmp_eq_f32_e64 s2, s16, 0
	v_cmp_eq_f32_e64 s3, s12, 1.0
	s_delay_alu instid0(VALU_DEP_1) | instskip(NEXT) | instid1(SALU_CYCLE_1)
	s_and_b32 s2, s2, s3
	s_and_b32 vcc_lo, exec_lo, s2
	s_cbranch_vccnz .LBB1_23
; %bb.5:
	s_load_b64 s[2:3], s[0:1], 0x0
	v_lshrrev_b32_e32 v1, 3, v0
	s_delay_alu instid0(VALU_DEP_1) | instskip(SKIP_1) | instid1(VALU_DEP_1)
	v_lshl_or_b32 v4, s15, 4, v1
	s_waitcnt lgkmcnt(0)
	v_cmp_gt_i32_e32 vcc_lo, s2, v4
	s_and_saveexec_b32 s2, vcc_lo
	s_cbranch_execz .LBB1_23
; %bb.6:
	s_load_b256 s[4:11], s[0:1], 0x10
	v_ashrrev_i32_e32 v5, 31, v4
	v_and_b32_e32 v7, 7, v0
	s_cmp_lg_u32 s3, 0
	s_delay_alu instid0(VALU_DEP_2) | instskip(SKIP_1) | instid1(VALU_DEP_1)
	v_lshlrev_b64 v[1:2], 2, v[4:5]
	s_waitcnt lgkmcnt(0)
	v_add_co_u32 v1, vcc_lo, s4, v1
	s_delay_alu instid0(VALU_DEP_2) | instskip(SKIP_4) | instid1(VALU_DEP_2)
	v_add_co_ci_u32_e32 v2, vcc_lo, s5, v2, vcc_lo
	global_load_b64 v[1:2], v[1:2], off
	s_waitcnt vmcnt(0)
	v_subrev_nc_u32_e32 v0, s18, v1
	v_subrev_nc_u32_e32 v12, s18, v2
	v_add_nc_u32_e32 v0, v0, v7
	s_delay_alu instid0(VALU_DEP_1)
	v_cmp_lt_i32_e64 s2, v0, v12
	s_cbranch_scc0 .LBB1_12
; %bb.7:
	v_dual_mov_b32 v8, 0 :: v_dual_mov_b32 v9, 0
	v_dual_mov_b32 v10, 0 :: v_dual_mov_b32 v11, 0
	s_mov_b32 s3, 0
	s_and_saveexec_b32 s4, s2
	s_cbranch_execz .LBB1_11
; %bb.8:
	v_dual_mov_b32 v2, 0 :: v_dual_lshlrev_b32 v1, 2, v0
	v_mov_b32_e32 v5, v0
	s_mov_b32 s5, 0
	s_delay_alu instid0(VALU_DEP_2)
	v_mov_b32_e32 v8, v2
	v_mov_b32_e32 v9, v2
	;; [unrolled: 1-line block ×4, first 2 shown]
	s_set_inst_prefetch_distance 0x1
	.p2align	6
.LBB1_9:                                ; =>This Inner Loop Header: Depth=1
	v_ashrrev_i32_e32 v6, 31, v5
	v_mov_b32_e32 v15, v2
	s_delay_alu instid0(VALU_DEP_2) | instskip(NEXT) | instid1(VALU_DEP_1)
	v_lshlrev_b64 v[13:14], 2, v[5:6]
	v_add_co_u32 v13, vcc_lo, s6, v13
	s_delay_alu instid0(VALU_DEP_2) | instskip(SKIP_3) | instid1(VALU_DEP_2)
	v_add_co_ci_u32_e32 v14, vcc_lo, s7, v14, vcc_lo
	global_load_b32 v3, v[13:14], off
	v_lshlrev_b64 v[13:14], 2, v[1:2]
	v_add_nc_u32_e32 v1, 32, v1
	v_add_co_u32 v16, vcc_lo, s8, v13
	s_delay_alu instid0(VALU_DEP_3) | instskip(SKIP_2) | instid1(VALU_DEP_1)
	v_add_co_ci_u32_e32 v17, vcc_lo, s9, v14, vcc_lo
	s_waitcnt vmcnt(0)
	v_subrev_nc_u32_e32 v14, s18, v3
	v_lshlrev_b64 v[13:14], 2, v[14:15]
	s_delay_alu instid0(VALU_DEP_1) | instskip(NEXT) | instid1(VALU_DEP_2)
	v_add_co_u32 v18, vcc_lo, s10, v13
	v_add_co_ci_u32_e32 v19, vcc_lo, s11, v14, vcc_lo
	global_load_b128 v[13:16], v[16:17], off
	global_load_b32 v3, v[18:19], off
	s_waitcnt vmcnt(0)
	v_dual_fmac_f32 v10, v15, v3 :: v_dual_add_nc_u32 v5, 8, v5
	s_delay_alu instid0(VALU_DEP_1) | instskip(SKIP_4) | instid1(SALU_CYCLE_1)
	v_cmp_ge_i32_e32 vcc_lo, v5, v12
	v_fmac_f32_e32 v8, v13, v3
	v_fmac_f32_e32 v11, v14, v3
	v_fmac_f32_e32 v9, v16, v3
	s_or_b32 s5, vcc_lo, s5
	s_and_not1_b32 exec_lo, exec_lo, s5
	s_cbranch_execnz .LBB1_9
; %bb.10:
	s_set_inst_prefetch_distance 0x2
	s_or_b32 exec_lo, exec_lo, s5
.LBB1_11:
	s_delay_alu instid0(SALU_CYCLE_1) | instskip(NEXT) | instid1(SALU_CYCLE_1)
	s_or_b32 exec_lo, exec_lo, s4
	s_and_not1_b32 vcc_lo, exec_lo, s3
	s_cbranch_vccz .LBB1_13
	s_branch .LBB1_18
.LBB1_12:
                                        ; implicit-def: $vgpr8
                                        ; implicit-def: $vgpr9
                                        ; implicit-def: $vgpr10
                                        ; implicit-def: $vgpr11
.LBB1_13:
	v_dual_mov_b32 v8, 0 :: v_dual_mov_b32 v9, 0
	v_dual_mov_b32 v10, 0 :: v_dual_mov_b32 v11, 0
	s_delay_alu instid0(VALU_DEP_3)
	s_and_saveexec_b32 s3, s2
	s_cbranch_execz .LBB1_17
; %bb.14:
	v_dual_mov_b32 v3, 0 :: v_dual_lshlrev_b32 v2, 2, v0
	s_mov_b32 s2, 0
	s_delay_alu instid0(VALU_DEP_1)
	v_mov_b32_e32 v8, v3
	v_mov_b32_e32 v9, v3
	;; [unrolled: 1-line block ×4, first 2 shown]
	s_set_inst_prefetch_distance 0x1
	.p2align	6
.LBB1_15:                               ; =>This Inner Loop Header: Depth=1
	v_ashrrev_i32_e32 v1, 31, v0
	v_mov_b32_e32 v14, v3
	s_delay_alu instid0(VALU_DEP_2) | instskip(NEXT) | instid1(VALU_DEP_1)
	v_lshlrev_b64 v[5:6], 2, v[0:1]
	v_add_co_u32 v5, vcc_lo, s6, v5
	s_delay_alu instid0(VALU_DEP_2) | instskip(SKIP_3) | instid1(VALU_DEP_2)
	v_add_co_ci_u32_e32 v6, vcc_lo, s7, v6, vcc_lo
	global_load_b32 v1, v[5:6], off
	v_lshlrev_b64 v[5:6], 2, v[2:3]
	v_add_nc_u32_e32 v2, 32, v2
	v_add_co_u32 v5, vcc_lo, s8, v5
	s_delay_alu instid0(VALU_DEP_3) | instskip(SKIP_2) | instid1(VALU_DEP_1)
	v_add_co_ci_u32_e32 v6, vcc_lo, s9, v6, vcc_lo
	s_waitcnt vmcnt(0)
	v_subrev_nc_u32_e32 v13, s18, v1
	v_lshlrev_b64 v[13:14], 2, v[13:14]
	s_delay_alu instid0(VALU_DEP_1) | instskip(NEXT) | instid1(VALU_DEP_2)
	v_add_co_u32 v17, vcc_lo, s10, v13
	v_add_co_ci_u32_e32 v18, vcc_lo, s11, v14, vcc_lo
	global_load_b128 v[13:16], v[5:6], off
	global_load_b32 v1, v[17:18], off
	s_waitcnt vmcnt(0)
	v_dual_fmac_f32 v11, v14, v1 :: v_dual_add_nc_u32 v0, 8, v0
	s_delay_alu instid0(VALU_DEP_1) | instskip(SKIP_4) | instid1(SALU_CYCLE_1)
	v_cmp_ge_i32_e32 vcc_lo, v0, v12
	v_fmac_f32_e32 v8, v13, v1
	v_fmac_f32_e32 v10, v15, v1
	;; [unrolled: 1-line block ×3, first 2 shown]
	s_or_b32 s2, vcc_lo, s2
	s_and_not1_b32 exec_lo, exec_lo, s2
	s_cbranch_execnz .LBB1_15
; %bb.16:
	s_set_inst_prefetch_distance 0x2
	s_or_b32 exec_lo, exec_lo, s2
.LBB1_17:
	s_delay_alu instid0(SALU_CYCLE_1)
	s_or_b32 exec_lo, exec_lo, s3
.LBB1_18:
	v_mbcnt_lo_u32_b32 v0, -1, 0
	s_mov_b32 s2, -1
	s_delay_alu instid0(VALU_DEP_1) | instskip(SKIP_1) | instid1(VALU_DEP_2)
	v_xor_b32_e32 v1, 4, v0
	v_xor_b32_e32 v6, 2, v0
	v_cmp_gt_i32_e32 vcc_lo, 32, v1
	v_cndmask_b32_e32 v1, v0, v1, vcc_lo
	s_delay_alu instid0(VALU_DEP_3) | instskip(SKIP_1) | instid1(VALU_DEP_1)
	v_cmp_gt_i32_e32 vcc_lo, 32, v6
	v_cndmask_b32_e32 v6, v0, v6, vcc_lo
	v_lshlrev_b32_e32 v6, 2, v6
	s_delay_alu instid0(VALU_DEP_4)
	v_lshlrev_b32_e32 v1, 2, v1
	ds_bpermute_b32 v2, v1, v8
	s_waitcnt lgkmcnt(0)
	v_add_f32_e32 v2, v8, v2
	ds_bpermute_b32 v3, v1, v11
	ds_bpermute_b32 v5, v1, v10
	ds_bpermute_b32 v1, v1, v9
	s_waitcnt lgkmcnt(2)
	v_add_f32_e32 v3, v11, v3
	v_xor_b32_e32 v11, 1, v0
	s_delay_alu instid0(VALU_DEP_1)
	v_cmp_gt_i32_e32 vcc_lo, 32, v11
	s_waitcnt lgkmcnt(1)
	v_dual_add_f32 v5, v10, v5 :: v_dual_cndmask_b32 v0, v0, v11
	s_waitcnt lgkmcnt(0)
	v_add_f32_e32 v8, v9, v1
	ds_bpermute_b32 v1, v6, v2
	ds_bpermute_b32 v9, v6, v3
	;; [unrolled: 1-line block ×3, first 2 shown]
	v_lshlrev_b32_e32 v11, 2, v0
	ds_bpermute_b32 v6, v6, v8
	v_cmp_eq_u32_e32 vcc_lo, 7, v7
	s_waitcnt lgkmcnt(3)
	v_add_f32_e32 v0, v2, v1
	s_waitcnt lgkmcnt(1)
	v_dual_add_f32 v1, v3, v9 :: v_dual_add_f32 v2, v5, v10
	s_waitcnt lgkmcnt(0)
	v_add_f32_e32 v3, v8, v6
	ds_bpermute_b32 v5, v11, v0
	ds_bpermute_b32 v6, v11, v1
	;; [unrolled: 1-line block ×4, first 2 shown]
	s_and_b32 exec_lo, exec_lo, vcc_lo
	s_cbranch_execz .LBB1_23
; %bb.19:
	s_load_b64 s[0:1], s[0:1], 0x38
	s_waitcnt lgkmcnt(0)
	v_dual_add_f32 v0, v0, v5 :: v_dual_add_f32 v1, v1, v6
	v_dual_add_f32 v2, v2, v8 :: v_dual_add_f32 v3, v3, v9
	v_cmp_eq_f32_e64 s3, s12, 0
	s_delay_alu instid0(VALU_DEP_3) | instskip(NEXT) | instid1(VALU_DEP_3)
	v_dual_mul_f32 v0, s16, v0 :: v_dual_mul_f32 v1, s16, v1
	v_dual_mul_f32 v2, s16, v2 :: v_dual_mul_f32 v3, s16, v3
	v_lshlrev_b32_e32 v4, 2, v4
	s_delay_alu instid0(VALU_DEP_4)
	s_and_b32 vcc_lo, exec_lo, s3
	s_cbranch_vccz .LBB1_21
; %bb.20:
	s_delay_alu instid0(VALU_DEP_1) | instskip(SKIP_1) | instid1(VALU_DEP_1)
	v_ashrrev_i32_e32 v5, 31, v4
	s_mov_b32 s2, 0
	v_lshlrev_b64 v[5:6], 2, v[4:5]
	s_delay_alu instid0(VALU_DEP_1) | instskip(NEXT) | instid1(VALU_DEP_2)
	v_add_co_u32 v5, vcc_lo, s0, v5
	v_add_co_ci_u32_e32 v6, vcc_lo, s1, v6, vcc_lo
	global_store_b128 v[5:6], v[0:3], off
.LBB1_21:
	s_and_not1_b32 vcc_lo, exec_lo, s2
	s_cbranch_vccnz .LBB1_23
; %bb.22:
	v_ashrrev_i32_e32 v5, 31, v4
	s_delay_alu instid0(VALU_DEP_1) | instskip(NEXT) | instid1(VALU_DEP_1)
	v_lshlrev_b64 v[4:5], 2, v[4:5]
	v_add_co_u32 v8, vcc_lo, s0, v4
	s_delay_alu instid0(VALU_DEP_2)
	v_add_co_ci_u32_e32 v9, vcc_lo, s1, v5, vcc_lo
	global_load_b128 v[4:7], v[8:9], off
	s_waitcnt vmcnt(0)
	v_dual_fmac_f32 v0, s12, v4 :: v_dual_fmac_f32 v1, s12, v5
	v_dual_fmac_f32 v2, s12, v6 :: v_dual_fmac_f32 v3, s12, v7
	global_store_b128 v[8:9], v[0:3], off
.LBB1_23:
	s_nop 0
	s_sendmsg sendmsg(MSG_DEALLOC_VGPRS)
	s_endpgm
	.section	.rodata,"a",@progbits
	.p2align	6, 0x0
	.amdhsa_kernel _ZN9rocsparseL19gebsrmvn_4xn_kernelILj128ELj1ELj8EfEEvi20rocsparse_direction_NS_24const_host_device_scalarIT2_EEPKiS6_PKS3_S8_S4_PS3_21rocsparse_index_base_b
		.amdhsa_group_segment_fixed_size 0
		.amdhsa_private_segment_fixed_size 0
		.amdhsa_kernarg_size 72
		.amdhsa_user_sgpr_count 15
		.amdhsa_user_sgpr_dispatch_ptr 0
		.amdhsa_user_sgpr_queue_ptr 0
		.amdhsa_user_sgpr_kernarg_segment_ptr 1
		.amdhsa_user_sgpr_dispatch_id 0
		.amdhsa_user_sgpr_private_segment_size 0
		.amdhsa_wavefront_size32 1
		.amdhsa_uses_dynamic_stack 0
		.amdhsa_enable_private_segment 0
		.amdhsa_system_sgpr_workgroup_id_x 1
		.amdhsa_system_sgpr_workgroup_id_y 0
		.amdhsa_system_sgpr_workgroup_id_z 0
		.amdhsa_system_sgpr_workgroup_info 0
		.amdhsa_system_vgpr_workitem_id 0
		.amdhsa_next_free_vgpr 20
		.amdhsa_next_free_sgpr 20
		.amdhsa_reserve_vcc 1
		.amdhsa_float_round_mode_32 0
		.amdhsa_float_round_mode_16_64 0
		.amdhsa_float_denorm_mode_32 3
		.amdhsa_float_denorm_mode_16_64 3
		.amdhsa_dx10_clamp 1
		.amdhsa_ieee_mode 1
		.amdhsa_fp16_overflow 0
		.amdhsa_workgroup_processor_mode 1
		.amdhsa_memory_ordered 1
		.amdhsa_forward_progress 0
		.amdhsa_shared_vgpr_count 0
		.amdhsa_exception_fp_ieee_invalid_op 0
		.amdhsa_exception_fp_denorm_src 0
		.amdhsa_exception_fp_ieee_div_zero 0
		.amdhsa_exception_fp_ieee_overflow 0
		.amdhsa_exception_fp_ieee_underflow 0
		.amdhsa_exception_fp_ieee_inexact 0
		.amdhsa_exception_int_div_zero 0
	.end_amdhsa_kernel
	.section	.text._ZN9rocsparseL19gebsrmvn_4xn_kernelILj128ELj1ELj8EfEEvi20rocsparse_direction_NS_24const_host_device_scalarIT2_EEPKiS6_PKS3_S8_S4_PS3_21rocsparse_index_base_b,"axG",@progbits,_ZN9rocsparseL19gebsrmvn_4xn_kernelILj128ELj1ELj8EfEEvi20rocsparse_direction_NS_24const_host_device_scalarIT2_EEPKiS6_PKS3_S8_S4_PS3_21rocsparse_index_base_b,comdat
.Lfunc_end1:
	.size	_ZN9rocsparseL19gebsrmvn_4xn_kernelILj128ELj1ELj8EfEEvi20rocsparse_direction_NS_24const_host_device_scalarIT2_EEPKiS6_PKS3_S8_S4_PS3_21rocsparse_index_base_b, .Lfunc_end1-_ZN9rocsparseL19gebsrmvn_4xn_kernelILj128ELj1ELj8EfEEvi20rocsparse_direction_NS_24const_host_device_scalarIT2_EEPKiS6_PKS3_S8_S4_PS3_21rocsparse_index_base_b
                                        ; -- End function
	.section	.AMDGPU.csdata,"",@progbits
; Kernel info:
; codeLenInByte = 1200
; NumSgprs: 22
; NumVgprs: 20
; ScratchSize: 0
; MemoryBound: 0
; FloatMode: 240
; IeeeMode: 1
; LDSByteSize: 0 bytes/workgroup (compile time only)
; SGPRBlocks: 2
; VGPRBlocks: 2
; NumSGPRsForWavesPerEU: 22
; NumVGPRsForWavesPerEU: 20
; Occupancy: 16
; WaveLimiterHint : 1
; COMPUTE_PGM_RSRC2:SCRATCH_EN: 0
; COMPUTE_PGM_RSRC2:USER_SGPR: 15
; COMPUTE_PGM_RSRC2:TRAP_HANDLER: 0
; COMPUTE_PGM_RSRC2:TGID_X_EN: 1
; COMPUTE_PGM_RSRC2:TGID_Y_EN: 0
; COMPUTE_PGM_RSRC2:TGID_Z_EN: 0
; COMPUTE_PGM_RSRC2:TIDIG_COMP_CNT: 0
	.section	.text._ZN9rocsparseL19gebsrmvn_4xn_kernelILj128ELj1ELj16EfEEvi20rocsparse_direction_NS_24const_host_device_scalarIT2_EEPKiS6_PKS3_S8_S4_PS3_21rocsparse_index_base_b,"axG",@progbits,_ZN9rocsparseL19gebsrmvn_4xn_kernelILj128ELj1ELj16EfEEvi20rocsparse_direction_NS_24const_host_device_scalarIT2_EEPKiS6_PKS3_S8_S4_PS3_21rocsparse_index_base_b,comdat
	.globl	_ZN9rocsparseL19gebsrmvn_4xn_kernelILj128ELj1ELj16EfEEvi20rocsparse_direction_NS_24const_host_device_scalarIT2_EEPKiS6_PKS3_S8_S4_PS3_21rocsparse_index_base_b ; -- Begin function _ZN9rocsparseL19gebsrmvn_4xn_kernelILj128ELj1ELj16EfEEvi20rocsparse_direction_NS_24const_host_device_scalarIT2_EEPKiS6_PKS3_S8_S4_PS3_21rocsparse_index_base_b
	.p2align	8
	.type	_ZN9rocsparseL19gebsrmvn_4xn_kernelILj128ELj1ELj16EfEEvi20rocsparse_direction_NS_24const_host_device_scalarIT2_EEPKiS6_PKS3_S8_S4_PS3_21rocsparse_index_base_b,@function
_ZN9rocsparseL19gebsrmvn_4xn_kernelILj128ELj1ELj16EfEEvi20rocsparse_direction_NS_24const_host_device_scalarIT2_EEPKiS6_PKS3_S8_S4_PS3_21rocsparse_index_base_b: ; @_ZN9rocsparseL19gebsrmvn_4xn_kernelILj128ELj1ELj16EfEEvi20rocsparse_direction_NS_24const_host_device_scalarIT2_EEPKiS6_PKS3_S8_S4_PS3_21rocsparse_index_base_b
; %bb.0:
	s_clause 0x2
	s_load_b64 s[18:19], s[0:1], 0x40
	s_load_b64 s[16:17], s[0:1], 0x8
	;; [unrolled: 1-line block ×3, first 2 shown]
	s_waitcnt lgkmcnt(0)
	s_bitcmp1_b32 s19, 0
	s_cselect_b32 s2, -1, 0
	s_delay_alu instid0(SALU_CYCLE_1)
	s_and_b32 vcc_lo, exec_lo, s2
	s_xor_b32 s2, s2, -1
	s_cbranch_vccnz .LBB2_2
; %bb.1:
	s_load_b32 s16, s[16:17], 0x0
.LBB2_2:
	s_and_not1_b32 vcc_lo, exec_lo, s2
	s_cbranch_vccnz .LBB2_4
; %bb.3:
	s_load_b32 s12, s[12:13], 0x0
.LBB2_4:
	s_waitcnt lgkmcnt(0)
	v_cmp_eq_f32_e64 s2, s16, 0
	v_cmp_eq_f32_e64 s3, s12, 1.0
	s_delay_alu instid0(VALU_DEP_1) | instskip(NEXT) | instid1(SALU_CYCLE_1)
	s_and_b32 s2, s2, s3
	s_and_b32 vcc_lo, exec_lo, s2
	s_cbranch_vccnz .LBB2_23
; %bb.5:
	s_load_b64 s[2:3], s[0:1], 0x0
	v_lshrrev_b32_e32 v1, 4, v0
	s_delay_alu instid0(VALU_DEP_1) | instskip(SKIP_1) | instid1(VALU_DEP_1)
	v_lshl_or_b32 v4, s15, 3, v1
	s_waitcnt lgkmcnt(0)
	v_cmp_gt_i32_e32 vcc_lo, s2, v4
	s_and_saveexec_b32 s2, vcc_lo
	s_cbranch_execz .LBB2_23
; %bb.6:
	s_load_b256 s[4:11], s[0:1], 0x10
	v_ashrrev_i32_e32 v5, 31, v4
	v_and_b32_e32 v7, 15, v0
	s_cmp_lg_u32 s3, 0
	s_delay_alu instid0(VALU_DEP_2) | instskip(SKIP_1) | instid1(VALU_DEP_1)
	v_lshlrev_b64 v[1:2], 2, v[4:5]
	s_waitcnt lgkmcnt(0)
	v_add_co_u32 v1, vcc_lo, s4, v1
	s_delay_alu instid0(VALU_DEP_2) | instskip(SKIP_4) | instid1(VALU_DEP_2)
	v_add_co_ci_u32_e32 v2, vcc_lo, s5, v2, vcc_lo
	global_load_b64 v[1:2], v[1:2], off
	s_waitcnt vmcnt(0)
	v_subrev_nc_u32_e32 v0, s18, v1
	v_subrev_nc_u32_e32 v12, s18, v2
	v_add_nc_u32_e32 v0, v0, v7
	s_delay_alu instid0(VALU_DEP_1)
	v_cmp_lt_i32_e64 s2, v0, v12
	s_cbranch_scc0 .LBB2_12
; %bb.7:
	v_dual_mov_b32 v8, 0 :: v_dual_mov_b32 v9, 0
	v_dual_mov_b32 v10, 0 :: v_dual_mov_b32 v11, 0
	s_mov_b32 s3, 0
	s_and_saveexec_b32 s4, s2
	s_cbranch_execz .LBB2_11
; %bb.8:
	v_dual_mov_b32 v2, 0 :: v_dual_lshlrev_b32 v1, 2, v0
	v_mov_b32_e32 v5, v0
	s_mov_b32 s5, 0
	s_delay_alu instid0(VALU_DEP_2)
	v_mov_b32_e32 v8, v2
	v_mov_b32_e32 v9, v2
	;; [unrolled: 1-line block ×4, first 2 shown]
	s_set_inst_prefetch_distance 0x1
	.p2align	6
.LBB2_9:                                ; =>This Inner Loop Header: Depth=1
	v_ashrrev_i32_e32 v6, 31, v5
	v_mov_b32_e32 v15, v2
	s_delay_alu instid0(VALU_DEP_2) | instskip(NEXT) | instid1(VALU_DEP_1)
	v_lshlrev_b64 v[13:14], 2, v[5:6]
	v_add_co_u32 v13, vcc_lo, s6, v13
	s_delay_alu instid0(VALU_DEP_2) | instskip(SKIP_3) | instid1(VALU_DEP_2)
	v_add_co_ci_u32_e32 v14, vcc_lo, s7, v14, vcc_lo
	global_load_b32 v3, v[13:14], off
	v_lshlrev_b64 v[13:14], 2, v[1:2]
	v_add_nc_u32_e32 v1, 64, v1
	v_add_co_u32 v16, vcc_lo, s8, v13
	s_delay_alu instid0(VALU_DEP_3) | instskip(SKIP_2) | instid1(VALU_DEP_1)
	v_add_co_ci_u32_e32 v17, vcc_lo, s9, v14, vcc_lo
	s_waitcnt vmcnt(0)
	v_subrev_nc_u32_e32 v14, s18, v3
	v_lshlrev_b64 v[13:14], 2, v[14:15]
	s_delay_alu instid0(VALU_DEP_1) | instskip(NEXT) | instid1(VALU_DEP_2)
	v_add_co_u32 v18, vcc_lo, s10, v13
	v_add_co_ci_u32_e32 v19, vcc_lo, s11, v14, vcc_lo
	global_load_b128 v[13:16], v[16:17], off
	global_load_b32 v3, v[18:19], off
	s_waitcnt vmcnt(0)
	v_dual_fmac_f32 v10, v15, v3 :: v_dual_add_nc_u32 v5, 16, v5
	s_delay_alu instid0(VALU_DEP_1) | instskip(SKIP_4) | instid1(SALU_CYCLE_1)
	v_cmp_ge_i32_e32 vcc_lo, v5, v12
	v_fmac_f32_e32 v8, v13, v3
	v_fmac_f32_e32 v11, v14, v3
	v_fmac_f32_e32 v9, v16, v3
	s_or_b32 s5, vcc_lo, s5
	s_and_not1_b32 exec_lo, exec_lo, s5
	s_cbranch_execnz .LBB2_9
; %bb.10:
	s_set_inst_prefetch_distance 0x2
	s_or_b32 exec_lo, exec_lo, s5
.LBB2_11:
	s_delay_alu instid0(SALU_CYCLE_1) | instskip(NEXT) | instid1(SALU_CYCLE_1)
	s_or_b32 exec_lo, exec_lo, s4
	s_and_not1_b32 vcc_lo, exec_lo, s3
	s_cbranch_vccz .LBB2_13
	s_branch .LBB2_18
.LBB2_12:
                                        ; implicit-def: $vgpr8
                                        ; implicit-def: $vgpr9
                                        ; implicit-def: $vgpr10
                                        ; implicit-def: $vgpr11
.LBB2_13:
	v_dual_mov_b32 v8, 0 :: v_dual_mov_b32 v9, 0
	v_dual_mov_b32 v10, 0 :: v_dual_mov_b32 v11, 0
	s_delay_alu instid0(VALU_DEP_3)
	s_and_saveexec_b32 s3, s2
	s_cbranch_execz .LBB2_17
; %bb.14:
	v_dual_mov_b32 v3, 0 :: v_dual_lshlrev_b32 v2, 2, v0
	s_mov_b32 s2, 0
	s_delay_alu instid0(VALU_DEP_1)
	v_mov_b32_e32 v8, v3
	v_mov_b32_e32 v9, v3
	;; [unrolled: 1-line block ×4, first 2 shown]
	s_set_inst_prefetch_distance 0x1
	.p2align	6
.LBB2_15:                               ; =>This Inner Loop Header: Depth=1
	v_ashrrev_i32_e32 v1, 31, v0
	v_mov_b32_e32 v14, v3
	s_delay_alu instid0(VALU_DEP_2) | instskip(NEXT) | instid1(VALU_DEP_1)
	v_lshlrev_b64 v[5:6], 2, v[0:1]
	v_add_co_u32 v5, vcc_lo, s6, v5
	s_delay_alu instid0(VALU_DEP_2) | instskip(SKIP_3) | instid1(VALU_DEP_2)
	v_add_co_ci_u32_e32 v6, vcc_lo, s7, v6, vcc_lo
	global_load_b32 v1, v[5:6], off
	v_lshlrev_b64 v[5:6], 2, v[2:3]
	v_add_nc_u32_e32 v2, 64, v2
	v_add_co_u32 v5, vcc_lo, s8, v5
	s_delay_alu instid0(VALU_DEP_3) | instskip(SKIP_2) | instid1(VALU_DEP_1)
	v_add_co_ci_u32_e32 v6, vcc_lo, s9, v6, vcc_lo
	s_waitcnt vmcnt(0)
	v_subrev_nc_u32_e32 v13, s18, v1
	v_lshlrev_b64 v[13:14], 2, v[13:14]
	s_delay_alu instid0(VALU_DEP_1) | instskip(NEXT) | instid1(VALU_DEP_2)
	v_add_co_u32 v17, vcc_lo, s10, v13
	v_add_co_ci_u32_e32 v18, vcc_lo, s11, v14, vcc_lo
	global_load_b128 v[13:16], v[5:6], off
	global_load_b32 v1, v[17:18], off
	s_waitcnt vmcnt(0)
	v_dual_fmac_f32 v11, v14, v1 :: v_dual_add_nc_u32 v0, 16, v0
	s_delay_alu instid0(VALU_DEP_1) | instskip(SKIP_4) | instid1(SALU_CYCLE_1)
	v_cmp_ge_i32_e32 vcc_lo, v0, v12
	v_fmac_f32_e32 v8, v13, v1
	v_fmac_f32_e32 v10, v15, v1
	;; [unrolled: 1-line block ×3, first 2 shown]
	s_or_b32 s2, vcc_lo, s2
	s_and_not1_b32 exec_lo, exec_lo, s2
	s_cbranch_execnz .LBB2_15
; %bb.16:
	s_set_inst_prefetch_distance 0x2
	s_or_b32 exec_lo, exec_lo, s2
.LBB2_17:
	s_delay_alu instid0(SALU_CYCLE_1)
	s_or_b32 exec_lo, exec_lo, s3
.LBB2_18:
	v_mbcnt_lo_u32_b32 v0, -1, 0
	s_mov_b32 s2, -1
	s_delay_alu instid0(VALU_DEP_1) | instskip(SKIP_1) | instid1(VALU_DEP_2)
	v_xor_b32_e32 v1, 8, v0
	v_xor_b32_e32 v6, 4, v0
	v_cmp_gt_i32_e32 vcc_lo, 32, v1
	v_cndmask_b32_e32 v1, v0, v1, vcc_lo
	s_delay_alu instid0(VALU_DEP_3) | instskip(SKIP_1) | instid1(VALU_DEP_1)
	v_cmp_gt_i32_e32 vcc_lo, 32, v6
	v_cndmask_b32_e32 v6, v0, v6, vcc_lo
	v_lshlrev_b32_e32 v6, 2, v6
	s_delay_alu instid0(VALU_DEP_4)
	v_lshlrev_b32_e32 v1, 2, v1
	ds_bpermute_b32 v2, v1, v8
	s_waitcnt lgkmcnt(0)
	v_add_f32_e32 v2, v8, v2
	ds_bpermute_b32 v3, v1, v11
	ds_bpermute_b32 v5, v1, v10
	;; [unrolled: 1-line block ×4, first 2 shown]
	s_waitcnt lgkmcnt(3)
	v_add_f32_e32 v3, v11, v3
	v_xor_b32_e32 v11, 2, v0
	s_waitcnt lgkmcnt(0)
	v_dual_add_f32 v1, v9, v1 :: v_dual_add_f32 v2, v2, v8
	v_add_f32_e32 v5, v10, v5
	ds_bpermute_b32 v9, v6, v3
	v_cmp_gt_i32_e32 vcc_lo, 32, v11
	ds_bpermute_b32 v10, v6, v5
	ds_bpermute_b32 v6, v6, v1
	v_cndmask_b32_e32 v11, v0, v11, vcc_lo
	s_waitcnt lgkmcnt(0)
	v_dual_add_f32 v3, v3, v9 :: v_dual_add_f32 v6, v1, v6
	v_add_f32_e32 v5, v5, v10
	s_delay_alu instid0(VALU_DEP_3)
	v_lshlrev_b32_e32 v11, 2, v11
	ds_bpermute_b32 v1, v11, v2
	ds_bpermute_b32 v8, v11, v3
	;; [unrolled: 1-line block ×4, first 2 shown]
	v_xor_b32_e32 v11, 1, v0
	s_delay_alu instid0(VALU_DEP_1) | instskip(SKIP_3) | instid1(VALU_DEP_2)
	v_cmp_gt_i32_e32 vcc_lo, 32, v11
	v_cndmask_b32_e32 v0, v0, v11, vcc_lo
	v_cmp_eq_u32_e32 vcc_lo, 15, v7
	s_waitcnt lgkmcnt(3)
	v_dual_add_f32 v0, v2, v1 :: v_dual_lshlrev_b32 v11, 2, v0
	s_waitcnt lgkmcnt(1)
	v_dual_add_f32 v1, v3, v8 :: v_dual_add_f32 v2, v5, v9
	s_waitcnt lgkmcnt(0)
	v_add_f32_e32 v3, v6, v10
	ds_bpermute_b32 v5, v11, v0
	ds_bpermute_b32 v6, v11, v1
	;; [unrolled: 1-line block ×4, first 2 shown]
	s_and_b32 exec_lo, exec_lo, vcc_lo
	s_cbranch_execz .LBB2_23
; %bb.19:
	s_load_b64 s[0:1], s[0:1], 0x38
	s_waitcnt lgkmcnt(0)
	v_dual_add_f32 v0, v0, v5 :: v_dual_add_f32 v1, v1, v6
	v_dual_add_f32 v2, v2, v8 :: v_dual_add_f32 v3, v3, v9
	v_cmp_eq_f32_e64 s3, s12, 0
	s_delay_alu instid0(VALU_DEP_3) | instskip(NEXT) | instid1(VALU_DEP_3)
	v_dual_mul_f32 v0, s16, v0 :: v_dual_mul_f32 v1, s16, v1
	v_dual_mul_f32 v2, s16, v2 :: v_dual_mul_f32 v3, s16, v3
	v_lshlrev_b32_e32 v4, 2, v4
	s_delay_alu instid0(VALU_DEP_4)
	s_and_b32 vcc_lo, exec_lo, s3
	s_cbranch_vccz .LBB2_21
; %bb.20:
	s_delay_alu instid0(VALU_DEP_1) | instskip(SKIP_1) | instid1(VALU_DEP_1)
	v_ashrrev_i32_e32 v5, 31, v4
	s_mov_b32 s2, 0
	v_lshlrev_b64 v[5:6], 2, v[4:5]
	s_delay_alu instid0(VALU_DEP_1) | instskip(NEXT) | instid1(VALU_DEP_2)
	v_add_co_u32 v5, vcc_lo, s0, v5
	v_add_co_ci_u32_e32 v6, vcc_lo, s1, v6, vcc_lo
	global_store_b128 v[5:6], v[0:3], off
.LBB2_21:
	s_and_not1_b32 vcc_lo, exec_lo, s2
	s_cbranch_vccnz .LBB2_23
; %bb.22:
	v_ashrrev_i32_e32 v5, 31, v4
	s_delay_alu instid0(VALU_DEP_1) | instskip(NEXT) | instid1(VALU_DEP_1)
	v_lshlrev_b64 v[4:5], 2, v[4:5]
	v_add_co_u32 v8, vcc_lo, s0, v4
	s_delay_alu instid0(VALU_DEP_2)
	v_add_co_ci_u32_e32 v9, vcc_lo, s1, v5, vcc_lo
	global_load_b128 v[4:7], v[8:9], off
	s_waitcnt vmcnt(0)
	v_dual_fmac_f32 v0, s12, v4 :: v_dual_fmac_f32 v1, s12, v5
	v_dual_fmac_f32 v2, s12, v6 :: v_dual_fmac_f32 v3, s12, v7
	global_store_b128 v[8:9], v[0:3], off
.LBB2_23:
	s_nop 0
	s_sendmsg sendmsg(MSG_DEALLOC_VGPRS)
	s_endpgm
	.section	.rodata,"a",@progbits
	.p2align	6, 0x0
	.amdhsa_kernel _ZN9rocsparseL19gebsrmvn_4xn_kernelILj128ELj1ELj16EfEEvi20rocsparse_direction_NS_24const_host_device_scalarIT2_EEPKiS6_PKS3_S8_S4_PS3_21rocsparse_index_base_b
		.amdhsa_group_segment_fixed_size 0
		.amdhsa_private_segment_fixed_size 0
		.amdhsa_kernarg_size 72
		.amdhsa_user_sgpr_count 15
		.amdhsa_user_sgpr_dispatch_ptr 0
		.amdhsa_user_sgpr_queue_ptr 0
		.amdhsa_user_sgpr_kernarg_segment_ptr 1
		.amdhsa_user_sgpr_dispatch_id 0
		.amdhsa_user_sgpr_private_segment_size 0
		.amdhsa_wavefront_size32 1
		.amdhsa_uses_dynamic_stack 0
		.amdhsa_enable_private_segment 0
		.amdhsa_system_sgpr_workgroup_id_x 1
		.amdhsa_system_sgpr_workgroup_id_y 0
		.amdhsa_system_sgpr_workgroup_id_z 0
		.amdhsa_system_sgpr_workgroup_info 0
		.amdhsa_system_vgpr_workitem_id 0
		.amdhsa_next_free_vgpr 20
		.amdhsa_next_free_sgpr 20
		.amdhsa_reserve_vcc 1
		.amdhsa_float_round_mode_32 0
		.amdhsa_float_round_mode_16_64 0
		.amdhsa_float_denorm_mode_32 3
		.amdhsa_float_denorm_mode_16_64 3
		.amdhsa_dx10_clamp 1
		.amdhsa_ieee_mode 1
		.amdhsa_fp16_overflow 0
		.amdhsa_workgroup_processor_mode 1
		.amdhsa_memory_ordered 1
		.amdhsa_forward_progress 0
		.amdhsa_shared_vgpr_count 0
		.amdhsa_exception_fp_ieee_invalid_op 0
		.amdhsa_exception_fp_denorm_src 0
		.amdhsa_exception_fp_ieee_div_zero 0
		.amdhsa_exception_fp_ieee_overflow 0
		.amdhsa_exception_fp_ieee_underflow 0
		.amdhsa_exception_fp_ieee_inexact 0
		.amdhsa_exception_int_div_zero 0
	.end_amdhsa_kernel
	.section	.text._ZN9rocsparseL19gebsrmvn_4xn_kernelILj128ELj1ELj16EfEEvi20rocsparse_direction_NS_24const_host_device_scalarIT2_EEPKiS6_PKS3_S8_S4_PS3_21rocsparse_index_base_b,"axG",@progbits,_ZN9rocsparseL19gebsrmvn_4xn_kernelILj128ELj1ELj16EfEEvi20rocsparse_direction_NS_24const_host_device_scalarIT2_EEPKiS6_PKS3_S8_S4_PS3_21rocsparse_index_base_b,comdat
.Lfunc_end2:
	.size	_ZN9rocsparseL19gebsrmvn_4xn_kernelILj128ELj1ELj16EfEEvi20rocsparse_direction_NS_24const_host_device_scalarIT2_EEPKiS6_PKS3_S8_S4_PS3_21rocsparse_index_base_b, .Lfunc_end2-_ZN9rocsparseL19gebsrmvn_4xn_kernelILj128ELj1ELj16EfEEvi20rocsparse_direction_NS_24const_host_device_scalarIT2_EEPKiS6_PKS3_S8_S4_PS3_21rocsparse_index_base_b
                                        ; -- End function
	.section	.AMDGPU.csdata,"",@progbits
; Kernel info:
; codeLenInByte = 1268
; NumSgprs: 22
; NumVgprs: 20
; ScratchSize: 0
; MemoryBound: 0
; FloatMode: 240
; IeeeMode: 1
; LDSByteSize: 0 bytes/workgroup (compile time only)
; SGPRBlocks: 2
; VGPRBlocks: 2
; NumSGPRsForWavesPerEU: 22
; NumVGPRsForWavesPerEU: 20
; Occupancy: 16
; WaveLimiterHint : 1
; COMPUTE_PGM_RSRC2:SCRATCH_EN: 0
; COMPUTE_PGM_RSRC2:USER_SGPR: 15
; COMPUTE_PGM_RSRC2:TRAP_HANDLER: 0
; COMPUTE_PGM_RSRC2:TGID_X_EN: 1
; COMPUTE_PGM_RSRC2:TGID_Y_EN: 0
; COMPUTE_PGM_RSRC2:TGID_Z_EN: 0
; COMPUTE_PGM_RSRC2:TIDIG_COMP_CNT: 0
	.section	.text._ZN9rocsparseL19gebsrmvn_4xn_kernelILj128ELj1ELj32EfEEvi20rocsparse_direction_NS_24const_host_device_scalarIT2_EEPKiS6_PKS3_S8_S4_PS3_21rocsparse_index_base_b,"axG",@progbits,_ZN9rocsparseL19gebsrmvn_4xn_kernelILj128ELj1ELj32EfEEvi20rocsparse_direction_NS_24const_host_device_scalarIT2_EEPKiS6_PKS3_S8_S4_PS3_21rocsparse_index_base_b,comdat
	.globl	_ZN9rocsparseL19gebsrmvn_4xn_kernelILj128ELj1ELj32EfEEvi20rocsparse_direction_NS_24const_host_device_scalarIT2_EEPKiS6_PKS3_S8_S4_PS3_21rocsparse_index_base_b ; -- Begin function _ZN9rocsparseL19gebsrmvn_4xn_kernelILj128ELj1ELj32EfEEvi20rocsparse_direction_NS_24const_host_device_scalarIT2_EEPKiS6_PKS3_S8_S4_PS3_21rocsparse_index_base_b
	.p2align	8
	.type	_ZN9rocsparseL19gebsrmvn_4xn_kernelILj128ELj1ELj32EfEEvi20rocsparse_direction_NS_24const_host_device_scalarIT2_EEPKiS6_PKS3_S8_S4_PS3_21rocsparse_index_base_b,@function
_ZN9rocsparseL19gebsrmvn_4xn_kernelILj128ELj1ELj32EfEEvi20rocsparse_direction_NS_24const_host_device_scalarIT2_EEPKiS6_PKS3_S8_S4_PS3_21rocsparse_index_base_b: ; @_ZN9rocsparseL19gebsrmvn_4xn_kernelILj128ELj1ELj32EfEEvi20rocsparse_direction_NS_24const_host_device_scalarIT2_EEPKiS6_PKS3_S8_S4_PS3_21rocsparse_index_base_b
; %bb.0:
	s_clause 0x2
	s_load_b64 s[18:19], s[0:1], 0x40
	s_load_b64 s[16:17], s[0:1], 0x8
	;; [unrolled: 1-line block ×3, first 2 shown]
	s_waitcnt lgkmcnt(0)
	s_bitcmp1_b32 s19, 0
	s_cselect_b32 s2, -1, 0
	s_delay_alu instid0(SALU_CYCLE_1)
	s_and_b32 vcc_lo, exec_lo, s2
	s_xor_b32 s2, s2, -1
	s_cbranch_vccnz .LBB3_2
; %bb.1:
	s_load_b32 s16, s[16:17], 0x0
.LBB3_2:
	s_and_not1_b32 vcc_lo, exec_lo, s2
	s_cbranch_vccnz .LBB3_4
; %bb.3:
	s_load_b32 s12, s[12:13], 0x0
.LBB3_4:
	s_waitcnt lgkmcnt(0)
	v_cmp_eq_f32_e64 s2, s16, 0
	v_cmp_eq_f32_e64 s3, s12, 1.0
	s_delay_alu instid0(VALU_DEP_1) | instskip(NEXT) | instid1(SALU_CYCLE_1)
	s_and_b32 s2, s2, s3
	s_and_b32 vcc_lo, exec_lo, s2
	s_cbranch_vccnz .LBB3_23
; %bb.5:
	s_load_b64 s[2:3], s[0:1], 0x0
	v_lshrrev_b32_e32 v1, 5, v0
	s_delay_alu instid0(VALU_DEP_1) | instskip(SKIP_1) | instid1(VALU_DEP_1)
	v_lshl_or_b32 v4, s15, 2, v1
	s_waitcnt lgkmcnt(0)
	v_cmp_gt_i32_e32 vcc_lo, s2, v4
	s_and_saveexec_b32 s2, vcc_lo
	s_cbranch_execz .LBB3_23
; %bb.6:
	s_load_b256 s[4:11], s[0:1], 0x10
	v_ashrrev_i32_e32 v5, 31, v4
	v_and_b32_e32 v7, 31, v0
	s_cmp_lg_u32 s3, 0
	s_delay_alu instid0(VALU_DEP_2) | instskip(SKIP_1) | instid1(VALU_DEP_1)
	v_lshlrev_b64 v[1:2], 2, v[4:5]
	s_waitcnt lgkmcnt(0)
	v_add_co_u32 v1, vcc_lo, s4, v1
	s_delay_alu instid0(VALU_DEP_2) | instskip(SKIP_4) | instid1(VALU_DEP_2)
	v_add_co_ci_u32_e32 v2, vcc_lo, s5, v2, vcc_lo
	global_load_b64 v[1:2], v[1:2], off
	s_waitcnt vmcnt(0)
	v_subrev_nc_u32_e32 v0, s18, v1
	v_subrev_nc_u32_e32 v12, s18, v2
	v_add_nc_u32_e32 v0, v0, v7
	s_delay_alu instid0(VALU_DEP_1)
	v_cmp_lt_i32_e64 s2, v0, v12
	s_cbranch_scc0 .LBB3_12
; %bb.7:
	v_dual_mov_b32 v8, 0 :: v_dual_mov_b32 v9, 0
	v_dual_mov_b32 v10, 0 :: v_dual_mov_b32 v11, 0
	s_mov_b32 s3, 0
	s_and_saveexec_b32 s4, s2
	s_cbranch_execz .LBB3_11
; %bb.8:
	v_dual_mov_b32 v2, 0 :: v_dual_lshlrev_b32 v1, 2, v0
	v_mov_b32_e32 v5, v0
	s_mov_b32 s5, 0
	s_delay_alu instid0(VALU_DEP_2)
	v_mov_b32_e32 v8, v2
	v_mov_b32_e32 v9, v2
	;; [unrolled: 1-line block ×4, first 2 shown]
	s_set_inst_prefetch_distance 0x1
	.p2align	6
.LBB3_9:                                ; =>This Inner Loop Header: Depth=1
	v_ashrrev_i32_e32 v6, 31, v5
	v_mov_b32_e32 v15, v2
	s_delay_alu instid0(VALU_DEP_2) | instskip(NEXT) | instid1(VALU_DEP_1)
	v_lshlrev_b64 v[13:14], 2, v[5:6]
	v_add_co_u32 v13, vcc_lo, s6, v13
	s_delay_alu instid0(VALU_DEP_2) | instskip(SKIP_3) | instid1(VALU_DEP_2)
	v_add_co_ci_u32_e32 v14, vcc_lo, s7, v14, vcc_lo
	global_load_b32 v3, v[13:14], off
	v_lshlrev_b64 v[13:14], 2, v[1:2]
	v_add_nc_u32_e32 v1, 0x80, v1
	v_add_co_u32 v16, vcc_lo, s8, v13
	s_delay_alu instid0(VALU_DEP_3) | instskip(SKIP_2) | instid1(VALU_DEP_1)
	v_add_co_ci_u32_e32 v17, vcc_lo, s9, v14, vcc_lo
	s_waitcnt vmcnt(0)
	v_subrev_nc_u32_e32 v14, s18, v3
	v_lshlrev_b64 v[13:14], 2, v[14:15]
	s_delay_alu instid0(VALU_DEP_1) | instskip(NEXT) | instid1(VALU_DEP_2)
	v_add_co_u32 v18, vcc_lo, s10, v13
	v_add_co_ci_u32_e32 v19, vcc_lo, s11, v14, vcc_lo
	global_load_b128 v[13:16], v[16:17], off
	global_load_b32 v3, v[18:19], off
	s_waitcnt vmcnt(0)
	v_dual_fmac_f32 v10, v15, v3 :: v_dual_add_nc_u32 v5, 32, v5
	s_delay_alu instid0(VALU_DEP_1) | instskip(SKIP_4) | instid1(SALU_CYCLE_1)
	v_cmp_ge_i32_e32 vcc_lo, v5, v12
	v_fmac_f32_e32 v8, v13, v3
	v_fmac_f32_e32 v11, v14, v3
	;; [unrolled: 1-line block ×3, first 2 shown]
	s_or_b32 s5, vcc_lo, s5
	s_and_not1_b32 exec_lo, exec_lo, s5
	s_cbranch_execnz .LBB3_9
; %bb.10:
	s_set_inst_prefetch_distance 0x2
	s_or_b32 exec_lo, exec_lo, s5
.LBB3_11:
	s_delay_alu instid0(SALU_CYCLE_1) | instskip(NEXT) | instid1(SALU_CYCLE_1)
	s_or_b32 exec_lo, exec_lo, s4
	s_and_not1_b32 vcc_lo, exec_lo, s3
	s_cbranch_vccz .LBB3_13
	s_branch .LBB3_18
.LBB3_12:
                                        ; implicit-def: $vgpr8
                                        ; implicit-def: $vgpr9
                                        ; implicit-def: $vgpr10
                                        ; implicit-def: $vgpr11
.LBB3_13:
	v_dual_mov_b32 v8, 0 :: v_dual_mov_b32 v9, 0
	v_dual_mov_b32 v10, 0 :: v_dual_mov_b32 v11, 0
	s_delay_alu instid0(VALU_DEP_3)
	s_and_saveexec_b32 s3, s2
	s_cbranch_execz .LBB3_17
; %bb.14:
	v_dual_mov_b32 v3, 0 :: v_dual_lshlrev_b32 v2, 2, v0
	s_mov_b32 s2, 0
	s_delay_alu instid0(VALU_DEP_1)
	v_mov_b32_e32 v8, v3
	v_mov_b32_e32 v9, v3
	;; [unrolled: 1-line block ×4, first 2 shown]
	s_set_inst_prefetch_distance 0x1
	.p2align	6
.LBB3_15:                               ; =>This Inner Loop Header: Depth=1
	v_ashrrev_i32_e32 v1, 31, v0
	v_mov_b32_e32 v14, v3
	s_delay_alu instid0(VALU_DEP_2) | instskip(NEXT) | instid1(VALU_DEP_1)
	v_lshlrev_b64 v[5:6], 2, v[0:1]
	v_add_co_u32 v5, vcc_lo, s6, v5
	s_delay_alu instid0(VALU_DEP_2) | instskip(SKIP_3) | instid1(VALU_DEP_2)
	v_add_co_ci_u32_e32 v6, vcc_lo, s7, v6, vcc_lo
	global_load_b32 v1, v[5:6], off
	v_lshlrev_b64 v[5:6], 2, v[2:3]
	v_add_nc_u32_e32 v2, 0x80, v2
	v_add_co_u32 v5, vcc_lo, s8, v5
	s_delay_alu instid0(VALU_DEP_3) | instskip(SKIP_2) | instid1(VALU_DEP_1)
	v_add_co_ci_u32_e32 v6, vcc_lo, s9, v6, vcc_lo
	s_waitcnt vmcnt(0)
	v_subrev_nc_u32_e32 v13, s18, v1
	v_lshlrev_b64 v[13:14], 2, v[13:14]
	s_delay_alu instid0(VALU_DEP_1) | instskip(NEXT) | instid1(VALU_DEP_2)
	v_add_co_u32 v17, vcc_lo, s10, v13
	v_add_co_ci_u32_e32 v18, vcc_lo, s11, v14, vcc_lo
	global_load_b128 v[13:16], v[5:6], off
	global_load_b32 v1, v[17:18], off
	s_waitcnt vmcnt(0)
	v_dual_fmac_f32 v11, v14, v1 :: v_dual_add_nc_u32 v0, 32, v0
	s_delay_alu instid0(VALU_DEP_1) | instskip(SKIP_4) | instid1(SALU_CYCLE_1)
	v_cmp_ge_i32_e32 vcc_lo, v0, v12
	v_fmac_f32_e32 v8, v13, v1
	v_fmac_f32_e32 v10, v15, v1
	;; [unrolled: 1-line block ×3, first 2 shown]
	s_or_b32 s2, vcc_lo, s2
	s_and_not1_b32 exec_lo, exec_lo, s2
	s_cbranch_execnz .LBB3_15
; %bb.16:
	s_set_inst_prefetch_distance 0x2
	s_or_b32 exec_lo, exec_lo, s2
.LBB3_17:
	s_delay_alu instid0(SALU_CYCLE_1)
	s_or_b32 exec_lo, exec_lo, s3
.LBB3_18:
	v_mbcnt_lo_u32_b32 v0, -1, 0
	s_mov_b32 s2, -1
	s_delay_alu instid0(VALU_DEP_1) | instskip(SKIP_1) | instid1(VALU_DEP_2)
	v_xor_b32_e32 v1, 16, v0
	v_xor_b32_e32 v6, 8, v0
	v_cmp_gt_i32_e32 vcc_lo, 32, v1
	v_cndmask_b32_e32 v1, v0, v1, vcc_lo
	s_delay_alu instid0(VALU_DEP_3) | instskip(SKIP_1) | instid1(VALU_DEP_1)
	v_cmp_gt_i32_e32 vcc_lo, 32, v6
	v_cndmask_b32_e32 v6, v0, v6, vcc_lo
	v_lshlrev_b32_e32 v6, 2, v6
	s_delay_alu instid0(VALU_DEP_4)
	v_lshlrev_b32_e32 v1, 2, v1
	ds_bpermute_b32 v2, v1, v8
	s_waitcnt lgkmcnt(0)
	v_add_f32_e32 v2, v8, v2
	ds_bpermute_b32 v5, v1, v10
	ds_bpermute_b32 v3, v1, v11
	;; [unrolled: 1-line block ×4, first 2 shown]
	s_waitcnt lgkmcnt(3)
	v_add_f32_e32 v5, v10, v5
	s_waitcnt lgkmcnt(2)
	v_add_f32_e32 v3, v11, v3
	;; [unrolled: 2-line block ×3, first 2 shown]
	v_xor_b32_e32 v11, 4, v0
	s_waitcnt lgkmcnt(0)
	v_add_f32_e32 v2, v2, v8
	ds_bpermute_b32 v10, v6, v5
	ds_bpermute_b32 v9, v6, v3
	;; [unrolled: 1-line block ×3, first 2 shown]
	v_cmp_gt_i32_e32 vcc_lo, 32, v11
	v_cndmask_b32_e32 v11, v0, v11, vcc_lo
	s_delay_alu instid0(VALU_DEP_1)
	v_lshlrev_b32_e32 v11, 2, v11
	s_waitcnt lgkmcnt(2)
	v_add_f32_e32 v5, v5, v10
	s_waitcnt lgkmcnt(1)
	v_add_f32_e32 v3, v3, v9
	;; [unrolled: 2-line block ×3, first 2 shown]
	ds_bpermute_b32 v6, v11, v2
	ds_bpermute_b32 v9, v11, v5
	;; [unrolled: 1-line block ×4, first 2 shown]
	v_xor_b32_e32 v11, 2, v0
	s_delay_alu instid0(VALU_DEP_1)
	v_cmp_gt_i32_e32 vcc_lo, 32, v11
	s_waitcnt lgkmcnt(2)
	v_dual_add_f32 v2, v2, v6 :: v_dual_add_f32 v5, v5, v9
	v_cndmask_b32_e32 v11, v0, v11, vcc_lo
	s_waitcnt lgkmcnt(0)
	v_dual_add_f32 v3, v3, v8 :: v_dual_add_f32 v6, v1, v10
	s_delay_alu instid0(VALU_DEP_2)
	v_lshlrev_b32_e32 v11, 2, v11
	ds_bpermute_b32 v1, v11, v2
	ds_bpermute_b32 v8, v11, v3
	;; [unrolled: 1-line block ×4, first 2 shown]
	v_xor_b32_e32 v11, 1, v0
	s_delay_alu instid0(VALU_DEP_1) | instskip(SKIP_3) | instid1(VALU_DEP_2)
	v_cmp_gt_i32_e32 vcc_lo, 32, v11
	v_cndmask_b32_e32 v0, v0, v11, vcc_lo
	v_cmp_eq_u32_e32 vcc_lo, 31, v7
	s_waitcnt lgkmcnt(3)
	v_dual_add_f32 v0, v2, v1 :: v_dual_lshlrev_b32 v11, 2, v0
	s_waitcnt lgkmcnt(1)
	v_dual_add_f32 v1, v3, v8 :: v_dual_add_f32 v2, v5, v9
	s_waitcnt lgkmcnt(0)
	v_add_f32_e32 v3, v6, v10
	ds_bpermute_b32 v5, v11, v0
	ds_bpermute_b32 v6, v11, v1
	;; [unrolled: 1-line block ×4, first 2 shown]
	s_and_b32 exec_lo, exec_lo, vcc_lo
	s_cbranch_execz .LBB3_23
; %bb.19:
	s_load_b64 s[0:1], s[0:1], 0x38
	s_waitcnt lgkmcnt(0)
	v_dual_add_f32 v0, v0, v5 :: v_dual_add_f32 v1, v1, v6
	v_dual_add_f32 v2, v2, v8 :: v_dual_add_f32 v3, v3, v9
	v_cmp_eq_f32_e64 s3, s12, 0
	s_delay_alu instid0(VALU_DEP_3) | instskip(NEXT) | instid1(VALU_DEP_3)
	v_dual_mul_f32 v0, s16, v0 :: v_dual_mul_f32 v1, s16, v1
	v_dual_mul_f32 v2, s16, v2 :: v_dual_mul_f32 v3, s16, v3
	v_lshlrev_b32_e32 v4, 2, v4
	s_delay_alu instid0(VALU_DEP_4)
	s_and_b32 vcc_lo, exec_lo, s3
	s_cbranch_vccz .LBB3_21
; %bb.20:
	s_delay_alu instid0(VALU_DEP_1) | instskip(SKIP_1) | instid1(VALU_DEP_1)
	v_ashrrev_i32_e32 v5, 31, v4
	s_mov_b32 s2, 0
	v_lshlrev_b64 v[5:6], 2, v[4:5]
	s_delay_alu instid0(VALU_DEP_1) | instskip(NEXT) | instid1(VALU_DEP_2)
	v_add_co_u32 v5, vcc_lo, s0, v5
	v_add_co_ci_u32_e32 v6, vcc_lo, s1, v6, vcc_lo
	global_store_b128 v[5:6], v[0:3], off
.LBB3_21:
	s_and_not1_b32 vcc_lo, exec_lo, s2
	s_cbranch_vccnz .LBB3_23
; %bb.22:
	v_ashrrev_i32_e32 v5, 31, v4
	s_delay_alu instid0(VALU_DEP_1) | instskip(NEXT) | instid1(VALU_DEP_1)
	v_lshlrev_b64 v[4:5], 2, v[4:5]
	v_add_co_u32 v8, vcc_lo, s0, v4
	s_delay_alu instid0(VALU_DEP_2)
	v_add_co_ci_u32_e32 v9, vcc_lo, s1, v5, vcc_lo
	global_load_b128 v[4:7], v[8:9], off
	s_waitcnt vmcnt(0)
	v_dual_fmac_f32 v0, s12, v4 :: v_dual_fmac_f32 v1, s12, v5
	v_dual_fmac_f32 v2, s12, v6 :: v_dual_fmac_f32 v3, s12, v7
	global_store_b128 v[8:9], v[0:3], off
.LBB3_23:
	s_nop 0
	s_sendmsg sendmsg(MSG_DEALLOC_VGPRS)
	s_endpgm
	.section	.rodata,"a",@progbits
	.p2align	6, 0x0
	.amdhsa_kernel _ZN9rocsparseL19gebsrmvn_4xn_kernelILj128ELj1ELj32EfEEvi20rocsparse_direction_NS_24const_host_device_scalarIT2_EEPKiS6_PKS3_S8_S4_PS3_21rocsparse_index_base_b
		.amdhsa_group_segment_fixed_size 0
		.amdhsa_private_segment_fixed_size 0
		.amdhsa_kernarg_size 72
		.amdhsa_user_sgpr_count 15
		.amdhsa_user_sgpr_dispatch_ptr 0
		.amdhsa_user_sgpr_queue_ptr 0
		.amdhsa_user_sgpr_kernarg_segment_ptr 1
		.amdhsa_user_sgpr_dispatch_id 0
		.amdhsa_user_sgpr_private_segment_size 0
		.amdhsa_wavefront_size32 1
		.amdhsa_uses_dynamic_stack 0
		.amdhsa_enable_private_segment 0
		.amdhsa_system_sgpr_workgroup_id_x 1
		.amdhsa_system_sgpr_workgroup_id_y 0
		.amdhsa_system_sgpr_workgroup_id_z 0
		.amdhsa_system_sgpr_workgroup_info 0
		.amdhsa_system_vgpr_workitem_id 0
		.amdhsa_next_free_vgpr 20
		.amdhsa_next_free_sgpr 20
		.amdhsa_reserve_vcc 1
		.amdhsa_float_round_mode_32 0
		.amdhsa_float_round_mode_16_64 0
		.amdhsa_float_denorm_mode_32 3
		.amdhsa_float_denorm_mode_16_64 3
		.amdhsa_dx10_clamp 1
		.amdhsa_ieee_mode 1
		.amdhsa_fp16_overflow 0
		.amdhsa_workgroup_processor_mode 1
		.amdhsa_memory_ordered 1
		.amdhsa_forward_progress 0
		.amdhsa_shared_vgpr_count 0
		.amdhsa_exception_fp_ieee_invalid_op 0
		.amdhsa_exception_fp_denorm_src 0
		.amdhsa_exception_fp_ieee_div_zero 0
		.amdhsa_exception_fp_ieee_overflow 0
		.amdhsa_exception_fp_ieee_underflow 0
		.amdhsa_exception_fp_ieee_inexact 0
		.amdhsa_exception_int_div_zero 0
	.end_amdhsa_kernel
	.section	.text._ZN9rocsparseL19gebsrmvn_4xn_kernelILj128ELj1ELj32EfEEvi20rocsparse_direction_NS_24const_host_device_scalarIT2_EEPKiS6_PKS3_S8_S4_PS3_21rocsparse_index_base_b,"axG",@progbits,_ZN9rocsparseL19gebsrmvn_4xn_kernelILj128ELj1ELj32EfEEvi20rocsparse_direction_NS_24const_host_device_scalarIT2_EEPKiS6_PKS3_S8_S4_PS3_21rocsparse_index_base_b,comdat
.Lfunc_end3:
	.size	_ZN9rocsparseL19gebsrmvn_4xn_kernelILj128ELj1ELj32EfEEvi20rocsparse_direction_NS_24const_host_device_scalarIT2_EEPKiS6_PKS3_S8_S4_PS3_21rocsparse_index_base_b, .Lfunc_end3-_ZN9rocsparseL19gebsrmvn_4xn_kernelILj128ELj1ELj32EfEEvi20rocsparse_direction_NS_24const_host_device_scalarIT2_EEPKiS6_PKS3_S8_S4_PS3_21rocsparse_index_base_b
                                        ; -- End function
	.section	.AMDGPU.csdata,"",@progbits
; Kernel info:
; codeLenInByte = 1372
; NumSgprs: 22
; NumVgprs: 20
; ScratchSize: 0
; MemoryBound: 0
; FloatMode: 240
; IeeeMode: 1
; LDSByteSize: 0 bytes/workgroup (compile time only)
; SGPRBlocks: 2
; VGPRBlocks: 2
; NumSGPRsForWavesPerEU: 22
; NumVGPRsForWavesPerEU: 20
; Occupancy: 16
; WaveLimiterHint : 1
; COMPUTE_PGM_RSRC2:SCRATCH_EN: 0
; COMPUTE_PGM_RSRC2:USER_SGPR: 15
; COMPUTE_PGM_RSRC2:TRAP_HANDLER: 0
; COMPUTE_PGM_RSRC2:TGID_X_EN: 1
; COMPUTE_PGM_RSRC2:TGID_Y_EN: 0
; COMPUTE_PGM_RSRC2:TGID_Z_EN: 0
; COMPUTE_PGM_RSRC2:TIDIG_COMP_CNT: 0
	.section	.text._ZN9rocsparseL19gebsrmvn_4xn_kernelILj128ELj1ELj64EfEEvi20rocsparse_direction_NS_24const_host_device_scalarIT2_EEPKiS6_PKS3_S8_S4_PS3_21rocsparse_index_base_b,"axG",@progbits,_ZN9rocsparseL19gebsrmvn_4xn_kernelILj128ELj1ELj64EfEEvi20rocsparse_direction_NS_24const_host_device_scalarIT2_EEPKiS6_PKS3_S8_S4_PS3_21rocsparse_index_base_b,comdat
	.globl	_ZN9rocsparseL19gebsrmvn_4xn_kernelILj128ELj1ELj64EfEEvi20rocsparse_direction_NS_24const_host_device_scalarIT2_EEPKiS6_PKS3_S8_S4_PS3_21rocsparse_index_base_b ; -- Begin function _ZN9rocsparseL19gebsrmvn_4xn_kernelILj128ELj1ELj64EfEEvi20rocsparse_direction_NS_24const_host_device_scalarIT2_EEPKiS6_PKS3_S8_S4_PS3_21rocsparse_index_base_b
	.p2align	8
	.type	_ZN9rocsparseL19gebsrmvn_4xn_kernelILj128ELj1ELj64EfEEvi20rocsparse_direction_NS_24const_host_device_scalarIT2_EEPKiS6_PKS3_S8_S4_PS3_21rocsparse_index_base_b,@function
_ZN9rocsparseL19gebsrmvn_4xn_kernelILj128ELj1ELj64EfEEvi20rocsparse_direction_NS_24const_host_device_scalarIT2_EEPKiS6_PKS3_S8_S4_PS3_21rocsparse_index_base_b: ; @_ZN9rocsparseL19gebsrmvn_4xn_kernelILj128ELj1ELj64EfEEvi20rocsparse_direction_NS_24const_host_device_scalarIT2_EEPKiS6_PKS3_S8_S4_PS3_21rocsparse_index_base_b
; %bb.0:
	s_clause 0x2
	s_load_b64 s[18:19], s[0:1], 0x40
	s_load_b64 s[16:17], s[0:1], 0x8
	;; [unrolled: 1-line block ×3, first 2 shown]
	s_waitcnt lgkmcnt(0)
	s_bitcmp1_b32 s19, 0
	s_cselect_b32 s2, -1, 0
	s_delay_alu instid0(SALU_CYCLE_1)
	s_and_b32 vcc_lo, exec_lo, s2
	s_xor_b32 s2, s2, -1
	s_cbranch_vccnz .LBB4_2
; %bb.1:
	s_load_b32 s16, s[16:17], 0x0
.LBB4_2:
	s_and_not1_b32 vcc_lo, exec_lo, s2
	s_cbranch_vccnz .LBB4_4
; %bb.3:
	s_load_b32 s12, s[12:13], 0x0
.LBB4_4:
	s_waitcnt lgkmcnt(0)
	v_cmp_eq_f32_e64 s2, s16, 0
	v_cmp_eq_f32_e64 s3, s12, 1.0
	s_delay_alu instid0(VALU_DEP_1) | instskip(NEXT) | instid1(SALU_CYCLE_1)
	s_and_b32 s2, s2, s3
	s_and_b32 vcc_lo, exec_lo, s2
	s_cbranch_vccnz .LBB4_23
; %bb.5:
	s_load_b64 s[2:3], s[0:1], 0x0
	v_lshrrev_b32_e32 v1, 6, v0
	s_delay_alu instid0(VALU_DEP_1) | instskip(SKIP_1) | instid1(VALU_DEP_1)
	v_lshl_or_b32 v4, s15, 1, v1
	s_waitcnt lgkmcnt(0)
	v_cmp_gt_i32_e32 vcc_lo, s2, v4
	s_and_saveexec_b32 s2, vcc_lo
	s_cbranch_execz .LBB4_23
; %bb.6:
	s_load_b256 s[4:11], s[0:1], 0x10
	v_ashrrev_i32_e32 v5, 31, v4
	v_and_b32_e32 v7, 63, v0
	s_cmp_lg_u32 s3, 0
	s_delay_alu instid0(VALU_DEP_2) | instskip(SKIP_1) | instid1(VALU_DEP_1)
	v_lshlrev_b64 v[1:2], 2, v[4:5]
	s_waitcnt lgkmcnt(0)
	v_add_co_u32 v1, vcc_lo, s4, v1
	s_delay_alu instid0(VALU_DEP_2) | instskip(SKIP_4) | instid1(VALU_DEP_2)
	v_add_co_ci_u32_e32 v2, vcc_lo, s5, v2, vcc_lo
	global_load_b64 v[1:2], v[1:2], off
	s_waitcnt vmcnt(0)
	v_subrev_nc_u32_e32 v0, s18, v1
	v_subrev_nc_u32_e32 v12, s18, v2
	v_add_nc_u32_e32 v0, v0, v7
	s_delay_alu instid0(VALU_DEP_1)
	v_cmp_lt_i32_e64 s2, v0, v12
	s_cbranch_scc0 .LBB4_12
; %bb.7:
	v_dual_mov_b32 v8, 0 :: v_dual_mov_b32 v9, 0
	v_dual_mov_b32 v10, 0 :: v_dual_mov_b32 v11, 0
	s_mov_b32 s3, 0
	s_and_saveexec_b32 s4, s2
	s_cbranch_execz .LBB4_11
; %bb.8:
	v_dual_mov_b32 v2, 0 :: v_dual_lshlrev_b32 v1, 2, v0
	v_mov_b32_e32 v5, v0
	s_mov_b32 s5, 0
	s_delay_alu instid0(VALU_DEP_2)
	v_mov_b32_e32 v8, v2
	v_mov_b32_e32 v9, v2
	v_mov_b32_e32 v10, v2
	v_mov_b32_e32 v11, v2
	s_set_inst_prefetch_distance 0x1
	.p2align	6
.LBB4_9:                                ; =>This Inner Loop Header: Depth=1
	v_ashrrev_i32_e32 v6, 31, v5
	v_mov_b32_e32 v15, v2
	s_delay_alu instid0(VALU_DEP_2) | instskip(NEXT) | instid1(VALU_DEP_1)
	v_lshlrev_b64 v[13:14], 2, v[5:6]
	v_add_co_u32 v13, vcc_lo, s6, v13
	s_delay_alu instid0(VALU_DEP_2) | instskip(SKIP_3) | instid1(VALU_DEP_2)
	v_add_co_ci_u32_e32 v14, vcc_lo, s7, v14, vcc_lo
	global_load_b32 v3, v[13:14], off
	v_lshlrev_b64 v[13:14], 2, v[1:2]
	v_add_nc_u32_e32 v1, 0x100, v1
	v_add_co_u32 v16, vcc_lo, s8, v13
	s_delay_alu instid0(VALU_DEP_3) | instskip(SKIP_2) | instid1(VALU_DEP_1)
	v_add_co_ci_u32_e32 v17, vcc_lo, s9, v14, vcc_lo
	s_waitcnt vmcnt(0)
	v_subrev_nc_u32_e32 v14, s18, v3
	v_lshlrev_b64 v[13:14], 2, v[14:15]
	s_delay_alu instid0(VALU_DEP_1) | instskip(NEXT) | instid1(VALU_DEP_2)
	v_add_co_u32 v18, vcc_lo, s10, v13
	v_add_co_ci_u32_e32 v19, vcc_lo, s11, v14, vcc_lo
	global_load_b128 v[13:16], v[16:17], off
	global_load_b32 v3, v[18:19], off
	s_waitcnt vmcnt(0)
	v_dual_fmac_f32 v10, v15, v3 :: v_dual_add_nc_u32 v5, 64, v5
	s_delay_alu instid0(VALU_DEP_1) | instskip(SKIP_4) | instid1(SALU_CYCLE_1)
	v_cmp_ge_i32_e32 vcc_lo, v5, v12
	v_fmac_f32_e32 v8, v13, v3
	v_fmac_f32_e32 v11, v14, v3
	;; [unrolled: 1-line block ×3, first 2 shown]
	s_or_b32 s5, vcc_lo, s5
	s_and_not1_b32 exec_lo, exec_lo, s5
	s_cbranch_execnz .LBB4_9
; %bb.10:
	s_set_inst_prefetch_distance 0x2
	s_or_b32 exec_lo, exec_lo, s5
.LBB4_11:
	s_delay_alu instid0(SALU_CYCLE_1) | instskip(NEXT) | instid1(SALU_CYCLE_1)
	s_or_b32 exec_lo, exec_lo, s4
	s_and_not1_b32 vcc_lo, exec_lo, s3
	s_cbranch_vccz .LBB4_13
	s_branch .LBB4_18
.LBB4_12:
                                        ; implicit-def: $vgpr8
                                        ; implicit-def: $vgpr9
                                        ; implicit-def: $vgpr10
                                        ; implicit-def: $vgpr11
.LBB4_13:
	v_dual_mov_b32 v8, 0 :: v_dual_mov_b32 v9, 0
	v_dual_mov_b32 v10, 0 :: v_dual_mov_b32 v11, 0
	s_delay_alu instid0(VALU_DEP_3)
	s_and_saveexec_b32 s3, s2
	s_cbranch_execz .LBB4_17
; %bb.14:
	v_dual_mov_b32 v3, 0 :: v_dual_lshlrev_b32 v2, 2, v0
	s_mov_b32 s2, 0
	s_delay_alu instid0(VALU_DEP_1)
	v_mov_b32_e32 v8, v3
	v_mov_b32_e32 v9, v3
	;; [unrolled: 1-line block ×4, first 2 shown]
	s_set_inst_prefetch_distance 0x1
	.p2align	6
.LBB4_15:                               ; =>This Inner Loop Header: Depth=1
	v_ashrrev_i32_e32 v1, 31, v0
	v_mov_b32_e32 v14, v3
	s_delay_alu instid0(VALU_DEP_2) | instskip(NEXT) | instid1(VALU_DEP_1)
	v_lshlrev_b64 v[5:6], 2, v[0:1]
	v_add_co_u32 v5, vcc_lo, s6, v5
	s_delay_alu instid0(VALU_DEP_2) | instskip(SKIP_3) | instid1(VALU_DEP_2)
	v_add_co_ci_u32_e32 v6, vcc_lo, s7, v6, vcc_lo
	global_load_b32 v1, v[5:6], off
	v_lshlrev_b64 v[5:6], 2, v[2:3]
	v_add_nc_u32_e32 v2, 0x100, v2
	v_add_co_u32 v5, vcc_lo, s8, v5
	s_delay_alu instid0(VALU_DEP_3) | instskip(SKIP_2) | instid1(VALU_DEP_1)
	v_add_co_ci_u32_e32 v6, vcc_lo, s9, v6, vcc_lo
	s_waitcnt vmcnt(0)
	v_subrev_nc_u32_e32 v13, s18, v1
	v_lshlrev_b64 v[13:14], 2, v[13:14]
	s_delay_alu instid0(VALU_DEP_1) | instskip(NEXT) | instid1(VALU_DEP_2)
	v_add_co_u32 v17, vcc_lo, s10, v13
	v_add_co_ci_u32_e32 v18, vcc_lo, s11, v14, vcc_lo
	global_load_b128 v[13:16], v[5:6], off
	global_load_b32 v1, v[17:18], off
	s_waitcnt vmcnt(0)
	v_dual_fmac_f32 v11, v14, v1 :: v_dual_add_nc_u32 v0, 64, v0
	s_delay_alu instid0(VALU_DEP_1) | instskip(SKIP_4) | instid1(SALU_CYCLE_1)
	v_cmp_ge_i32_e32 vcc_lo, v0, v12
	v_fmac_f32_e32 v8, v13, v1
	v_fmac_f32_e32 v10, v15, v1
	;; [unrolled: 1-line block ×3, first 2 shown]
	s_or_b32 s2, vcc_lo, s2
	s_and_not1_b32 exec_lo, exec_lo, s2
	s_cbranch_execnz .LBB4_15
; %bb.16:
	s_set_inst_prefetch_distance 0x2
	s_or_b32 exec_lo, exec_lo, s2
.LBB4_17:
	s_delay_alu instid0(SALU_CYCLE_1)
	s_or_b32 exec_lo, exec_lo, s3
.LBB4_18:
	v_mbcnt_lo_u32_b32 v0, -1, 0
	s_mov_b32 s2, -1
	s_delay_alu instid0(VALU_DEP_1) | instskip(SKIP_1) | instid1(VALU_DEP_2)
	v_or_b32_e32 v1, 32, v0
	v_xor_b32_e32 v6, 16, v0
	v_cmp_gt_i32_e32 vcc_lo, 32, v1
	v_cndmask_b32_e32 v1, v0, v1, vcc_lo
	s_delay_alu instid0(VALU_DEP_3) | instskip(SKIP_1) | instid1(VALU_DEP_1)
	v_cmp_gt_i32_e32 vcc_lo, 32, v6
	v_cndmask_b32_e32 v6, v0, v6, vcc_lo
	v_lshlrev_b32_e32 v6, 2, v6
	s_delay_alu instid0(VALU_DEP_4)
	v_lshlrev_b32_e32 v1, 2, v1
	ds_bpermute_b32 v2, v1, v8
	s_waitcnt lgkmcnt(0)
	v_add_f32_e32 v2, v8, v2
	ds_bpermute_b32 v3, v1, v11
	ds_bpermute_b32 v5, v1, v10
	;; [unrolled: 1-line block ×4, first 2 shown]
	s_waitcnt lgkmcnt(3)
	v_add_f32_e32 v3, v11, v3
	s_waitcnt lgkmcnt(2)
	v_add_f32_e32 v5, v10, v5
	;; [unrolled: 2-line block ×3, first 2 shown]
	v_xor_b32_e32 v11, 8, v0
	s_waitcnt lgkmcnt(0)
	v_add_f32_e32 v2, v2, v8
	ds_bpermute_b32 v9, v6, v3
	ds_bpermute_b32 v10, v6, v5
	;; [unrolled: 1-line block ×3, first 2 shown]
	v_cmp_gt_i32_e32 vcc_lo, 32, v11
	v_cndmask_b32_e32 v11, v0, v11, vcc_lo
	s_delay_alu instid0(VALU_DEP_1)
	v_lshlrev_b32_e32 v11, 2, v11
	s_waitcnt lgkmcnt(2)
	v_add_f32_e32 v3, v3, v9
	s_waitcnt lgkmcnt(1)
	v_add_f32_e32 v5, v5, v10
	;; [unrolled: 2-line block ×3, first 2 shown]
	ds_bpermute_b32 v6, v11, v2
	ds_bpermute_b32 v8, v11, v3
	;; [unrolled: 1-line block ×4, first 2 shown]
	v_xor_b32_e32 v11, 4, v0
	s_delay_alu instid0(VALU_DEP_1) | instskip(SKIP_2) | instid1(VALU_DEP_1)
	v_cmp_gt_i32_e32 vcc_lo, 32, v11
	v_cndmask_b32_e32 v11, v0, v11, vcc_lo
	s_waitcnt lgkmcnt(3)
	v_dual_add_f32 v2, v2, v6 :: v_dual_lshlrev_b32 v11, 2, v11
	s_waitcnt lgkmcnt(2)
	v_add_f32_e32 v3, v3, v8
	s_waitcnt lgkmcnt(1)
	v_add_f32_e32 v5, v5, v9
	;; [unrolled: 2-line block ×3, first 2 shown]
	ds_bpermute_b32 v6, v11, v2
	ds_bpermute_b32 v8, v11, v3
	;; [unrolled: 1-line block ×4, first 2 shown]
	v_xor_b32_e32 v11, 2, v0
	s_delay_alu instid0(VALU_DEP_1) | instskip(SKIP_2) | instid1(VALU_DEP_1)
	v_cmp_gt_i32_e32 vcc_lo, 32, v11
	v_cndmask_b32_e32 v11, v0, v11, vcc_lo
	s_waitcnt lgkmcnt(3)
	v_dual_add_f32 v2, v2, v6 :: v_dual_lshlrev_b32 v11, 2, v11
	s_waitcnt lgkmcnt(2)
	v_add_f32_e32 v3, v3, v8
	s_waitcnt lgkmcnt(1)
	v_add_f32_e32 v5, v5, v9
	;; [unrolled: 2-line block ×3, first 2 shown]
	ds_bpermute_b32 v1, v11, v2
	ds_bpermute_b32 v8, v11, v3
	;; [unrolled: 1-line block ×4, first 2 shown]
	v_xor_b32_e32 v11, 1, v0
	s_delay_alu instid0(VALU_DEP_1) | instskip(SKIP_3) | instid1(VALU_DEP_2)
	v_cmp_gt_i32_e32 vcc_lo, 32, v11
	v_cndmask_b32_e32 v0, v0, v11, vcc_lo
	v_cmp_eq_u32_e32 vcc_lo, 63, v7
	s_waitcnt lgkmcnt(3)
	v_dual_add_f32 v0, v2, v1 :: v_dual_lshlrev_b32 v11, 2, v0
	s_waitcnt lgkmcnt(1)
	v_dual_add_f32 v1, v3, v8 :: v_dual_add_f32 v2, v5, v9
	s_waitcnt lgkmcnt(0)
	v_add_f32_e32 v3, v6, v10
	ds_bpermute_b32 v5, v11, v0
	ds_bpermute_b32 v6, v11, v1
	;; [unrolled: 1-line block ×4, first 2 shown]
	s_and_b32 exec_lo, exec_lo, vcc_lo
	s_cbranch_execz .LBB4_23
; %bb.19:
	s_load_b64 s[0:1], s[0:1], 0x38
	s_waitcnt lgkmcnt(0)
	v_dual_add_f32 v0, v0, v5 :: v_dual_add_f32 v1, v1, v6
	v_dual_add_f32 v2, v2, v8 :: v_dual_add_f32 v3, v3, v9
	v_cmp_eq_f32_e64 s3, s12, 0
	s_delay_alu instid0(VALU_DEP_3) | instskip(NEXT) | instid1(VALU_DEP_3)
	v_dual_mul_f32 v0, s16, v0 :: v_dual_mul_f32 v1, s16, v1
	v_dual_mul_f32 v2, s16, v2 :: v_dual_mul_f32 v3, s16, v3
	v_lshlrev_b32_e32 v4, 2, v4
	s_delay_alu instid0(VALU_DEP_4)
	s_and_b32 vcc_lo, exec_lo, s3
	s_cbranch_vccz .LBB4_21
; %bb.20:
	s_delay_alu instid0(VALU_DEP_1) | instskip(SKIP_1) | instid1(VALU_DEP_1)
	v_ashrrev_i32_e32 v5, 31, v4
	s_mov_b32 s2, 0
	v_lshlrev_b64 v[5:6], 2, v[4:5]
	s_delay_alu instid0(VALU_DEP_1) | instskip(NEXT) | instid1(VALU_DEP_2)
	v_add_co_u32 v5, vcc_lo, s0, v5
	v_add_co_ci_u32_e32 v6, vcc_lo, s1, v6, vcc_lo
	global_store_b128 v[5:6], v[0:3], off
.LBB4_21:
	s_and_not1_b32 vcc_lo, exec_lo, s2
	s_cbranch_vccnz .LBB4_23
; %bb.22:
	v_ashrrev_i32_e32 v5, 31, v4
	s_delay_alu instid0(VALU_DEP_1) | instskip(NEXT) | instid1(VALU_DEP_1)
	v_lshlrev_b64 v[4:5], 2, v[4:5]
	v_add_co_u32 v8, vcc_lo, s0, v4
	s_delay_alu instid0(VALU_DEP_2)
	v_add_co_ci_u32_e32 v9, vcc_lo, s1, v5, vcc_lo
	global_load_b128 v[4:7], v[8:9], off
	s_waitcnt vmcnt(0)
	v_dual_fmac_f32 v0, s12, v4 :: v_dual_fmac_f32 v1, s12, v5
	v_dual_fmac_f32 v2, s12, v6 :: v_dual_fmac_f32 v3, s12, v7
	global_store_b128 v[8:9], v[0:3], off
.LBB4_23:
	s_nop 0
	s_sendmsg sendmsg(MSG_DEALLOC_VGPRS)
	s_endpgm
	.section	.rodata,"a",@progbits
	.p2align	6, 0x0
	.amdhsa_kernel _ZN9rocsparseL19gebsrmvn_4xn_kernelILj128ELj1ELj64EfEEvi20rocsparse_direction_NS_24const_host_device_scalarIT2_EEPKiS6_PKS3_S8_S4_PS3_21rocsparse_index_base_b
		.amdhsa_group_segment_fixed_size 0
		.amdhsa_private_segment_fixed_size 0
		.amdhsa_kernarg_size 72
		.amdhsa_user_sgpr_count 15
		.amdhsa_user_sgpr_dispatch_ptr 0
		.amdhsa_user_sgpr_queue_ptr 0
		.amdhsa_user_sgpr_kernarg_segment_ptr 1
		.amdhsa_user_sgpr_dispatch_id 0
		.amdhsa_user_sgpr_private_segment_size 0
		.amdhsa_wavefront_size32 1
		.amdhsa_uses_dynamic_stack 0
		.amdhsa_enable_private_segment 0
		.amdhsa_system_sgpr_workgroup_id_x 1
		.amdhsa_system_sgpr_workgroup_id_y 0
		.amdhsa_system_sgpr_workgroup_id_z 0
		.amdhsa_system_sgpr_workgroup_info 0
		.amdhsa_system_vgpr_workitem_id 0
		.amdhsa_next_free_vgpr 20
		.amdhsa_next_free_sgpr 20
		.amdhsa_reserve_vcc 1
		.amdhsa_float_round_mode_32 0
		.amdhsa_float_round_mode_16_64 0
		.amdhsa_float_denorm_mode_32 3
		.amdhsa_float_denorm_mode_16_64 3
		.amdhsa_dx10_clamp 1
		.amdhsa_ieee_mode 1
		.amdhsa_fp16_overflow 0
		.amdhsa_workgroup_processor_mode 1
		.amdhsa_memory_ordered 1
		.amdhsa_forward_progress 0
		.amdhsa_shared_vgpr_count 0
		.amdhsa_exception_fp_ieee_invalid_op 0
		.amdhsa_exception_fp_denorm_src 0
		.amdhsa_exception_fp_ieee_div_zero 0
		.amdhsa_exception_fp_ieee_overflow 0
		.amdhsa_exception_fp_ieee_underflow 0
		.amdhsa_exception_fp_ieee_inexact 0
		.amdhsa_exception_int_div_zero 0
	.end_amdhsa_kernel
	.section	.text._ZN9rocsparseL19gebsrmvn_4xn_kernelILj128ELj1ELj64EfEEvi20rocsparse_direction_NS_24const_host_device_scalarIT2_EEPKiS6_PKS3_S8_S4_PS3_21rocsparse_index_base_b,"axG",@progbits,_ZN9rocsparseL19gebsrmvn_4xn_kernelILj128ELj1ELj64EfEEvi20rocsparse_direction_NS_24const_host_device_scalarIT2_EEPKiS6_PKS3_S8_S4_PS3_21rocsparse_index_base_b,comdat
.Lfunc_end4:
	.size	_ZN9rocsparseL19gebsrmvn_4xn_kernelILj128ELj1ELj64EfEEvi20rocsparse_direction_NS_24const_host_device_scalarIT2_EEPKiS6_PKS3_S8_S4_PS3_21rocsparse_index_base_b, .Lfunc_end4-_ZN9rocsparseL19gebsrmvn_4xn_kernelILj128ELj1ELj64EfEEvi20rocsparse_direction_NS_24const_host_device_scalarIT2_EEPKiS6_PKS3_S8_S4_PS3_21rocsparse_index_base_b
                                        ; -- End function
	.section	.AMDGPU.csdata,"",@progbits
; Kernel info:
; codeLenInByte = 1460
; NumSgprs: 22
; NumVgprs: 20
; ScratchSize: 0
; MemoryBound: 0
; FloatMode: 240
; IeeeMode: 1
; LDSByteSize: 0 bytes/workgroup (compile time only)
; SGPRBlocks: 2
; VGPRBlocks: 2
; NumSGPRsForWavesPerEU: 22
; NumVGPRsForWavesPerEU: 20
; Occupancy: 16
; WaveLimiterHint : 1
; COMPUTE_PGM_RSRC2:SCRATCH_EN: 0
; COMPUTE_PGM_RSRC2:USER_SGPR: 15
; COMPUTE_PGM_RSRC2:TRAP_HANDLER: 0
; COMPUTE_PGM_RSRC2:TGID_X_EN: 1
; COMPUTE_PGM_RSRC2:TGID_Y_EN: 0
; COMPUTE_PGM_RSRC2:TGID_Z_EN: 0
; COMPUTE_PGM_RSRC2:TIDIG_COMP_CNT: 0
	.section	.text._ZN9rocsparseL19gebsrmvn_4xn_kernelILj128ELj2ELj4EfEEvi20rocsparse_direction_NS_24const_host_device_scalarIT2_EEPKiS6_PKS3_S8_S4_PS3_21rocsparse_index_base_b,"axG",@progbits,_ZN9rocsparseL19gebsrmvn_4xn_kernelILj128ELj2ELj4EfEEvi20rocsparse_direction_NS_24const_host_device_scalarIT2_EEPKiS6_PKS3_S8_S4_PS3_21rocsparse_index_base_b,comdat
	.globl	_ZN9rocsparseL19gebsrmvn_4xn_kernelILj128ELj2ELj4EfEEvi20rocsparse_direction_NS_24const_host_device_scalarIT2_EEPKiS6_PKS3_S8_S4_PS3_21rocsparse_index_base_b ; -- Begin function _ZN9rocsparseL19gebsrmvn_4xn_kernelILj128ELj2ELj4EfEEvi20rocsparse_direction_NS_24const_host_device_scalarIT2_EEPKiS6_PKS3_S8_S4_PS3_21rocsparse_index_base_b
	.p2align	8
	.type	_ZN9rocsparseL19gebsrmvn_4xn_kernelILj128ELj2ELj4EfEEvi20rocsparse_direction_NS_24const_host_device_scalarIT2_EEPKiS6_PKS3_S8_S4_PS3_21rocsparse_index_base_b,@function
_ZN9rocsparseL19gebsrmvn_4xn_kernelILj128ELj2ELj4EfEEvi20rocsparse_direction_NS_24const_host_device_scalarIT2_EEPKiS6_PKS3_S8_S4_PS3_21rocsparse_index_base_b: ; @_ZN9rocsparseL19gebsrmvn_4xn_kernelILj128ELj2ELj4EfEEvi20rocsparse_direction_NS_24const_host_device_scalarIT2_EEPKiS6_PKS3_S8_S4_PS3_21rocsparse_index_base_b
; %bb.0:
	s_clause 0x2
	s_load_b64 s[18:19], s[0:1], 0x40
	s_load_b64 s[16:17], s[0:1], 0x8
	;; [unrolled: 1-line block ×3, first 2 shown]
	s_waitcnt lgkmcnt(0)
	s_bitcmp1_b32 s19, 0
	s_cselect_b32 s2, -1, 0
	s_delay_alu instid0(SALU_CYCLE_1)
	s_and_b32 vcc_lo, exec_lo, s2
	s_xor_b32 s2, s2, -1
	s_cbranch_vccnz .LBB5_2
; %bb.1:
	s_load_b32 s16, s[16:17], 0x0
.LBB5_2:
	s_and_not1_b32 vcc_lo, exec_lo, s2
	s_cbranch_vccnz .LBB5_4
; %bb.3:
	s_load_b32 s12, s[12:13], 0x0
.LBB5_4:
	s_waitcnt lgkmcnt(0)
	v_cmp_eq_f32_e64 s2, s16, 0
	v_cmp_eq_f32_e64 s3, s12, 1.0
	s_delay_alu instid0(VALU_DEP_1) | instskip(NEXT) | instid1(SALU_CYCLE_1)
	s_and_b32 s2, s2, s3
	s_and_b32 vcc_lo, exec_lo, s2
	s_cbranch_vccnz .LBB5_23
; %bb.5:
	s_load_b64 s[2:3], s[0:1], 0x0
	v_lshrrev_b32_e32 v1, 2, v0
	s_delay_alu instid0(VALU_DEP_1) | instskip(SKIP_1) | instid1(VALU_DEP_1)
	v_lshl_or_b32 v4, s15, 5, v1
	s_waitcnt lgkmcnt(0)
	v_cmp_gt_i32_e32 vcc_lo, s2, v4
	s_and_saveexec_b32 s2, vcc_lo
	s_cbranch_execz .LBB5_23
; %bb.6:
	s_load_b256 s[4:11], s[0:1], 0x10
	v_ashrrev_i32_e32 v5, 31, v4
	v_and_b32_e32 v7, 3, v0
	s_cmp_lg_u32 s3, 0
	s_delay_alu instid0(VALU_DEP_2) | instskip(SKIP_1) | instid1(VALU_DEP_1)
	v_lshlrev_b64 v[1:2], 2, v[4:5]
	s_waitcnt lgkmcnt(0)
	v_add_co_u32 v1, vcc_lo, s4, v1
	s_delay_alu instid0(VALU_DEP_2) | instskip(SKIP_4) | instid1(VALU_DEP_2)
	v_add_co_ci_u32_e32 v2, vcc_lo, s5, v2, vcc_lo
	global_load_b64 v[1:2], v[1:2], off
	s_waitcnt vmcnt(0)
	v_subrev_nc_u32_e32 v0, s18, v1
	v_subrev_nc_u32_e32 v12, s18, v2
	v_add_nc_u32_e32 v0, v0, v7
	s_delay_alu instid0(VALU_DEP_1)
	v_cmp_lt_i32_e64 s2, v0, v12
	s_cbranch_scc0 .LBB5_12
; %bb.7:
	v_dual_mov_b32 v8, 0 :: v_dual_mov_b32 v9, 0
	v_dual_mov_b32 v10, 0 :: v_dual_mov_b32 v11, 0
	s_mov_b32 s3, 0
	s_and_saveexec_b32 s4, s2
	s_cbranch_execz .LBB5_11
; %bb.8:
	v_dual_mov_b32 v2, 0 :: v_dual_lshlrev_b32 v1, 3, v0
	v_mov_b32_e32 v5, v0
	s_mov_b32 s5, 0
	s_delay_alu instid0(VALU_DEP_2)
	v_mov_b32_e32 v8, v2
	v_mov_b32_e32 v9, v2
	;; [unrolled: 1-line block ×4, first 2 shown]
	s_set_inst_prefetch_distance 0x1
	.p2align	6
.LBB5_9:                                ; =>This Inner Loop Header: Depth=1
	v_ashrrev_i32_e32 v6, 31, v5
	s_delay_alu instid0(VALU_DEP_1) | instskip(NEXT) | instid1(VALU_DEP_1)
	v_lshlrev_b64 v[13:14], 2, v[5:6]
	v_add_co_u32 v13, vcc_lo, s6, v13
	s_delay_alu instid0(VALU_DEP_2) | instskip(SKIP_2) | instid1(VALU_DEP_1)
	v_add_co_ci_u32_e32 v14, vcc_lo, s7, v14, vcc_lo
	global_load_b32 v3, v[13:14], off
	v_lshlrev_b64 v[13:14], 2, v[1:2]
	v_add_co_u32 v19, vcc_lo, s8, v13
	s_delay_alu instid0(VALU_DEP_2) | instskip(SKIP_3) | instid1(VALU_DEP_1)
	v_add_co_ci_u32_e32 v20, vcc_lo, s9, v14, vcc_lo
	global_load_b128 v[13:16], v[19:20], off offset:16
	s_waitcnt vmcnt(1)
	v_subrev_nc_u32_e32 v3, s18, v3
	v_dual_mov_b32 v18, v2 :: v_dual_lshlrev_b32 v17, 1, v3
	s_delay_alu instid0(VALU_DEP_1) | instskip(NEXT) | instid1(VALU_DEP_1)
	v_lshlrev_b64 v[17:18], 2, v[17:18]
	v_add_co_u32 v21, vcc_lo, s10, v17
	s_delay_alu instid0(VALU_DEP_2)
	v_add_co_ci_u32_e32 v22, vcc_lo, s11, v18, vcc_lo
	global_load_b128 v[17:20], v[19:20], off
	global_load_b64 v[21:22], v[21:22], off
	s_waitcnt vmcnt(0)
	v_fmac_f32_e32 v9, v20, v21
	v_fmac_f32_e32 v10, v19, v21
	v_fmac_f32_e32 v11, v18, v21
	s_delay_alu instid0(VALU_DEP_3) | instskip(NEXT) | instid1(VALU_DEP_3)
	v_dual_fmac_f32 v8, v17, v21 :: v_dual_fmac_f32 v9, v16, v22
	v_dual_fmac_f32 v10, v15, v22 :: v_dual_add_nc_u32 v5, 4, v5
	s_delay_alu instid0(VALU_DEP_3) | instskip(NEXT) | instid1(VALU_DEP_3)
	v_fmac_f32_e32 v11, v14, v22
	v_dual_fmac_f32 v8, v13, v22 :: v_dual_add_nc_u32 v1, 32, v1
	s_delay_alu instid0(VALU_DEP_3) | instskip(SKIP_1) | instid1(SALU_CYCLE_1)
	v_cmp_ge_i32_e32 vcc_lo, v5, v12
	s_or_b32 s5, vcc_lo, s5
	s_and_not1_b32 exec_lo, exec_lo, s5
	s_cbranch_execnz .LBB5_9
; %bb.10:
	s_set_inst_prefetch_distance 0x2
	s_or_b32 exec_lo, exec_lo, s5
.LBB5_11:
	s_delay_alu instid0(SALU_CYCLE_1) | instskip(NEXT) | instid1(SALU_CYCLE_1)
	s_or_b32 exec_lo, exec_lo, s4
	s_and_not1_b32 vcc_lo, exec_lo, s3
	s_cbranch_vccz .LBB5_13
	s_branch .LBB5_18
.LBB5_12:
                                        ; implicit-def: $vgpr8
                                        ; implicit-def: $vgpr9
                                        ; implicit-def: $vgpr10
                                        ; implicit-def: $vgpr11
.LBB5_13:
	v_dual_mov_b32 v8, 0 :: v_dual_mov_b32 v9, 0
	v_dual_mov_b32 v10, 0 :: v_dual_mov_b32 v11, 0
	s_delay_alu instid0(VALU_DEP_3)
	s_and_saveexec_b32 s3, s2
	s_cbranch_execz .LBB5_17
; %bb.14:
	v_dual_mov_b32 v3, 0 :: v_dual_lshlrev_b32 v2, 3, v0
	s_mov_b32 s2, 0
	s_delay_alu instid0(VALU_DEP_1)
	v_mov_b32_e32 v8, v3
	v_mov_b32_e32 v9, v3
	;; [unrolled: 1-line block ×4, first 2 shown]
	s_set_inst_prefetch_distance 0x1
	.p2align	6
.LBB5_15:                               ; =>This Inner Loop Header: Depth=1
	v_ashrrev_i32_e32 v1, 31, v0
	s_delay_alu instid0(VALU_DEP_1) | instskip(NEXT) | instid1(VALU_DEP_1)
	v_lshlrev_b64 v[5:6], 2, v[0:1]
	v_add_co_u32 v5, vcc_lo, s6, v5
	s_delay_alu instid0(VALU_DEP_2) | instskip(SKIP_2) | instid1(VALU_DEP_1)
	v_add_co_ci_u32_e32 v6, vcc_lo, s7, v6, vcc_lo
	global_load_b32 v1, v[5:6], off
	v_lshlrev_b64 v[5:6], 2, v[2:3]
	v_add_co_u32 v5, vcc_lo, s8, v5
	s_delay_alu instid0(VALU_DEP_2) | instskip(SKIP_3) | instid1(VALU_DEP_1)
	v_add_co_ci_u32_e32 v6, vcc_lo, s9, v6, vcc_lo
	global_load_b128 v[13:16], v[5:6], off offset:16
	s_waitcnt vmcnt(1)
	v_subrev_nc_u32_e32 v1, s18, v1
	v_dual_mov_b32 v18, v3 :: v_dual_lshlrev_b32 v17, 1, v1
	s_delay_alu instid0(VALU_DEP_1) | instskip(NEXT) | instid1(VALU_DEP_1)
	v_lshlrev_b64 v[17:18], 2, v[17:18]
	v_add_co_u32 v21, vcc_lo, s10, v17
	s_delay_alu instid0(VALU_DEP_2)
	v_add_co_ci_u32_e32 v22, vcc_lo, s11, v18, vcc_lo
	global_load_b128 v[17:20], v[5:6], off
	global_load_b64 v[5:6], v[21:22], off
	v_add_nc_u32_e32 v0, 4, v0
	s_waitcnt vmcnt(0)
	v_dual_fmac_f32 v11, v19, v5 :: v_dual_add_nc_u32 v2, 32, v2
	v_fmac_f32_e32 v8, v17, v5
	v_fmac_f32_e32 v9, v15, v5
	v_fmac_f32_e32 v10, v13, v5
	v_cmp_ge_i32_e32 vcc_lo, v0, v12
	v_fmac_f32_e32 v11, v20, v6
	v_fmac_f32_e32 v8, v18, v6
	;; [unrolled: 1-line block ×4, first 2 shown]
	s_or_b32 s2, vcc_lo, s2
	s_delay_alu instid0(SALU_CYCLE_1)
	s_and_not1_b32 exec_lo, exec_lo, s2
	s_cbranch_execnz .LBB5_15
; %bb.16:
	s_set_inst_prefetch_distance 0x2
	s_or_b32 exec_lo, exec_lo, s2
.LBB5_17:
	s_delay_alu instid0(SALU_CYCLE_1)
	s_or_b32 exec_lo, exec_lo, s3
.LBB5_18:
	v_mbcnt_lo_u32_b32 v0, -1, 0
	s_mov_b32 s2, -1
	s_delay_alu instid0(VALU_DEP_1) | instskip(NEXT) | instid1(VALU_DEP_1)
	v_xor_b32_e32 v1, 2, v0
	v_cmp_gt_i32_e32 vcc_lo, 32, v1
	v_cndmask_b32_e32 v1, v0, v1, vcc_lo
	s_delay_alu instid0(VALU_DEP_1)
	v_lshlrev_b32_e32 v1, 2, v1
	ds_bpermute_b32 v2, v1, v8
	ds_bpermute_b32 v3, v1, v11
	;; [unrolled: 1-line block ×4, first 2 shown]
	v_xor_b32_e32 v1, 1, v0
	s_delay_alu instid0(VALU_DEP_1) | instskip(SKIP_3) | instid1(VALU_DEP_2)
	v_cmp_gt_i32_e32 vcc_lo, 32, v1
	v_cndmask_b32_e32 v0, v0, v1, vcc_lo
	v_cmp_eq_u32_e32 vcc_lo, 3, v7
	s_waitcnt lgkmcnt(2)
	v_dual_add_f32 v1, v11, v3 :: v_dual_lshlrev_b32 v12, 2, v0
	v_add_f32_e32 v0, v8, v2
	s_waitcnt lgkmcnt(0)
	v_dual_add_f32 v2, v10, v5 :: v_dual_add_f32 v3, v9, v6
	ds_bpermute_b32 v6, v12, v1
	ds_bpermute_b32 v5, v12, v0
	;; [unrolled: 1-line block ×4, first 2 shown]
	s_and_b32 exec_lo, exec_lo, vcc_lo
	s_cbranch_execz .LBB5_23
; %bb.19:
	s_load_b64 s[0:1], s[0:1], 0x38
	s_waitcnt lgkmcnt(0)
	v_dual_add_f32 v0, v0, v5 :: v_dual_add_f32 v1, v1, v6
	v_dual_add_f32 v2, v2, v8 :: v_dual_add_f32 v3, v3, v9
	v_cmp_eq_f32_e64 s3, s12, 0
	s_delay_alu instid0(VALU_DEP_3) | instskip(NEXT) | instid1(VALU_DEP_3)
	v_dual_mul_f32 v0, s16, v0 :: v_dual_mul_f32 v1, s16, v1
	v_dual_mul_f32 v2, s16, v2 :: v_dual_mul_f32 v3, s16, v3
	v_lshlrev_b32_e32 v4, 2, v4
	s_delay_alu instid0(VALU_DEP_4)
	s_and_b32 vcc_lo, exec_lo, s3
	s_cbranch_vccz .LBB5_21
; %bb.20:
	s_delay_alu instid0(VALU_DEP_1) | instskip(SKIP_1) | instid1(VALU_DEP_1)
	v_ashrrev_i32_e32 v5, 31, v4
	s_mov_b32 s2, 0
	v_lshlrev_b64 v[5:6], 2, v[4:5]
	s_delay_alu instid0(VALU_DEP_1) | instskip(NEXT) | instid1(VALU_DEP_2)
	v_add_co_u32 v5, vcc_lo, s0, v5
	v_add_co_ci_u32_e32 v6, vcc_lo, s1, v6, vcc_lo
	global_store_b128 v[5:6], v[0:3], off
.LBB5_21:
	s_and_not1_b32 vcc_lo, exec_lo, s2
	s_cbranch_vccnz .LBB5_23
; %bb.22:
	v_ashrrev_i32_e32 v5, 31, v4
	s_delay_alu instid0(VALU_DEP_1) | instskip(NEXT) | instid1(VALU_DEP_1)
	v_lshlrev_b64 v[4:5], 2, v[4:5]
	v_add_co_u32 v8, vcc_lo, s0, v4
	s_delay_alu instid0(VALU_DEP_2)
	v_add_co_ci_u32_e32 v9, vcc_lo, s1, v5, vcc_lo
	global_load_b128 v[4:7], v[8:9], off
	s_waitcnt vmcnt(0)
	v_dual_fmac_f32 v0, s12, v4 :: v_dual_fmac_f32 v1, s12, v5
	v_dual_fmac_f32 v2, s12, v6 :: v_dual_fmac_f32 v3, s12, v7
	global_store_b128 v[8:9], v[0:3], off
.LBB5_23:
	s_nop 0
	s_sendmsg sendmsg(MSG_DEALLOC_VGPRS)
	s_endpgm
	.section	.rodata,"a",@progbits
	.p2align	6, 0x0
	.amdhsa_kernel _ZN9rocsparseL19gebsrmvn_4xn_kernelILj128ELj2ELj4EfEEvi20rocsparse_direction_NS_24const_host_device_scalarIT2_EEPKiS6_PKS3_S8_S4_PS3_21rocsparse_index_base_b
		.amdhsa_group_segment_fixed_size 0
		.amdhsa_private_segment_fixed_size 0
		.amdhsa_kernarg_size 72
		.amdhsa_user_sgpr_count 15
		.amdhsa_user_sgpr_dispatch_ptr 0
		.amdhsa_user_sgpr_queue_ptr 0
		.amdhsa_user_sgpr_kernarg_segment_ptr 1
		.amdhsa_user_sgpr_dispatch_id 0
		.amdhsa_user_sgpr_private_segment_size 0
		.amdhsa_wavefront_size32 1
		.amdhsa_uses_dynamic_stack 0
		.amdhsa_enable_private_segment 0
		.amdhsa_system_sgpr_workgroup_id_x 1
		.amdhsa_system_sgpr_workgroup_id_y 0
		.amdhsa_system_sgpr_workgroup_id_z 0
		.amdhsa_system_sgpr_workgroup_info 0
		.amdhsa_system_vgpr_workitem_id 0
		.amdhsa_next_free_vgpr 23
		.amdhsa_next_free_sgpr 20
		.amdhsa_reserve_vcc 1
		.amdhsa_float_round_mode_32 0
		.amdhsa_float_round_mode_16_64 0
		.amdhsa_float_denorm_mode_32 3
		.amdhsa_float_denorm_mode_16_64 3
		.amdhsa_dx10_clamp 1
		.amdhsa_ieee_mode 1
		.amdhsa_fp16_overflow 0
		.amdhsa_workgroup_processor_mode 1
		.amdhsa_memory_ordered 1
		.amdhsa_forward_progress 0
		.amdhsa_shared_vgpr_count 0
		.amdhsa_exception_fp_ieee_invalid_op 0
		.amdhsa_exception_fp_denorm_src 0
		.amdhsa_exception_fp_ieee_div_zero 0
		.amdhsa_exception_fp_ieee_overflow 0
		.amdhsa_exception_fp_ieee_underflow 0
		.amdhsa_exception_fp_ieee_inexact 0
		.amdhsa_exception_int_div_zero 0
	.end_amdhsa_kernel
	.section	.text._ZN9rocsparseL19gebsrmvn_4xn_kernelILj128ELj2ELj4EfEEvi20rocsparse_direction_NS_24const_host_device_scalarIT2_EEPKiS6_PKS3_S8_S4_PS3_21rocsparse_index_base_b,"axG",@progbits,_ZN9rocsparseL19gebsrmvn_4xn_kernelILj128ELj2ELj4EfEEvi20rocsparse_direction_NS_24const_host_device_scalarIT2_EEPKiS6_PKS3_S8_S4_PS3_21rocsparse_index_base_b,comdat
.Lfunc_end5:
	.size	_ZN9rocsparseL19gebsrmvn_4xn_kernelILj128ELj2ELj4EfEEvi20rocsparse_direction_NS_24const_host_device_scalarIT2_EEPKiS6_PKS3_S8_S4_PS3_21rocsparse_index_base_b, .Lfunc_end5-_ZN9rocsparseL19gebsrmvn_4xn_kernelILj128ELj2ELj4EfEEvi20rocsparse_direction_NS_24const_host_device_scalarIT2_EEPKiS6_PKS3_S8_S4_PS3_21rocsparse_index_base_b
                                        ; -- End function
	.section	.AMDGPU.csdata,"",@progbits
; Kernel info:
; codeLenInByte = 1184
; NumSgprs: 22
; NumVgprs: 23
; ScratchSize: 0
; MemoryBound: 0
; FloatMode: 240
; IeeeMode: 1
; LDSByteSize: 0 bytes/workgroup (compile time only)
; SGPRBlocks: 2
; VGPRBlocks: 2
; NumSGPRsForWavesPerEU: 22
; NumVGPRsForWavesPerEU: 23
; Occupancy: 16
; WaveLimiterHint : 1
; COMPUTE_PGM_RSRC2:SCRATCH_EN: 0
; COMPUTE_PGM_RSRC2:USER_SGPR: 15
; COMPUTE_PGM_RSRC2:TRAP_HANDLER: 0
; COMPUTE_PGM_RSRC2:TGID_X_EN: 1
; COMPUTE_PGM_RSRC2:TGID_Y_EN: 0
; COMPUTE_PGM_RSRC2:TGID_Z_EN: 0
; COMPUTE_PGM_RSRC2:TIDIG_COMP_CNT: 0
	.section	.text._ZN9rocsparseL19gebsrmvn_4xn_kernelILj128ELj2ELj8EfEEvi20rocsparse_direction_NS_24const_host_device_scalarIT2_EEPKiS6_PKS3_S8_S4_PS3_21rocsparse_index_base_b,"axG",@progbits,_ZN9rocsparseL19gebsrmvn_4xn_kernelILj128ELj2ELj8EfEEvi20rocsparse_direction_NS_24const_host_device_scalarIT2_EEPKiS6_PKS3_S8_S4_PS3_21rocsparse_index_base_b,comdat
	.globl	_ZN9rocsparseL19gebsrmvn_4xn_kernelILj128ELj2ELj8EfEEvi20rocsparse_direction_NS_24const_host_device_scalarIT2_EEPKiS6_PKS3_S8_S4_PS3_21rocsparse_index_base_b ; -- Begin function _ZN9rocsparseL19gebsrmvn_4xn_kernelILj128ELj2ELj8EfEEvi20rocsparse_direction_NS_24const_host_device_scalarIT2_EEPKiS6_PKS3_S8_S4_PS3_21rocsparse_index_base_b
	.p2align	8
	.type	_ZN9rocsparseL19gebsrmvn_4xn_kernelILj128ELj2ELj8EfEEvi20rocsparse_direction_NS_24const_host_device_scalarIT2_EEPKiS6_PKS3_S8_S4_PS3_21rocsparse_index_base_b,@function
_ZN9rocsparseL19gebsrmvn_4xn_kernelILj128ELj2ELj8EfEEvi20rocsparse_direction_NS_24const_host_device_scalarIT2_EEPKiS6_PKS3_S8_S4_PS3_21rocsparse_index_base_b: ; @_ZN9rocsparseL19gebsrmvn_4xn_kernelILj128ELj2ELj8EfEEvi20rocsparse_direction_NS_24const_host_device_scalarIT2_EEPKiS6_PKS3_S8_S4_PS3_21rocsparse_index_base_b
; %bb.0:
	s_clause 0x2
	s_load_b64 s[18:19], s[0:1], 0x40
	s_load_b64 s[16:17], s[0:1], 0x8
	;; [unrolled: 1-line block ×3, first 2 shown]
	s_waitcnt lgkmcnt(0)
	s_bitcmp1_b32 s19, 0
	s_cselect_b32 s2, -1, 0
	s_delay_alu instid0(SALU_CYCLE_1)
	s_and_b32 vcc_lo, exec_lo, s2
	s_xor_b32 s2, s2, -1
	s_cbranch_vccnz .LBB6_2
; %bb.1:
	s_load_b32 s16, s[16:17], 0x0
.LBB6_2:
	s_and_not1_b32 vcc_lo, exec_lo, s2
	s_cbranch_vccnz .LBB6_4
; %bb.3:
	s_load_b32 s12, s[12:13], 0x0
.LBB6_4:
	s_waitcnt lgkmcnt(0)
	v_cmp_eq_f32_e64 s2, s16, 0
	v_cmp_eq_f32_e64 s3, s12, 1.0
	s_delay_alu instid0(VALU_DEP_1) | instskip(NEXT) | instid1(SALU_CYCLE_1)
	s_and_b32 s2, s2, s3
	s_and_b32 vcc_lo, exec_lo, s2
	s_cbranch_vccnz .LBB6_23
; %bb.5:
	s_load_b64 s[2:3], s[0:1], 0x0
	v_lshrrev_b32_e32 v1, 3, v0
	s_delay_alu instid0(VALU_DEP_1) | instskip(SKIP_1) | instid1(VALU_DEP_1)
	v_lshl_or_b32 v4, s15, 4, v1
	s_waitcnt lgkmcnt(0)
	v_cmp_gt_i32_e32 vcc_lo, s2, v4
	s_and_saveexec_b32 s2, vcc_lo
	s_cbranch_execz .LBB6_23
; %bb.6:
	s_load_b256 s[4:11], s[0:1], 0x10
	v_ashrrev_i32_e32 v5, 31, v4
	v_and_b32_e32 v7, 7, v0
	s_cmp_lg_u32 s3, 0
	s_delay_alu instid0(VALU_DEP_2) | instskip(SKIP_1) | instid1(VALU_DEP_1)
	v_lshlrev_b64 v[1:2], 2, v[4:5]
	s_waitcnt lgkmcnt(0)
	v_add_co_u32 v1, vcc_lo, s4, v1
	s_delay_alu instid0(VALU_DEP_2) | instskip(SKIP_4) | instid1(VALU_DEP_2)
	v_add_co_ci_u32_e32 v2, vcc_lo, s5, v2, vcc_lo
	global_load_b64 v[1:2], v[1:2], off
	s_waitcnt vmcnt(0)
	v_subrev_nc_u32_e32 v0, s18, v1
	v_subrev_nc_u32_e32 v12, s18, v2
	v_add_nc_u32_e32 v0, v0, v7
	s_delay_alu instid0(VALU_DEP_1)
	v_cmp_lt_i32_e64 s2, v0, v12
	s_cbranch_scc0 .LBB6_12
; %bb.7:
	v_dual_mov_b32 v8, 0 :: v_dual_mov_b32 v9, 0
	v_dual_mov_b32 v10, 0 :: v_dual_mov_b32 v11, 0
	s_mov_b32 s3, 0
	s_and_saveexec_b32 s4, s2
	s_cbranch_execz .LBB6_11
; %bb.8:
	v_dual_mov_b32 v2, 0 :: v_dual_lshlrev_b32 v1, 3, v0
	v_mov_b32_e32 v5, v0
	s_mov_b32 s5, 0
	s_delay_alu instid0(VALU_DEP_2)
	v_mov_b32_e32 v8, v2
	v_mov_b32_e32 v9, v2
	;; [unrolled: 1-line block ×4, first 2 shown]
	s_set_inst_prefetch_distance 0x1
	.p2align	6
.LBB6_9:                                ; =>This Inner Loop Header: Depth=1
	v_ashrrev_i32_e32 v6, 31, v5
	s_delay_alu instid0(VALU_DEP_1) | instskip(NEXT) | instid1(VALU_DEP_1)
	v_lshlrev_b64 v[13:14], 2, v[5:6]
	v_add_co_u32 v13, vcc_lo, s6, v13
	s_delay_alu instid0(VALU_DEP_2) | instskip(SKIP_2) | instid1(VALU_DEP_1)
	v_add_co_ci_u32_e32 v14, vcc_lo, s7, v14, vcc_lo
	global_load_b32 v3, v[13:14], off
	v_lshlrev_b64 v[13:14], 2, v[1:2]
	v_add_co_u32 v19, vcc_lo, s8, v13
	s_delay_alu instid0(VALU_DEP_2) | instskip(SKIP_3) | instid1(VALU_DEP_1)
	v_add_co_ci_u32_e32 v20, vcc_lo, s9, v14, vcc_lo
	global_load_b128 v[13:16], v[19:20], off offset:16
	s_waitcnt vmcnt(1)
	v_subrev_nc_u32_e32 v3, s18, v3
	v_dual_mov_b32 v18, v2 :: v_dual_lshlrev_b32 v17, 1, v3
	s_delay_alu instid0(VALU_DEP_1) | instskip(NEXT) | instid1(VALU_DEP_1)
	v_lshlrev_b64 v[17:18], 2, v[17:18]
	v_add_co_u32 v21, vcc_lo, s10, v17
	s_delay_alu instid0(VALU_DEP_2)
	v_add_co_ci_u32_e32 v22, vcc_lo, s11, v18, vcc_lo
	global_load_b128 v[17:20], v[19:20], off
	global_load_b64 v[21:22], v[21:22], off
	s_waitcnt vmcnt(0)
	v_fmac_f32_e32 v9, v20, v21
	v_fmac_f32_e32 v10, v19, v21
	;; [unrolled: 1-line block ×3, first 2 shown]
	s_delay_alu instid0(VALU_DEP_3) | instskip(NEXT) | instid1(VALU_DEP_3)
	v_dual_fmac_f32 v8, v17, v21 :: v_dual_fmac_f32 v9, v16, v22
	v_dual_fmac_f32 v10, v15, v22 :: v_dual_add_nc_u32 v5, 8, v5
	s_delay_alu instid0(VALU_DEP_3) | instskip(NEXT) | instid1(VALU_DEP_3)
	v_fmac_f32_e32 v11, v14, v22
	v_dual_fmac_f32 v8, v13, v22 :: v_dual_add_nc_u32 v1, 64, v1
	s_delay_alu instid0(VALU_DEP_3) | instskip(SKIP_1) | instid1(SALU_CYCLE_1)
	v_cmp_ge_i32_e32 vcc_lo, v5, v12
	s_or_b32 s5, vcc_lo, s5
	s_and_not1_b32 exec_lo, exec_lo, s5
	s_cbranch_execnz .LBB6_9
; %bb.10:
	s_set_inst_prefetch_distance 0x2
	s_or_b32 exec_lo, exec_lo, s5
.LBB6_11:
	s_delay_alu instid0(SALU_CYCLE_1) | instskip(NEXT) | instid1(SALU_CYCLE_1)
	s_or_b32 exec_lo, exec_lo, s4
	s_and_not1_b32 vcc_lo, exec_lo, s3
	s_cbranch_vccz .LBB6_13
	s_branch .LBB6_18
.LBB6_12:
                                        ; implicit-def: $vgpr8
                                        ; implicit-def: $vgpr9
                                        ; implicit-def: $vgpr10
                                        ; implicit-def: $vgpr11
.LBB6_13:
	v_dual_mov_b32 v8, 0 :: v_dual_mov_b32 v9, 0
	v_dual_mov_b32 v10, 0 :: v_dual_mov_b32 v11, 0
	s_delay_alu instid0(VALU_DEP_3)
	s_and_saveexec_b32 s3, s2
	s_cbranch_execz .LBB6_17
; %bb.14:
	v_dual_mov_b32 v3, 0 :: v_dual_lshlrev_b32 v2, 3, v0
	s_mov_b32 s2, 0
	s_delay_alu instid0(VALU_DEP_1)
	v_mov_b32_e32 v8, v3
	v_mov_b32_e32 v9, v3
	;; [unrolled: 1-line block ×4, first 2 shown]
	s_set_inst_prefetch_distance 0x1
	.p2align	6
.LBB6_15:                               ; =>This Inner Loop Header: Depth=1
	v_ashrrev_i32_e32 v1, 31, v0
	s_delay_alu instid0(VALU_DEP_1) | instskip(NEXT) | instid1(VALU_DEP_1)
	v_lshlrev_b64 v[5:6], 2, v[0:1]
	v_add_co_u32 v5, vcc_lo, s6, v5
	s_delay_alu instid0(VALU_DEP_2) | instskip(SKIP_2) | instid1(VALU_DEP_1)
	v_add_co_ci_u32_e32 v6, vcc_lo, s7, v6, vcc_lo
	global_load_b32 v1, v[5:6], off
	v_lshlrev_b64 v[5:6], 2, v[2:3]
	v_add_co_u32 v5, vcc_lo, s8, v5
	s_delay_alu instid0(VALU_DEP_2) | instskip(SKIP_3) | instid1(VALU_DEP_1)
	v_add_co_ci_u32_e32 v6, vcc_lo, s9, v6, vcc_lo
	global_load_b128 v[13:16], v[5:6], off offset:16
	s_waitcnt vmcnt(1)
	v_subrev_nc_u32_e32 v1, s18, v1
	v_dual_mov_b32 v18, v3 :: v_dual_lshlrev_b32 v17, 1, v1
	s_delay_alu instid0(VALU_DEP_1) | instskip(NEXT) | instid1(VALU_DEP_1)
	v_lshlrev_b64 v[17:18], 2, v[17:18]
	v_add_co_u32 v21, vcc_lo, s10, v17
	s_delay_alu instid0(VALU_DEP_2)
	v_add_co_ci_u32_e32 v22, vcc_lo, s11, v18, vcc_lo
	global_load_b128 v[17:20], v[5:6], off
	global_load_b64 v[5:6], v[21:22], off
	v_add_nc_u32_e32 v0, 8, v0
	s_waitcnt vmcnt(0)
	v_dual_fmac_f32 v11, v19, v5 :: v_dual_add_nc_u32 v2, 64, v2
	v_fmac_f32_e32 v8, v17, v5
	v_fmac_f32_e32 v9, v15, v5
	;; [unrolled: 1-line block ×3, first 2 shown]
	v_cmp_ge_i32_e32 vcc_lo, v0, v12
	v_fmac_f32_e32 v11, v20, v6
	v_fmac_f32_e32 v8, v18, v6
	v_fmac_f32_e32 v9, v16, v6
	v_fmac_f32_e32 v10, v14, v6
	s_or_b32 s2, vcc_lo, s2
	s_delay_alu instid0(SALU_CYCLE_1)
	s_and_not1_b32 exec_lo, exec_lo, s2
	s_cbranch_execnz .LBB6_15
; %bb.16:
	s_set_inst_prefetch_distance 0x2
	s_or_b32 exec_lo, exec_lo, s2
.LBB6_17:
	s_delay_alu instid0(SALU_CYCLE_1)
	s_or_b32 exec_lo, exec_lo, s3
.LBB6_18:
	v_mbcnt_lo_u32_b32 v0, -1, 0
	s_mov_b32 s2, -1
	s_delay_alu instid0(VALU_DEP_1) | instskip(SKIP_1) | instid1(VALU_DEP_2)
	v_xor_b32_e32 v1, 4, v0
	v_xor_b32_e32 v6, 2, v0
	v_cmp_gt_i32_e32 vcc_lo, 32, v1
	v_cndmask_b32_e32 v1, v0, v1, vcc_lo
	s_delay_alu instid0(VALU_DEP_3) | instskip(SKIP_1) | instid1(VALU_DEP_1)
	v_cmp_gt_i32_e32 vcc_lo, 32, v6
	v_cndmask_b32_e32 v6, v0, v6, vcc_lo
	v_lshlrev_b32_e32 v6, 2, v6
	s_delay_alu instid0(VALU_DEP_4)
	v_lshlrev_b32_e32 v1, 2, v1
	ds_bpermute_b32 v2, v1, v8
	s_waitcnt lgkmcnt(0)
	v_add_f32_e32 v2, v8, v2
	ds_bpermute_b32 v3, v1, v11
	ds_bpermute_b32 v5, v1, v10
	;; [unrolled: 1-line block ×3, first 2 shown]
	s_waitcnt lgkmcnt(2)
	v_add_f32_e32 v3, v11, v3
	v_xor_b32_e32 v11, 1, v0
	s_delay_alu instid0(VALU_DEP_1)
	v_cmp_gt_i32_e32 vcc_lo, 32, v11
	s_waitcnt lgkmcnt(1)
	v_dual_add_f32 v5, v10, v5 :: v_dual_cndmask_b32 v0, v0, v11
	s_waitcnt lgkmcnt(0)
	v_add_f32_e32 v8, v9, v1
	ds_bpermute_b32 v1, v6, v2
	ds_bpermute_b32 v9, v6, v3
	;; [unrolled: 1-line block ×3, first 2 shown]
	v_lshlrev_b32_e32 v11, 2, v0
	ds_bpermute_b32 v6, v6, v8
	v_cmp_eq_u32_e32 vcc_lo, 7, v7
	s_waitcnt lgkmcnt(3)
	v_add_f32_e32 v0, v2, v1
	s_waitcnt lgkmcnt(1)
	v_dual_add_f32 v1, v3, v9 :: v_dual_add_f32 v2, v5, v10
	s_waitcnt lgkmcnt(0)
	v_add_f32_e32 v3, v8, v6
	ds_bpermute_b32 v5, v11, v0
	ds_bpermute_b32 v6, v11, v1
	;; [unrolled: 1-line block ×4, first 2 shown]
	s_and_b32 exec_lo, exec_lo, vcc_lo
	s_cbranch_execz .LBB6_23
; %bb.19:
	s_load_b64 s[0:1], s[0:1], 0x38
	s_waitcnt lgkmcnt(0)
	v_dual_add_f32 v0, v0, v5 :: v_dual_add_f32 v1, v1, v6
	v_dual_add_f32 v2, v2, v8 :: v_dual_add_f32 v3, v3, v9
	v_cmp_eq_f32_e64 s3, s12, 0
	s_delay_alu instid0(VALU_DEP_3) | instskip(NEXT) | instid1(VALU_DEP_3)
	v_dual_mul_f32 v0, s16, v0 :: v_dual_mul_f32 v1, s16, v1
	v_dual_mul_f32 v2, s16, v2 :: v_dual_mul_f32 v3, s16, v3
	v_lshlrev_b32_e32 v4, 2, v4
	s_delay_alu instid0(VALU_DEP_4)
	s_and_b32 vcc_lo, exec_lo, s3
	s_cbranch_vccz .LBB6_21
; %bb.20:
	s_delay_alu instid0(VALU_DEP_1) | instskip(SKIP_1) | instid1(VALU_DEP_1)
	v_ashrrev_i32_e32 v5, 31, v4
	s_mov_b32 s2, 0
	v_lshlrev_b64 v[5:6], 2, v[4:5]
	s_delay_alu instid0(VALU_DEP_1) | instskip(NEXT) | instid1(VALU_DEP_2)
	v_add_co_u32 v5, vcc_lo, s0, v5
	v_add_co_ci_u32_e32 v6, vcc_lo, s1, v6, vcc_lo
	global_store_b128 v[5:6], v[0:3], off
.LBB6_21:
	s_and_not1_b32 vcc_lo, exec_lo, s2
	s_cbranch_vccnz .LBB6_23
; %bb.22:
	v_ashrrev_i32_e32 v5, 31, v4
	s_delay_alu instid0(VALU_DEP_1) | instskip(NEXT) | instid1(VALU_DEP_1)
	v_lshlrev_b64 v[4:5], 2, v[4:5]
	v_add_co_u32 v8, vcc_lo, s0, v4
	s_delay_alu instid0(VALU_DEP_2)
	v_add_co_ci_u32_e32 v9, vcc_lo, s1, v5, vcc_lo
	global_load_b128 v[4:7], v[8:9], off
	s_waitcnt vmcnt(0)
	v_dual_fmac_f32 v0, s12, v4 :: v_dual_fmac_f32 v1, s12, v5
	v_dual_fmac_f32 v2, s12, v6 :: v_dual_fmac_f32 v3, s12, v7
	global_store_b128 v[8:9], v[0:3], off
.LBB6_23:
	s_nop 0
	s_sendmsg sendmsg(MSG_DEALLOC_VGPRS)
	s_endpgm
	.section	.rodata,"a",@progbits
	.p2align	6, 0x0
	.amdhsa_kernel _ZN9rocsparseL19gebsrmvn_4xn_kernelILj128ELj2ELj8EfEEvi20rocsparse_direction_NS_24const_host_device_scalarIT2_EEPKiS6_PKS3_S8_S4_PS3_21rocsparse_index_base_b
		.amdhsa_group_segment_fixed_size 0
		.amdhsa_private_segment_fixed_size 0
		.amdhsa_kernarg_size 72
		.amdhsa_user_sgpr_count 15
		.amdhsa_user_sgpr_dispatch_ptr 0
		.amdhsa_user_sgpr_queue_ptr 0
		.amdhsa_user_sgpr_kernarg_segment_ptr 1
		.amdhsa_user_sgpr_dispatch_id 0
		.amdhsa_user_sgpr_private_segment_size 0
		.amdhsa_wavefront_size32 1
		.amdhsa_uses_dynamic_stack 0
		.amdhsa_enable_private_segment 0
		.amdhsa_system_sgpr_workgroup_id_x 1
		.amdhsa_system_sgpr_workgroup_id_y 0
		.amdhsa_system_sgpr_workgroup_id_z 0
		.amdhsa_system_sgpr_workgroup_info 0
		.amdhsa_system_vgpr_workitem_id 0
		.amdhsa_next_free_vgpr 23
		.amdhsa_next_free_sgpr 20
		.amdhsa_reserve_vcc 1
		.amdhsa_float_round_mode_32 0
		.amdhsa_float_round_mode_16_64 0
		.amdhsa_float_denorm_mode_32 3
		.amdhsa_float_denorm_mode_16_64 3
		.amdhsa_dx10_clamp 1
		.amdhsa_ieee_mode 1
		.amdhsa_fp16_overflow 0
		.amdhsa_workgroup_processor_mode 1
		.amdhsa_memory_ordered 1
		.amdhsa_forward_progress 0
		.amdhsa_shared_vgpr_count 0
		.amdhsa_exception_fp_ieee_invalid_op 0
		.amdhsa_exception_fp_denorm_src 0
		.amdhsa_exception_fp_ieee_div_zero 0
		.amdhsa_exception_fp_ieee_overflow 0
		.amdhsa_exception_fp_ieee_underflow 0
		.amdhsa_exception_fp_ieee_inexact 0
		.amdhsa_exception_int_div_zero 0
	.end_amdhsa_kernel
	.section	.text._ZN9rocsparseL19gebsrmvn_4xn_kernelILj128ELj2ELj8EfEEvi20rocsparse_direction_NS_24const_host_device_scalarIT2_EEPKiS6_PKS3_S8_S4_PS3_21rocsparse_index_base_b,"axG",@progbits,_ZN9rocsparseL19gebsrmvn_4xn_kernelILj128ELj2ELj8EfEEvi20rocsparse_direction_NS_24const_host_device_scalarIT2_EEPKiS6_PKS3_S8_S4_PS3_21rocsparse_index_base_b,comdat
.Lfunc_end6:
	.size	_ZN9rocsparseL19gebsrmvn_4xn_kernelILj128ELj2ELj8EfEEvi20rocsparse_direction_NS_24const_host_device_scalarIT2_EEPKiS6_PKS3_S8_S4_PS3_21rocsparse_index_base_b, .Lfunc_end6-_ZN9rocsparseL19gebsrmvn_4xn_kernelILj128ELj2ELj8EfEEvi20rocsparse_direction_NS_24const_host_device_scalarIT2_EEPKiS6_PKS3_S8_S4_PS3_21rocsparse_index_base_b
                                        ; -- End function
	.section	.AMDGPU.csdata,"",@progbits
; Kernel info:
; codeLenInByte = 1272
; NumSgprs: 22
; NumVgprs: 23
; ScratchSize: 0
; MemoryBound: 0
; FloatMode: 240
; IeeeMode: 1
; LDSByteSize: 0 bytes/workgroup (compile time only)
; SGPRBlocks: 2
; VGPRBlocks: 2
; NumSGPRsForWavesPerEU: 22
; NumVGPRsForWavesPerEU: 23
; Occupancy: 16
; WaveLimiterHint : 1
; COMPUTE_PGM_RSRC2:SCRATCH_EN: 0
; COMPUTE_PGM_RSRC2:USER_SGPR: 15
; COMPUTE_PGM_RSRC2:TRAP_HANDLER: 0
; COMPUTE_PGM_RSRC2:TGID_X_EN: 1
; COMPUTE_PGM_RSRC2:TGID_Y_EN: 0
; COMPUTE_PGM_RSRC2:TGID_Z_EN: 0
; COMPUTE_PGM_RSRC2:TIDIG_COMP_CNT: 0
	.section	.text._ZN9rocsparseL19gebsrmvn_4xn_kernelILj128ELj2ELj16EfEEvi20rocsparse_direction_NS_24const_host_device_scalarIT2_EEPKiS6_PKS3_S8_S4_PS3_21rocsparse_index_base_b,"axG",@progbits,_ZN9rocsparseL19gebsrmvn_4xn_kernelILj128ELj2ELj16EfEEvi20rocsparse_direction_NS_24const_host_device_scalarIT2_EEPKiS6_PKS3_S8_S4_PS3_21rocsparse_index_base_b,comdat
	.globl	_ZN9rocsparseL19gebsrmvn_4xn_kernelILj128ELj2ELj16EfEEvi20rocsparse_direction_NS_24const_host_device_scalarIT2_EEPKiS6_PKS3_S8_S4_PS3_21rocsparse_index_base_b ; -- Begin function _ZN9rocsparseL19gebsrmvn_4xn_kernelILj128ELj2ELj16EfEEvi20rocsparse_direction_NS_24const_host_device_scalarIT2_EEPKiS6_PKS3_S8_S4_PS3_21rocsparse_index_base_b
	.p2align	8
	.type	_ZN9rocsparseL19gebsrmvn_4xn_kernelILj128ELj2ELj16EfEEvi20rocsparse_direction_NS_24const_host_device_scalarIT2_EEPKiS6_PKS3_S8_S4_PS3_21rocsparse_index_base_b,@function
_ZN9rocsparseL19gebsrmvn_4xn_kernelILj128ELj2ELj16EfEEvi20rocsparse_direction_NS_24const_host_device_scalarIT2_EEPKiS6_PKS3_S8_S4_PS3_21rocsparse_index_base_b: ; @_ZN9rocsparseL19gebsrmvn_4xn_kernelILj128ELj2ELj16EfEEvi20rocsparse_direction_NS_24const_host_device_scalarIT2_EEPKiS6_PKS3_S8_S4_PS3_21rocsparse_index_base_b
; %bb.0:
	s_clause 0x2
	s_load_b64 s[18:19], s[0:1], 0x40
	s_load_b64 s[16:17], s[0:1], 0x8
	;; [unrolled: 1-line block ×3, first 2 shown]
	s_waitcnt lgkmcnt(0)
	s_bitcmp1_b32 s19, 0
	s_cselect_b32 s2, -1, 0
	s_delay_alu instid0(SALU_CYCLE_1)
	s_and_b32 vcc_lo, exec_lo, s2
	s_xor_b32 s2, s2, -1
	s_cbranch_vccnz .LBB7_2
; %bb.1:
	s_load_b32 s16, s[16:17], 0x0
.LBB7_2:
	s_and_not1_b32 vcc_lo, exec_lo, s2
	s_cbranch_vccnz .LBB7_4
; %bb.3:
	s_load_b32 s12, s[12:13], 0x0
.LBB7_4:
	s_waitcnt lgkmcnt(0)
	v_cmp_eq_f32_e64 s2, s16, 0
	v_cmp_eq_f32_e64 s3, s12, 1.0
	s_delay_alu instid0(VALU_DEP_1) | instskip(NEXT) | instid1(SALU_CYCLE_1)
	s_and_b32 s2, s2, s3
	s_and_b32 vcc_lo, exec_lo, s2
	s_cbranch_vccnz .LBB7_23
; %bb.5:
	s_load_b64 s[2:3], s[0:1], 0x0
	v_lshrrev_b32_e32 v1, 4, v0
	s_delay_alu instid0(VALU_DEP_1) | instskip(SKIP_1) | instid1(VALU_DEP_1)
	v_lshl_or_b32 v4, s15, 3, v1
	s_waitcnt lgkmcnt(0)
	v_cmp_gt_i32_e32 vcc_lo, s2, v4
	s_and_saveexec_b32 s2, vcc_lo
	s_cbranch_execz .LBB7_23
; %bb.6:
	s_load_b256 s[4:11], s[0:1], 0x10
	v_ashrrev_i32_e32 v5, 31, v4
	v_and_b32_e32 v7, 15, v0
	s_cmp_lg_u32 s3, 0
	s_delay_alu instid0(VALU_DEP_2) | instskip(SKIP_1) | instid1(VALU_DEP_1)
	v_lshlrev_b64 v[1:2], 2, v[4:5]
	s_waitcnt lgkmcnt(0)
	v_add_co_u32 v1, vcc_lo, s4, v1
	s_delay_alu instid0(VALU_DEP_2) | instskip(SKIP_4) | instid1(VALU_DEP_2)
	v_add_co_ci_u32_e32 v2, vcc_lo, s5, v2, vcc_lo
	global_load_b64 v[1:2], v[1:2], off
	s_waitcnt vmcnt(0)
	v_subrev_nc_u32_e32 v0, s18, v1
	v_subrev_nc_u32_e32 v12, s18, v2
	v_add_nc_u32_e32 v0, v0, v7
	s_delay_alu instid0(VALU_DEP_1)
	v_cmp_lt_i32_e64 s2, v0, v12
	s_cbranch_scc0 .LBB7_12
; %bb.7:
	v_dual_mov_b32 v8, 0 :: v_dual_mov_b32 v9, 0
	v_dual_mov_b32 v10, 0 :: v_dual_mov_b32 v11, 0
	s_mov_b32 s3, 0
	s_and_saveexec_b32 s4, s2
	s_cbranch_execz .LBB7_11
; %bb.8:
	v_dual_mov_b32 v2, 0 :: v_dual_lshlrev_b32 v1, 3, v0
	v_mov_b32_e32 v5, v0
	s_mov_b32 s5, 0
	s_delay_alu instid0(VALU_DEP_2)
	v_mov_b32_e32 v8, v2
	v_mov_b32_e32 v9, v2
	;; [unrolled: 1-line block ×4, first 2 shown]
	s_set_inst_prefetch_distance 0x1
	.p2align	6
.LBB7_9:                                ; =>This Inner Loop Header: Depth=1
	v_ashrrev_i32_e32 v6, 31, v5
	s_delay_alu instid0(VALU_DEP_1) | instskip(NEXT) | instid1(VALU_DEP_1)
	v_lshlrev_b64 v[13:14], 2, v[5:6]
	v_add_co_u32 v13, vcc_lo, s6, v13
	s_delay_alu instid0(VALU_DEP_2) | instskip(SKIP_2) | instid1(VALU_DEP_1)
	v_add_co_ci_u32_e32 v14, vcc_lo, s7, v14, vcc_lo
	global_load_b32 v3, v[13:14], off
	v_lshlrev_b64 v[13:14], 2, v[1:2]
	v_add_co_u32 v19, vcc_lo, s8, v13
	s_delay_alu instid0(VALU_DEP_2) | instskip(SKIP_3) | instid1(VALU_DEP_1)
	v_add_co_ci_u32_e32 v20, vcc_lo, s9, v14, vcc_lo
	global_load_b128 v[13:16], v[19:20], off offset:16
	s_waitcnt vmcnt(1)
	v_subrev_nc_u32_e32 v3, s18, v3
	v_dual_mov_b32 v18, v2 :: v_dual_lshlrev_b32 v17, 1, v3
	s_delay_alu instid0(VALU_DEP_1) | instskip(NEXT) | instid1(VALU_DEP_1)
	v_lshlrev_b64 v[17:18], 2, v[17:18]
	v_add_co_u32 v21, vcc_lo, s10, v17
	s_delay_alu instid0(VALU_DEP_2)
	v_add_co_ci_u32_e32 v22, vcc_lo, s11, v18, vcc_lo
	global_load_b128 v[17:20], v[19:20], off
	global_load_b64 v[21:22], v[21:22], off
	s_waitcnt vmcnt(0)
	v_fmac_f32_e32 v9, v20, v21
	v_fmac_f32_e32 v10, v19, v21
	;; [unrolled: 1-line block ×3, first 2 shown]
	s_delay_alu instid0(VALU_DEP_3) | instskip(NEXT) | instid1(VALU_DEP_3)
	v_dual_fmac_f32 v8, v17, v21 :: v_dual_fmac_f32 v9, v16, v22
	v_dual_fmac_f32 v10, v15, v22 :: v_dual_add_nc_u32 v5, 16, v5
	s_delay_alu instid0(VALU_DEP_3) | instskip(NEXT) | instid1(VALU_DEP_3)
	v_fmac_f32_e32 v11, v14, v22
	v_dual_fmac_f32 v8, v13, v22 :: v_dual_add_nc_u32 v1, 0x80, v1
	s_delay_alu instid0(VALU_DEP_3) | instskip(SKIP_1) | instid1(SALU_CYCLE_1)
	v_cmp_ge_i32_e32 vcc_lo, v5, v12
	s_or_b32 s5, vcc_lo, s5
	s_and_not1_b32 exec_lo, exec_lo, s5
	s_cbranch_execnz .LBB7_9
; %bb.10:
	s_set_inst_prefetch_distance 0x2
	s_or_b32 exec_lo, exec_lo, s5
.LBB7_11:
	s_delay_alu instid0(SALU_CYCLE_1) | instskip(NEXT) | instid1(SALU_CYCLE_1)
	s_or_b32 exec_lo, exec_lo, s4
	s_and_not1_b32 vcc_lo, exec_lo, s3
	s_cbranch_vccz .LBB7_13
	s_branch .LBB7_18
.LBB7_12:
                                        ; implicit-def: $vgpr8
                                        ; implicit-def: $vgpr9
                                        ; implicit-def: $vgpr10
                                        ; implicit-def: $vgpr11
.LBB7_13:
	v_dual_mov_b32 v8, 0 :: v_dual_mov_b32 v9, 0
	v_dual_mov_b32 v10, 0 :: v_dual_mov_b32 v11, 0
	s_delay_alu instid0(VALU_DEP_3)
	s_and_saveexec_b32 s3, s2
	s_cbranch_execz .LBB7_17
; %bb.14:
	v_dual_mov_b32 v3, 0 :: v_dual_lshlrev_b32 v2, 3, v0
	s_mov_b32 s2, 0
	s_delay_alu instid0(VALU_DEP_1)
	v_mov_b32_e32 v8, v3
	v_mov_b32_e32 v9, v3
	;; [unrolled: 1-line block ×4, first 2 shown]
	s_set_inst_prefetch_distance 0x1
	.p2align	6
.LBB7_15:                               ; =>This Inner Loop Header: Depth=1
	v_ashrrev_i32_e32 v1, 31, v0
	s_delay_alu instid0(VALU_DEP_1) | instskip(NEXT) | instid1(VALU_DEP_1)
	v_lshlrev_b64 v[5:6], 2, v[0:1]
	v_add_co_u32 v5, vcc_lo, s6, v5
	s_delay_alu instid0(VALU_DEP_2) | instskip(SKIP_2) | instid1(VALU_DEP_1)
	v_add_co_ci_u32_e32 v6, vcc_lo, s7, v6, vcc_lo
	global_load_b32 v1, v[5:6], off
	v_lshlrev_b64 v[5:6], 2, v[2:3]
	v_add_co_u32 v5, vcc_lo, s8, v5
	s_delay_alu instid0(VALU_DEP_2) | instskip(SKIP_3) | instid1(VALU_DEP_1)
	v_add_co_ci_u32_e32 v6, vcc_lo, s9, v6, vcc_lo
	global_load_b128 v[13:16], v[5:6], off offset:16
	s_waitcnt vmcnt(1)
	v_subrev_nc_u32_e32 v1, s18, v1
	v_dual_mov_b32 v18, v3 :: v_dual_lshlrev_b32 v17, 1, v1
	s_delay_alu instid0(VALU_DEP_1) | instskip(NEXT) | instid1(VALU_DEP_1)
	v_lshlrev_b64 v[17:18], 2, v[17:18]
	v_add_co_u32 v21, vcc_lo, s10, v17
	s_delay_alu instid0(VALU_DEP_2)
	v_add_co_ci_u32_e32 v22, vcc_lo, s11, v18, vcc_lo
	global_load_b128 v[17:20], v[5:6], off
	global_load_b64 v[5:6], v[21:22], off
	v_add_nc_u32_e32 v0, 16, v0
	s_waitcnt vmcnt(0)
	v_dual_fmac_f32 v11, v19, v5 :: v_dual_add_nc_u32 v2, 0x80, v2
	v_fmac_f32_e32 v8, v17, v5
	v_fmac_f32_e32 v9, v15, v5
	;; [unrolled: 1-line block ×3, first 2 shown]
	v_cmp_ge_i32_e32 vcc_lo, v0, v12
	v_fmac_f32_e32 v11, v20, v6
	v_fmac_f32_e32 v8, v18, v6
	;; [unrolled: 1-line block ×4, first 2 shown]
	s_or_b32 s2, vcc_lo, s2
	s_delay_alu instid0(SALU_CYCLE_1)
	s_and_not1_b32 exec_lo, exec_lo, s2
	s_cbranch_execnz .LBB7_15
; %bb.16:
	s_set_inst_prefetch_distance 0x2
	s_or_b32 exec_lo, exec_lo, s2
.LBB7_17:
	s_delay_alu instid0(SALU_CYCLE_1)
	s_or_b32 exec_lo, exec_lo, s3
.LBB7_18:
	v_mbcnt_lo_u32_b32 v0, -1, 0
	s_mov_b32 s2, -1
	s_delay_alu instid0(VALU_DEP_1) | instskip(SKIP_1) | instid1(VALU_DEP_2)
	v_xor_b32_e32 v1, 8, v0
	v_xor_b32_e32 v6, 4, v0
	v_cmp_gt_i32_e32 vcc_lo, 32, v1
	v_cndmask_b32_e32 v1, v0, v1, vcc_lo
	s_delay_alu instid0(VALU_DEP_3) | instskip(SKIP_1) | instid1(VALU_DEP_1)
	v_cmp_gt_i32_e32 vcc_lo, 32, v6
	v_cndmask_b32_e32 v6, v0, v6, vcc_lo
	v_lshlrev_b32_e32 v6, 2, v6
	s_delay_alu instid0(VALU_DEP_4)
	v_lshlrev_b32_e32 v1, 2, v1
	ds_bpermute_b32 v2, v1, v8
	s_waitcnt lgkmcnt(0)
	v_add_f32_e32 v2, v8, v2
	ds_bpermute_b32 v3, v1, v11
	ds_bpermute_b32 v5, v1, v10
	;; [unrolled: 1-line block ×4, first 2 shown]
	s_waitcnt lgkmcnt(3)
	v_add_f32_e32 v3, v11, v3
	v_xor_b32_e32 v11, 2, v0
	s_waitcnt lgkmcnt(0)
	v_dual_add_f32 v1, v9, v1 :: v_dual_add_f32 v2, v2, v8
	v_add_f32_e32 v5, v10, v5
	ds_bpermute_b32 v9, v6, v3
	v_cmp_gt_i32_e32 vcc_lo, 32, v11
	ds_bpermute_b32 v10, v6, v5
	ds_bpermute_b32 v6, v6, v1
	v_cndmask_b32_e32 v11, v0, v11, vcc_lo
	s_waitcnt lgkmcnt(0)
	v_dual_add_f32 v3, v3, v9 :: v_dual_add_f32 v6, v1, v6
	v_add_f32_e32 v5, v5, v10
	s_delay_alu instid0(VALU_DEP_3)
	v_lshlrev_b32_e32 v11, 2, v11
	ds_bpermute_b32 v1, v11, v2
	ds_bpermute_b32 v8, v11, v3
	;; [unrolled: 1-line block ×4, first 2 shown]
	v_xor_b32_e32 v11, 1, v0
	s_delay_alu instid0(VALU_DEP_1) | instskip(SKIP_3) | instid1(VALU_DEP_2)
	v_cmp_gt_i32_e32 vcc_lo, 32, v11
	v_cndmask_b32_e32 v0, v0, v11, vcc_lo
	v_cmp_eq_u32_e32 vcc_lo, 15, v7
	s_waitcnt lgkmcnt(3)
	v_dual_add_f32 v0, v2, v1 :: v_dual_lshlrev_b32 v11, 2, v0
	s_waitcnt lgkmcnt(1)
	v_dual_add_f32 v1, v3, v8 :: v_dual_add_f32 v2, v5, v9
	s_waitcnt lgkmcnt(0)
	v_add_f32_e32 v3, v6, v10
	ds_bpermute_b32 v5, v11, v0
	ds_bpermute_b32 v6, v11, v1
	;; [unrolled: 1-line block ×4, first 2 shown]
	s_and_b32 exec_lo, exec_lo, vcc_lo
	s_cbranch_execz .LBB7_23
; %bb.19:
	s_load_b64 s[0:1], s[0:1], 0x38
	s_waitcnt lgkmcnt(0)
	v_dual_add_f32 v0, v0, v5 :: v_dual_add_f32 v1, v1, v6
	v_dual_add_f32 v2, v2, v8 :: v_dual_add_f32 v3, v3, v9
	v_cmp_eq_f32_e64 s3, s12, 0
	s_delay_alu instid0(VALU_DEP_3) | instskip(NEXT) | instid1(VALU_DEP_3)
	v_dual_mul_f32 v0, s16, v0 :: v_dual_mul_f32 v1, s16, v1
	v_dual_mul_f32 v2, s16, v2 :: v_dual_mul_f32 v3, s16, v3
	v_lshlrev_b32_e32 v4, 2, v4
	s_delay_alu instid0(VALU_DEP_4)
	s_and_b32 vcc_lo, exec_lo, s3
	s_cbranch_vccz .LBB7_21
; %bb.20:
	s_delay_alu instid0(VALU_DEP_1) | instskip(SKIP_1) | instid1(VALU_DEP_1)
	v_ashrrev_i32_e32 v5, 31, v4
	s_mov_b32 s2, 0
	v_lshlrev_b64 v[5:6], 2, v[4:5]
	s_delay_alu instid0(VALU_DEP_1) | instskip(NEXT) | instid1(VALU_DEP_2)
	v_add_co_u32 v5, vcc_lo, s0, v5
	v_add_co_ci_u32_e32 v6, vcc_lo, s1, v6, vcc_lo
	global_store_b128 v[5:6], v[0:3], off
.LBB7_21:
	s_and_not1_b32 vcc_lo, exec_lo, s2
	s_cbranch_vccnz .LBB7_23
; %bb.22:
	v_ashrrev_i32_e32 v5, 31, v4
	s_delay_alu instid0(VALU_DEP_1) | instskip(NEXT) | instid1(VALU_DEP_1)
	v_lshlrev_b64 v[4:5], 2, v[4:5]
	v_add_co_u32 v8, vcc_lo, s0, v4
	s_delay_alu instid0(VALU_DEP_2)
	v_add_co_ci_u32_e32 v9, vcc_lo, s1, v5, vcc_lo
	global_load_b128 v[4:7], v[8:9], off
	s_waitcnt vmcnt(0)
	v_dual_fmac_f32 v0, s12, v4 :: v_dual_fmac_f32 v1, s12, v5
	v_dual_fmac_f32 v2, s12, v6 :: v_dual_fmac_f32 v3, s12, v7
	global_store_b128 v[8:9], v[0:3], off
.LBB7_23:
	s_nop 0
	s_sendmsg sendmsg(MSG_DEALLOC_VGPRS)
	s_endpgm
	.section	.rodata,"a",@progbits
	.p2align	6, 0x0
	.amdhsa_kernel _ZN9rocsparseL19gebsrmvn_4xn_kernelILj128ELj2ELj16EfEEvi20rocsparse_direction_NS_24const_host_device_scalarIT2_EEPKiS6_PKS3_S8_S4_PS3_21rocsparse_index_base_b
		.amdhsa_group_segment_fixed_size 0
		.amdhsa_private_segment_fixed_size 0
		.amdhsa_kernarg_size 72
		.amdhsa_user_sgpr_count 15
		.amdhsa_user_sgpr_dispatch_ptr 0
		.amdhsa_user_sgpr_queue_ptr 0
		.amdhsa_user_sgpr_kernarg_segment_ptr 1
		.amdhsa_user_sgpr_dispatch_id 0
		.amdhsa_user_sgpr_private_segment_size 0
		.amdhsa_wavefront_size32 1
		.amdhsa_uses_dynamic_stack 0
		.amdhsa_enable_private_segment 0
		.amdhsa_system_sgpr_workgroup_id_x 1
		.amdhsa_system_sgpr_workgroup_id_y 0
		.amdhsa_system_sgpr_workgroup_id_z 0
		.amdhsa_system_sgpr_workgroup_info 0
		.amdhsa_system_vgpr_workitem_id 0
		.amdhsa_next_free_vgpr 23
		.amdhsa_next_free_sgpr 20
		.amdhsa_reserve_vcc 1
		.amdhsa_float_round_mode_32 0
		.amdhsa_float_round_mode_16_64 0
		.amdhsa_float_denorm_mode_32 3
		.amdhsa_float_denorm_mode_16_64 3
		.amdhsa_dx10_clamp 1
		.amdhsa_ieee_mode 1
		.amdhsa_fp16_overflow 0
		.amdhsa_workgroup_processor_mode 1
		.amdhsa_memory_ordered 1
		.amdhsa_forward_progress 0
		.amdhsa_shared_vgpr_count 0
		.amdhsa_exception_fp_ieee_invalid_op 0
		.amdhsa_exception_fp_denorm_src 0
		.amdhsa_exception_fp_ieee_div_zero 0
		.amdhsa_exception_fp_ieee_overflow 0
		.amdhsa_exception_fp_ieee_underflow 0
		.amdhsa_exception_fp_ieee_inexact 0
		.amdhsa_exception_int_div_zero 0
	.end_amdhsa_kernel
	.section	.text._ZN9rocsparseL19gebsrmvn_4xn_kernelILj128ELj2ELj16EfEEvi20rocsparse_direction_NS_24const_host_device_scalarIT2_EEPKiS6_PKS3_S8_S4_PS3_21rocsparse_index_base_b,"axG",@progbits,_ZN9rocsparseL19gebsrmvn_4xn_kernelILj128ELj2ELj16EfEEvi20rocsparse_direction_NS_24const_host_device_scalarIT2_EEPKiS6_PKS3_S8_S4_PS3_21rocsparse_index_base_b,comdat
.Lfunc_end7:
	.size	_ZN9rocsparseL19gebsrmvn_4xn_kernelILj128ELj2ELj16EfEEvi20rocsparse_direction_NS_24const_host_device_scalarIT2_EEPKiS6_PKS3_S8_S4_PS3_21rocsparse_index_base_b, .Lfunc_end7-_ZN9rocsparseL19gebsrmvn_4xn_kernelILj128ELj2ELj16EfEEvi20rocsparse_direction_NS_24const_host_device_scalarIT2_EEPKiS6_PKS3_S8_S4_PS3_21rocsparse_index_base_b
                                        ; -- End function
	.section	.AMDGPU.csdata,"",@progbits
; Kernel info:
; codeLenInByte = 1348
; NumSgprs: 22
; NumVgprs: 23
; ScratchSize: 0
; MemoryBound: 0
; FloatMode: 240
; IeeeMode: 1
; LDSByteSize: 0 bytes/workgroup (compile time only)
; SGPRBlocks: 2
; VGPRBlocks: 2
; NumSGPRsForWavesPerEU: 22
; NumVGPRsForWavesPerEU: 23
; Occupancy: 16
; WaveLimiterHint : 1
; COMPUTE_PGM_RSRC2:SCRATCH_EN: 0
; COMPUTE_PGM_RSRC2:USER_SGPR: 15
; COMPUTE_PGM_RSRC2:TRAP_HANDLER: 0
; COMPUTE_PGM_RSRC2:TGID_X_EN: 1
; COMPUTE_PGM_RSRC2:TGID_Y_EN: 0
; COMPUTE_PGM_RSRC2:TGID_Z_EN: 0
; COMPUTE_PGM_RSRC2:TIDIG_COMP_CNT: 0
	.section	.text._ZN9rocsparseL19gebsrmvn_4xn_kernelILj128ELj2ELj32EfEEvi20rocsparse_direction_NS_24const_host_device_scalarIT2_EEPKiS6_PKS3_S8_S4_PS3_21rocsparse_index_base_b,"axG",@progbits,_ZN9rocsparseL19gebsrmvn_4xn_kernelILj128ELj2ELj32EfEEvi20rocsparse_direction_NS_24const_host_device_scalarIT2_EEPKiS6_PKS3_S8_S4_PS3_21rocsparse_index_base_b,comdat
	.globl	_ZN9rocsparseL19gebsrmvn_4xn_kernelILj128ELj2ELj32EfEEvi20rocsparse_direction_NS_24const_host_device_scalarIT2_EEPKiS6_PKS3_S8_S4_PS3_21rocsparse_index_base_b ; -- Begin function _ZN9rocsparseL19gebsrmvn_4xn_kernelILj128ELj2ELj32EfEEvi20rocsparse_direction_NS_24const_host_device_scalarIT2_EEPKiS6_PKS3_S8_S4_PS3_21rocsparse_index_base_b
	.p2align	8
	.type	_ZN9rocsparseL19gebsrmvn_4xn_kernelILj128ELj2ELj32EfEEvi20rocsparse_direction_NS_24const_host_device_scalarIT2_EEPKiS6_PKS3_S8_S4_PS3_21rocsparse_index_base_b,@function
_ZN9rocsparseL19gebsrmvn_4xn_kernelILj128ELj2ELj32EfEEvi20rocsparse_direction_NS_24const_host_device_scalarIT2_EEPKiS6_PKS3_S8_S4_PS3_21rocsparse_index_base_b: ; @_ZN9rocsparseL19gebsrmvn_4xn_kernelILj128ELj2ELj32EfEEvi20rocsparse_direction_NS_24const_host_device_scalarIT2_EEPKiS6_PKS3_S8_S4_PS3_21rocsparse_index_base_b
; %bb.0:
	s_clause 0x2
	s_load_b64 s[18:19], s[0:1], 0x40
	s_load_b64 s[16:17], s[0:1], 0x8
	;; [unrolled: 1-line block ×3, first 2 shown]
	s_waitcnt lgkmcnt(0)
	s_bitcmp1_b32 s19, 0
	s_cselect_b32 s2, -1, 0
	s_delay_alu instid0(SALU_CYCLE_1)
	s_and_b32 vcc_lo, exec_lo, s2
	s_xor_b32 s2, s2, -1
	s_cbranch_vccnz .LBB8_2
; %bb.1:
	s_load_b32 s16, s[16:17], 0x0
.LBB8_2:
	s_and_not1_b32 vcc_lo, exec_lo, s2
	s_cbranch_vccnz .LBB8_4
; %bb.3:
	s_load_b32 s12, s[12:13], 0x0
.LBB8_4:
	s_waitcnt lgkmcnt(0)
	v_cmp_eq_f32_e64 s2, s16, 0
	v_cmp_eq_f32_e64 s3, s12, 1.0
	s_delay_alu instid0(VALU_DEP_1) | instskip(NEXT) | instid1(SALU_CYCLE_1)
	s_and_b32 s2, s2, s3
	s_and_b32 vcc_lo, exec_lo, s2
	s_cbranch_vccnz .LBB8_23
; %bb.5:
	s_load_b64 s[2:3], s[0:1], 0x0
	v_lshrrev_b32_e32 v1, 5, v0
	s_delay_alu instid0(VALU_DEP_1) | instskip(SKIP_1) | instid1(VALU_DEP_1)
	v_lshl_or_b32 v4, s15, 2, v1
	s_waitcnt lgkmcnt(0)
	v_cmp_gt_i32_e32 vcc_lo, s2, v4
	s_and_saveexec_b32 s2, vcc_lo
	s_cbranch_execz .LBB8_23
; %bb.6:
	s_load_b256 s[4:11], s[0:1], 0x10
	v_ashrrev_i32_e32 v5, 31, v4
	v_and_b32_e32 v7, 31, v0
	s_cmp_lg_u32 s3, 0
	s_delay_alu instid0(VALU_DEP_2) | instskip(SKIP_1) | instid1(VALU_DEP_1)
	v_lshlrev_b64 v[1:2], 2, v[4:5]
	s_waitcnt lgkmcnt(0)
	v_add_co_u32 v1, vcc_lo, s4, v1
	s_delay_alu instid0(VALU_DEP_2) | instskip(SKIP_4) | instid1(VALU_DEP_2)
	v_add_co_ci_u32_e32 v2, vcc_lo, s5, v2, vcc_lo
	global_load_b64 v[1:2], v[1:2], off
	s_waitcnt vmcnt(0)
	v_subrev_nc_u32_e32 v0, s18, v1
	v_subrev_nc_u32_e32 v12, s18, v2
	v_add_nc_u32_e32 v0, v0, v7
	s_delay_alu instid0(VALU_DEP_1)
	v_cmp_lt_i32_e64 s2, v0, v12
	s_cbranch_scc0 .LBB8_12
; %bb.7:
	v_dual_mov_b32 v8, 0 :: v_dual_mov_b32 v9, 0
	v_dual_mov_b32 v10, 0 :: v_dual_mov_b32 v11, 0
	s_mov_b32 s3, 0
	s_and_saveexec_b32 s4, s2
	s_cbranch_execz .LBB8_11
; %bb.8:
	v_dual_mov_b32 v2, 0 :: v_dual_lshlrev_b32 v1, 3, v0
	v_mov_b32_e32 v5, v0
	s_mov_b32 s5, 0
	s_delay_alu instid0(VALU_DEP_2)
	v_mov_b32_e32 v8, v2
	v_mov_b32_e32 v9, v2
	;; [unrolled: 1-line block ×4, first 2 shown]
	s_set_inst_prefetch_distance 0x1
	.p2align	6
.LBB8_9:                                ; =>This Inner Loop Header: Depth=1
	v_ashrrev_i32_e32 v6, 31, v5
	s_delay_alu instid0(VALU_DEP_1) | instskip(NEXT) | instid1(VALU_DEP_1)
	v_lshlrev_b64 v[13:14], 2, v[5:6]
	v_add_co_u32 v13, vcc_lo, s6, v13
	s_delay_alu instid0(VALU_DEP_2) | instskip(SKIP_2) | instid1(VALU_DEP_1)
	v_add_co_ci_u32_e32 v14, vcc_lo, s7, v14, vcc_lo
	global_load_b32 v3, v[13:14], off
	v_lshlrev_b64 v[13:14], 2, v[1:2]
	v_add_co_u32 v19, vcc_lo, s8, v13
	s_delay_alu instid0(VALU_DEP_2) | instskip(SKIP_3) | instid1(VALU_DEP_1)
	v_add_co_ci_u32_e32 v20, vcc_lo, s9, v14, vcc_lo
	global_load_b128 v[13:16], v[19:20], off offset:16
	s_waitcnt vmcnt(1)
	v_subrev_nc_u32_e32 v3, s18, v3
	v_dual_mov_b32 v18, v2 :: v_dual_lshlrev_b32 v17, 1, v3
	s_delay_alu instid0(VALU_DEP_1) | instskip(NEXT) | instid1(VALU_DEP_1)
	v_lshlrev_b64 v[17:18], 2, v[17:18]
	v_add_co_u32 v21, vcc_lo, s10, v17
	s_delay_alu instid0(VALU_DEP_2)
	v_add_co_ci_u32_e32 v22, vcc_lo, s11, v18, vcc_lo
	global_load_b128 v[17:20], v[19:20], off
	global_load_b64 v[21:22], v[21:22], off
	s_waitcnt vmcnt(0)
	v_fmac_f32_e32 v9, v20, v21
	v_fmac_f32_e32 v10, v19, v21
	;; [unrolled: 1-line block ×3, first 2 shown]
	s_delay_alu instid0(VALU_DEP_3) | instskip(NEXT) | instid1(VALU_DEP_3)
	v_dual_fmac_f32 v8, v17, v21 :: v_dual_fmac_f32 v9, v16, v22
	v_dual_fmac_f32 v10, v15, v22 :: v_dual_add_nc_u32 v5, 32, v5
	s_delay_alu instid0(VALU_DEP_3) | instskip(NEXT) | instid1(VALU_DEP_3)
	v_fmac_f32_e32 v11, v14, v22
	v_dual_fmac_f32 v8, v13, v22 :: v_dual_add_nc_u32 v1, 0x100, v1
	s_delay_alu instid0(VALU_DEP_3) | instskip(SKIP_1) | instid1(SALU_CYCLE_1)
	v_cmp_ge_i32_e32 vcc_lo, v5, v12
	s_or_b32 s5, vcc_lo, s5
	s_and_not1_b32 exec_lo, exec_lo, s5
	s_cbranch_execnz .LBB8_9
; %bb.10:
	s_set_inst_prefetch_distance 0x2
	s_or_b32 exec_lo, exec_lo, s5
.LBB8_11:
	s_delay_alu instid0(SALU_CYCLE_1) | instskip(NEXT) | instid1(SALU_CYCLE_1)
	s_or_b32 exec_lo, exec_lo, s4
	s_and_not1_b32 vcc_lo, exec_lo, s3
	s_cbranch_vccz .LBB8_13
	s_branch .LBB8_18
.LBB8_12:
                                        ; implicit-def: $vgpr8
                                        ; implicit-def: $vgpr9
                                        ; implicit-def: $vgpr10
                                        ; implicit-def: $vgpr11
.LBB8_13:
	v_dual_mov_b32 v8, 0 :: v_dual_mov_b32 v9, 0
	v_dual_mov_b32 v10, 0 :: v_dual_mov_b32 v11, 0
	s_delay_alu instid0(VALU_DEP_3)
	s_and_saveexec_b32 s3, s2
	s_cbranch_execz .LBB8_17
; %bb.14:
	v_dual_mov_b32 v3, 0 :: v_dual_lshlrev_b32 v2, 3, v0
	s_mov_b32 s2, 0
	s_delay_alu instid0(VALU_DEP_1)
	v_mov_b32_e32 v8, v3
	v_mov_b32_e32 v9, v3
	;; [unrolled: 1-line block ×4, first 2 shown]
	s_set_inst_prefetch_distance 0x1
	.p2align	6
.LBB8_15:                               ; =>This Inner Loop Header: Depth=1
	v_ashrrev_i32_e32 v1, 31, v0
	s_delay_alu instid0(VALU_DEP_1) | instskip(NEXT) | instid1(VALU_DEP_1)
	v_lshlrev_b64 v[5:6], 2, v[0:1]
	v_add_co_u32 v5, vcc_lo, s6, v5
	s_delay_alu instid0(VALU_DEP_2) | instskip(SKIP_2) | instid1(VALU_DEP_1)
	v_add_co_ci_u32_e32 v6, vcc_lo, s7, v6, vcc_lo
	global_load_b32 v1, v[5:6], off
	v_lshlrev_b64 v[5:6], 2, v[2:3]
	v_add_co_u32 v5, vcc_lo, s8, v5
	s_delay_alu instid0(VALU_DEP_2) | instskip(SKIP_3) | instid1(VALU_DEP_1)
	v_add_co_ci_u32_e32 v6, vcc_lo, s9, v6, vcc_lo
	global_load_b128 v[13:16], v[5:6], off offset:16
	s_waitcnt vmcnt(1)
	v_subrev_nc_u32_e32 v1, s18, v1
	v_dual_mov_b32 v18, v3 :: v_dual_lshlrev_b32 v17, 1, v1
	s_delay_alu instid0(VALU_DEP_1) | instskip(NEXT) | instid1(VALU_DEP_1)
	v_lshlrev_b64 v[17:18], 2, v[17:18]
	v_add_co_u32 v21, vcc_lo, s10, v17
	s_delay_alu instid0(VALU_DEP_2)
	v_add_co_ci_u32_e32 v22, vcc_lo, s11, v18, vcc_lo
	global_load_b128 v[17:20], v[5:6], off
	global_load_b64 v[5:6], v[21:22], off
	v_add_nc_u32_e32 v0, 32, v0
	s_waitcnt vmcnt(0)
	v_dual_fmac_f32 v11, v19, v5 :: v_dual_add_nc_u32 v2, 0x100, v2
	v_fmac_f32_e32 v8, v17, v5
	v_fmac_f32_e32 v9, v15, v5
	;; [unrolled: 1-line block ×3, first 2 shown]
	v_cmp_ge_i32_e32 vcc_lo, v0, v12
	v_fmac_f32_e32 v11, v20, v6
	v_fmac_f32_e32 v8, v18, v6
	;; [unrolled: 1-line block ×4, first 2 shown]
	s_or_b32 s2, vcc_lo, s2
	s_delay_alu instid0(SALU_CYCLE_1)
	s_and_not1_b32 exec_lo, exec_lo, s2
	s_cbranch_execnz .LBB8_15
; %bb.16:
	s_set_inst_prefetch_distance 0x2
	s_or_b32 exec_lo, exec_lo, s2
.LBB8_17:
	s_delay_alu instid0(SALU_CYCLE_1)
	s_or_b32 exec_lo, exec_lo, s3
.LBB8_18:
	v_mbcnt_lo_u32_b32 v0, -1, 0
	s_mov_b32 s2, -1
	s_delay_alu instid0(VALU_DEP_1) | instskip(SKIP_1) | instid1(VALU_DEP_2)
	v_xor_b32_e32 v1, 16, v0
	v_xor_b32_e32 v6, 8, v0
	v_cmp_gt_i32_e32 vcc_lo, 32, v1
	v_cndmask_b32_e32 v1, v0, v1, vcc_lo
	s_delay_alu instid0(VALU_DEP_3) | instskip(SKIP_1) | instid1(VALU_DEP_1)
	v_cmp_gt_i32_e32 vcc_lo, 32, v6
	v_cndmask_b32_e32 v6, v0, v6, vcc_lo
	v_lshlrev_b32_e32 v6, 2, v6
	s_delay_alu instid0(VALU_DEP_4)
	v_lshlrev_b32_e32 v1, 2, v1
	ds_bpermute_b32 v2, v1, v8
	s_waitcnt lgkmcnt(0)
	v_add_f32_e32 v2, v8, v2
	ds_bpermute_b32 v5, v1, v10
	ds_bpermute_b32 v3, v1, v11
	;; [unrolled: 1-line block ×4, first 2 shown]
	s_waitcnt lgkmcnt(3)
	v_add_f32_e32 v5, v10, v5
	s_waitcnt lgkmcnt(2)
	v_add_f32_e32 v3, v11, v3
	;; [unrolled: 2-line block ×3, first 2 shown]
	v_xor_b32_e32 v11, 4, v0
	s_waitcnt lgkmcnt(0)
	v_add_f32_e32 v2, v2, v8
	ds_bpermute_b32 v10, v6, v5
	ds_bpermute_b32 v9, v6, v3
	;; [unrolled: 1-line block ×3, first 2 shown]
	v_cmp_gt_i32_e32 vcc_lo, 32, v11
	v_cndmask_b32_e32 v11, v0, v11, vcc_lo
	s_delay_alu instid0(VALU_DEP_1)
	v_lshlrev_b32_e32 v11, 2, v11
	s_waitcnt lgkmcnt(2)
	v_add_f32_e32 v5, v5, v10
	s_waitcnt lgkmcnt(1)
	v_add_f32_e32 v3, v3, v9
	;; [unrolled: 2-line block ×3, first 2 shown]
	ds_bpermute_b32 v6, v11, v2
	ds_bpermute_b32 v9, v11, v5
	;; [unrolled: 1-line block ×4, first 2 shown]
	v_xor_b32_e32 v11, 2, v0
	s_delay_alu instid0(VALU_DEP_1)
	v_cmp_gt_i32_e32 vcc_lo, 32, v11
	s_waitcnt lgkmcnt(2)
	v_dual_add_f32 v2, v2, v6 :: v_dual_add_f32 v5, v5, v9
	v_cndmask_b32_e32 v11, v0, v11, vcc_lo
	s_waitcnt lgkmcnt(0)
	v_dual_add_f32 v3, v3, v8 :: v_dual_add_f32 v6, v1, v10
	s_delay_alu instid0(VALU_DEP_2)
	v_lshlrev_b32_e32 v11, 2, v11
	ds_bpermute_b32 v1, v11, v2
	ds_bpermute_b32 v8, v11, v3
	;; [unrolled: 1-line block ×4, first 2 shown]
	v_xor_b32_e32 v11, 1, v0
	s_delay_alu instid0(VALU_DEP_1) | instskip(SKIP_3) | instid1(VALU_DEP_2)
	v_cmp_gt_i32_e32 vcc_lo, 32, v11
	v_cndmask_b32_e32 v0, v0, v11, vcc_lo
	v_cmp_eq_u32_e32 vcc_lo, 31, v7
	s_waitcnt lgkmcnt(3)
	v_dual_add_f32 v0, v2, v1 :: v_dual_lshlrev_b32 v11, 2, v0
	s_waitcnt lgkmcnt(1)
	v_dual_add_f32 v1, v3, v8 :: v_dual_add_f32 v2, v5, v9
	s_waitcnt lgkmcnt(0)
	v_add_f32_e32 v3, v6, v10
	ds_bpermute_b32 v5, v11, v0
	ds_bpermute_b32 v6, v11, v1
	;; [unrolled: 1-line block ×4, first 2 shown]
	s_and_b32 exec_lo, exec_lo, vcc_lo
	s_cbranch_execz .LBB8_23
; %bb.19:
	s_load_b64 s[0:1], s[0:1], 0x38
	s_waitcnt lgkmcnt(0)
	v_dual_add_f32 v0, v0, v5 :: v_dual_add_f32 v1, v1, v6
	v_dual_add_f32 v2, v2, v8 :: v_dual_add_f32 v3, v3, v9
	v_cmp_eq_f32_e64 s3, s12, 0
	s_delay_alu instid0(VALU_DEP_3) | instskip(NEXT) | instid1(VALU_DEP_3)
	v_dual_mul_f32 v0, s16, v0 :: v_dual_mul_f32 v1, s16, v1
	v_dual_mul_f32 v2, s16, v2 :: v_dual_mul_f32 v3, s16, v3
	v_lshlrev_b32_e32 v4, 2, v4
	s_delay_alu instid0(VALU_DEP_4)
	s_and_b32 vcc_lo, exec_lo, s3
	s_cbranch_vccz .LBB8_21
; %bb.20:
	s_delay_alu instid0(VALU_DEP_1) | instskip(SKIP_1) | instid1(VALU_DEP_1)
	v_ashrrev_i32_e32 v5, 31, v4
	s_mov_b32 s2, 0
	v_lshlrev_b64 v[5:6], 2, v[4:5]
	s_delay_alu instid0(VALU_DEP_1) | instskip(NEXT) | instid1(VALU_DEP_2)
	v_add_co_u32 v5, vcc_lo, s0, v5
	v_add_co_ci_u32_e32 v6, vcc_lo, s1, v6, vcc_lo
	global_store_b128 v[5:6], v[0:3], off
.LBB8_21:
	s_and_not1_b32 vcc_lo, exec_lo, s2
	s_cbranch_vccnz .LBB8_23
; %bb.22:
	v_ashrrev_i32_e32 v5, 31, v4
	s_delay_alu instid0(VALU_DEP_1) | instskip(NEXT) | instid1(VALU_DEP_1)
	v_lshlrev_b64 v[4:5], 2, v[4:5]
	v_add_co_u32 v8, vcc_lo, s0, v4
	s_delay_alu instid0(VALU_DEP_2)
	v_add_co_ci_u32_e32 v9, vcc_lo, s1, v5, vcc_lo
	global_load_b128 v[4:7], v[8:9], off
	s_waitcnt vmcnt(0)
	v_dual_fmac_f32 v0, s12, v4 :: v_dual_fmac_f32 v1, s12, v5
	v_dual_fmac_f32 v2, s12, v6 :: v_dual_fmac_f32 v3, s12, v7
	global_store_b128 v[8:9], v[0:3], off
.LBB8_23:
	s_nop 0
	s_sendmsg sendmsg(MSG_DEALLOC_VGPRS)
	s_endpgm
	.section	.rodata,"a",@progbits
	.p2align	6, 0x0
	.amdhsa_kernel _ZN9rocsparseL19gebsrmvn_4xn_kernelILj128ELj2ELj32EfEEvi20rocsparse_direction_NS_24const_host_device_scalarIT2_EEPKiS6_PKS3_S8_S4_PS3_21rocsparse_index_base_b
		.amdhsa_group_segment_fixed_size 0
		.amdhsa_private_segment_fixed_size 0
		.amdhsa_kernarg_size 72
		.amdhsa_user_sgpr_count 15
		.amdhsa_user_sgpr_dispatch_ptr 0
		.amdhsa_user_sgpr_queue_ptr 0
		.amdhsa_user_sgpr_kernarg_segment_ptr 1
		.amdhsa_user_sgpr_dispatch_id 0
		.amdhsa_user_sgpr_private_segment_size 0
		.amdhsa_wavefront_size32 1
		.amdhsa_uses_dynamic_stack 0
		.amdhsa_enable_private_segment 0
		.amdhsa_system_sgpr_workgroup_id_x 1
		.amdhsa_system_sgpr_workgroup_id_y 0
		.amdhsa_system_sgpr_workgroup_id_z 0
		.amdhsa_system_sgpr_workgroup_info 0
		.amdhsa_system_vgpr_workitem_id 0
		.amdhsa_next_free_vgpr 23
		.amdhsa_next_free_sgpr 20
		.amdhsa_reserve_vcc 1
		.amdhsa_float_round_mode_32 0
		.amdhsa_float_round_mode_16_64 0
		.amdhsa_float_denorm_mode_32 3
		.amdhsa_float_denorm_mode_16_64 3
		.amdhsa_dx10_clamp 1
		.amdhsa_ieee_mode 1
		.amdhsa_fp16_overflow 0
		.amdhsa_workgroup_processor_mode 1
		.amdhsa_memory_ordered 1
		.amdhsa_forward_progress 0
		.amdhsa_shared_vgpr_count 0
		.amdhsa_exception_fp_ieee_invalid_op 0
		.amdhsa_exception_fp_denorm_src 0
		.amdhsa_exception_fp_ieee_div_zero 0
		.amdhsa_exception_fp_ieee_overflow 0
		.amdhsa_exception_fp_ieee_underflow 0
		.amdhsa_exception_fp_ieee_inexact 0
		.amdhsa_exception_int_div_zero 0
	.end_amdhsa_kernel
	.section	.text._ZN9rocsparseL19gebsrmvn_4xn_kernelILj128ELj2ELj32EfEEvi20rocsparse_direction_NS_24const_host_device_scalarIT2_EEPKiS6_PKS3_S8_S4_PS3_21rocsparse_index_base_b,"axG",@progbits,_ZN9rocsparseL19gebsrmvn_4xn_kernelILj128ELj2ELj32EfEEvi20rocsparse_direction_NS_24const_host_device_scalarIT2_EEPKiS6_PKS3_S8_S4_PS3_21rocsparse_index_base_b,comdat
.Lfunc_end8:
	.size	_ZN9rocsparseL19gebsrmvn_4xn_kernelILj128ELj2ELj32EfEEvi20rocsparse_direction_NS_24const_host_device_scalarIT2_EEPKiS6_PKS3_S8_S4_PS3_21rocsparse_index_base_b, .Lfunc_end8-_ZN9rocsparseL19gebsrmvn_4xn_kernelILj128ELj2ELj32EfEEvi20rocsparse_direction_NS_24const_host_device_scalarIT2_EEPKiS6_PKS3_S8_S4_PS3_21rocsparse_index_base_b
                                        ; -- End function
	.section	.AMDGPU.csdata,"",@progbits
; Kernel info:
; codeLenInByte = 1444
; NumSgprs: 22
; NumVgprs: 23
; ScratchSize: 0
; MemoryBound: 0
; FloatMode: 240
; IeeeMode: 1
; LDSByteSize: 0 bytes/workgroup (compile time only)
; SGPRBlocks: 2
; VGPRBlocks: 2
; NumSGPRsForWavesPerEU: 22
; NumVGPRsForWavesPerEU: 23
; Occupancy: 16
; WaveLimiterHint : 1
; COMPUTE_PGM_RSRC2:SCRATCH_EN: 0
; COMPUTE_PGM_RSRC2:USER_SGPR: 15
; COMPUTE_PGM_RSRC2:TRAP_HANDLER: 0
; COMPUTE_PGM_RSRC2:TGID_X_EN: 1
; COMPUTE_PGM_RSRC2:TGID_Y_EN: 0
; COMPUTE_PGM_RSRC2:TGID_Z_EN: 0
; COMPUTE_PGM_RSRC2:TIDIG_COMP_CNT: 0
	.section	.text._ZN9rocsparseL19gebsrmvn_4xn_kernelILj128ELj2ELj64EfEEvi20rocsparse_direction_NS_24const_host_device_scalarIT2_EEPKiS6_PKS3_S8_S4_PS3_21rocsparse_index_base_b,"axG",@progbits,_ZN9rocsparseL19gebsrmvn_4xn_kernelILj128ELj2ELj64EfEEvi20rocsparse_direction_NS_24const_host_device_scalarIT2_EEPKiS6_PKS3_S8_S4_PS3_21rocsparse_index_base_b,comdat
	.globl	_ZN9rocsparseL19gebsrmvn_4xn_kernelILj128ELj2ELj64EfEEvi20rocsparse_direction_NS_24const_host_device_scalarIT2_EEPKiS6_PKS3_S8_S4_PS3_21rocsparse_index_base_b ; -- Begin function _ZN9rocsparseL19gebsrmvn_4xn_kernelILj128ELj2ELj64EfEEvi20rocsparse_direction_NS_24const_host_device_scalarIT2_EEPKiS6_PKS3_S8_S4_PS3_21rocsparse_index_base_b
	.p2align	8
	.type	_ZN9rocsparseL19gebsrmvn_4xn_kernelILj128ELj2ELj64EfEEvi20rocsparse_direction_NS_24const_host_device_scalarIT2_EEPKiS6_PKS3_S8_S4_PS3_21rocsparse_index_base_b,@function
_ZN9rocsparseL19gebsrmvn_4xn_kernelILj128ELj2ELj64EfEEvi20rocsparse_direction_NS_24const_host_device_scalarIT2_EEPKiS6_PKS3_S8_S4_PS3_21rocsparse_index_base_b: ; @_ZN9rocsparseL19gebsrmvn_4xn_kernelILj128ELj2ELj64EfEEvi20rocsparse_direction_NS_24const_host_device_scalarIT2_EEPKiS6_PKS3_S8_S4_PS3_21rocsparse_index_base_b
; %bb.0:
	s_clause 0x2
	s_load_b64 s[18:19], s[0:1], 0x40
	s_load_b64 s[16:17], s[0:1], 0x8
	;; [unrolled: 1-line block ×3, first 2 shown]
	s_waitcnt lgkmcnt(0)
	s_bitcmp1_b32 s19, 0
	s_cselect_b32 s2, -1, 0
	s_delay_alu instid0(SALU_CYCLE_1)
	s_and_b32 vcc_lo, exec_lo, s2
	s_xor_b32 s2, s2, -1
	s_cbranch_vccnz .LBB9_2
; %bb.1:
	s_load_b32 s16, s[16:17], 0x0
.LBB9_2:
	s_and_not1_b32 vcc_lo, exec_lo, s2
	s_cbranch_vccnz .LBB9_4
; %bb.3:
	s_load_b32 s12, s[12:13], 0x0
.LBB9_4:
	s_waitcnt lgkmcnt(0)
	v_cmp_eq_f32_e64 s2, s16, 0
	v_cmp_eq_f32_e64 s3, s12, 1.0
	s_delay_alu instid0(VALU_DEP_1) | instskip(NEXT) | instid1(SALU_CYCLE_1)
	s_and_b32 s2, s2, s3
	s_and_b32 vcc_lo, exec_lo, s2
	s_cbranch_vccnz .LBB9_23
; %bb.5:
	s_load_b64 s[2:3], s[0:1], 0x0
	v_lshrrev_b32_e32 v1, 6, v0
	s_delay_alu instid0(VALU_DEP_1) | instskip(SKIP_1) | instid1(VALU_DEP_1)
	v_lshl_or_b32 v4, s15, 1, v1
	s_waitcnt lgkmcnt(0)
	v_cmp_gt_i32_e32 vcc_lo, s2, v4
	s_and_saveexec_b32 s2, vcc_lo
	s_cbranch_execz .LBB9_23
; %bb.6:
	s_load_b256 s[4:11], s[0:1], 0x10
	v_ashrrev_i32_e32 v5, 31, v4
	v_and_b32_e32 v7, 63, v0
	s_cmp_lg_u32 s3, 0
	s_delay_alu instid0(VALU_DEP_2) | instskip(SKIP_1) | instid1(VALU_DEP_1)
	v_lshlrev_b64 v[1:2], 2, v[4:5]
	s_waitcnt lgkmcnt(0)
	v_add_co_u32 v1, vcc_lo, s4, v1
	s_delay_alu instid0(VALU_DEP_2) | instskip(SKIP_4) | instid1(VALU_DEP_2)
	v_add_co_ci_u32_e32 v2, vcc_lo, s5, v2, vcc_lo
	global_load_b64 v[1:2], v[1:2], off
	s_waitcnt vmcnt(0)
	v_subrev_nc_u32_e32 v0, s18, v1
	v_subrev_nc_u32_e32 v12, s18, v2
	v_add_nc_u32_e32 v0, v0, v7
	s_delay_alu instid0(VALU_DEP_1)
	v_cmp_lt_i32_e64 s2, v0, v12
	s_cbranch_scc0 .LBB9_12
; %bb.7:
	v_dual_mov_b32 v8, 0 :: v_dual_mov_b32 v9, 0
	v_dual_mov_b32 v10, 0 :: v_dual_mov_b32 v11, 0
	s_mov_b32 s3, 0
	s_and_saveexec_b32 s4, s2
	s_cbranch_execz .LBB9_11
; %bb.8:
	v_dual_mov_b32 v2, 0 :: v_dual_lshlrev_b32 v1, 3, v0
	v_mov_b32_e32 v5, v0
	s_mov_b32 s5, 0
	s_delay_alu instid0(VALU_DEP_2)
	v_mov_b32_e32 v8, v2
	v_mov_b32_e32 v9, v2
	;; [unrolled: 1-line block ×4, first 2 shown]
	s_set_inst_prefetch_distance 0x1
	.p2align	6
.LBB9_9:                                ; =>This Inner Loop Header: Depth=1
	v_ashrrev_i32_e32 v6, 31, v5
	s_delay_alu instid0(VALU_DEP_1) | instskip(NEXT) | instid1(VALU_DEP_1)
	v_lshlrev_b64 v[13:14], 2, v[5:6]
	v_add_co_u32 v13, vcc_lo, s6, v13
	s_delay_alu instid0(VALU_DEP_2) | instskip(SKIP_2) | instid1(VALU_DEP_1)
	v_add_co_ci_u32_e32 v14, vcc_lo, s7, v14, vcc_lo
	global_load_b32 v3, v[13:14], off
	v_lshlrev_b64 v[13:14], 2, v[1:2]
	v_add_co_u32 v19, vcc_lo, s8, v13
	s_delay_alu instid0(VALU_DEP_2) | instskip(SKIP_3) | instid1(VALU_DEP_1)
	v_add_co_ci_u32_e32 v20, vcc_lo, s9, v14, vcc_lo
	global_load_b128 v[13:16], v[19:20], off offset:16
	s_waitcnt vmcnt(1)
	v_subrev_nc_u32_e32 v3, s18, v3
	v_dual_mov_b32 v18, v2 :: v_dual_lshlrev_b32 v17, 1, v3
	s_delay_alu instid0(VALU_DEP_1) | instskip(NEXT) | instid1(VALU_DEP_1)
	v_lshlrev_b64 v[17:18], 2, v[17:18]
	v_add_co_u32 v21, vcc_lo, s10, v17
	s_delay_alu instid0(VALU_DEP_2)
	v_add_co_ci_u32_e32 v22, vcc_lo, s11, v18, vcc_lo
	global_load_b128 v[17:20], v[19:20], off
	global_load_b64 v[21:22], v[21:22], off
	s_waitcnt vmcnt(0)
	v_fmac_f32_e32 v9, v20, v21
	v_fmac_f32_e32 v10, v19, v21
	;; [unrolled: 1-line block ×3, first 2 shown]
	s_delay_alu instid0(VALU_DEP_3) | instskip(NEXT) | instid1(VALU_DEP_3)
	v_dual_fmac_f32 v8, v17, v21 :: v_dual_fmac_f32 v9, v16, v22
	v_dual_fmac_f32 v10, v15, v22 :: v_dual_add_nc_u32 v5, 64, v5
	s_delay_alu instid0(VALU_DEP_3) | instskip(NEXT) | instid1(VALU_DEP_3)
	v_fmac_f32_e32 v11, v14, v22
	v_dual_fmac_f32 v8, v13, v22 :: v_dual_add_nc_u32 v1, 0x200, v1
	s_delay_alu instid0(VALU_DEP_3) | instskip(SKIP_1) | instid1(SALU_CYCLE_1)
	v_cmp_ge_i32_e32 vcc_lo, v5, v12
	s_or_b32 s5, vcc_lo, s5
	s_and_not1_b32 exec_lo, exec_lo, s5
	s_cbranch_execnz .LBB9_9
; %bb.10:
	s_set_inst_prefetch_distance 0x2
	s_or_b32 exec_lo, exec_lo, s5
.LBB9_11:
	s_delay_alu instid0(SALU_CYCLE_1) | instskip(NEXT) | instid1(SALU_CYCLE_1)
	s_or_b32 exec_lo, exec_lo, s4
	s_and_not1_b32 vcc_lo, exec_lo, s3
	s_cbranch_vccz .LBB9_13
	s_branch .LBB9_18
.LBB9_12:
                                        ; implicit-def: $vgpr8
                                        ; implicit-def: $vgpr9
                                        ; implicit-def: $vgpr10
                                        ; implicit-def: $vgpr11
.LBB9_13:
	v_dual_mov_b32 v8, 0 :: v_dual_mov_b32 v9, 0
	v_dual_mov_b32 v10, 0 :: v_dual_mov_b32 v11, 0
	s_delay_alu instid0(VALU_DEP_3)
	s_and_saveexec_b32 s3, s2
	s_cbranch_execz .LBB9_17
; %bb.14:
	v_dual_mov_b32 v3, 0 :: v_dual_lshlrev_b32 v2, 3, v0
	s_mov_b32 s2, 0
	s_delay_alu instid0(VALU_DEP_1)
	v_mov_b32_e32 v8, v3
	v_mov_b32_e32 v9, v3
	;; [unrolled: 1-line block ×4, first 2 shown]
	s_set_inst_prefetch_distance 0x1
	.p2align	6
.LBB9_15:                               ; =>This Inner Loop Header: Depth=1
	v_ashrrev_i32_e32 v1, 31, v0
	s_delay_alu instid0(VALU_DEP_1) | instskip(NEXT) | instid1(VALU_DEP_1)
	v_lshlrev_b64 v[5:6], 2, v[0:1]
	v_add_co_u32 v5, vcc_lo, s6, v5
	s_delay_alu instid0(VALU_DEP_2) | instskip(SKIP_2) | instid1(VALU_DEP_1)
	v_add_co_ci_u32_e32 v6, vcc_lo, s7, v6, vcc_lo
	global_load_b32 v1, v[5:6], off
	v_lshlrev_b64 v[5:6], 2, v[2:3]
	v_add_co_u32 v5, vcc_lo, s8, v5
	s_delay_alu instid0(VALU_DEP_2) | instskip(SKIP_3) | instid1(VALU_DEP_1)
	v_add_co_ci_u32_e32 v6, vcc_lo, s9, v6, vcc_lo
	global_load_b128 v[13:16], v[5:6], off offset:16
	s_waitcnt vmcnt(1)
	v_subrev_nc_u32_e32 v1, s18, v1
	v_dual_mov_b32 v18, v3 :: v_dual_lshlrev_b32 v17, 1, v1
	s_delay_alu instid0(VALU_DEP_1) | instskip(NEXT) | instid1(VALU_DEP_1)
	v_lshlrev_b64 v[17:18], 2, v[17:18]
	v_add_co_u32 v21, vcc_lo, s10, v17
	s_delay_alu instid0(VALU_DEP_2)
	v_add_co_ci_u32_e32 v22, vcc_lo, s11, v18, vcc_lo
	global_load_b128 v[17:20], v[5:6], off
	global_load_b64 v[5:6], v[21:22], off
	v_add_nc_u32_e32 v0, 64, v0
	s_waitcnt vmcnt(0)
	v_dual_fmac_f32 v11, v19, v5 :: v_dual_add_nc_u32 v2, 0x200, v2
	v_fmac_f32_e32 v8, v17, v5
	v_fmac_f32_e32 v9, v15, v5
	;; [unrolled: 1-line block ×3, first 2 shown]
	v_cmp_ge_i32_e32 vcc_lo, v0, v12
	v_fmac_f32_e32 v11, v20, v6
	v_fmac_f32_e32 v8, v18, v6
	;; [unrolled: 1-line block ×4, first 2 shown]
	s_or_b32 s2, vcc_lo, s2
	s_delay_alu instid0(SALU_CYCLE_1)
	s_and_not1_b32 exec_lo, exec_lo, s2
	s_cbranch_execnz .LBB9_15
; %bb.16:
	s_set_inst_prefetch_distance 0x2
	s_or_b32 exec_lo, exec_lo, s2
.LBB9_17:
	s_delay_alu instid0(SALU_CYCLE_1)
	s_or_b32 exec_lo, exec_lo, s3
.LBB9_18:
	v_mbcnt_lo_u32_b32 v0, -1, 0
	s_mov_b32 s2, -1
	s_delay_alu instid0(VALU_DEP_1) | instskip(SKIP_1) | instid1(VALU_DEP_2)
	v_or_b32_e32 v1, 32, v0
	v_xor_b32_e32 v6, 16, v0
	v_cmp_gt_i32_e32 vcc_lo, 32, v1
	v_cndmask_b32_e32 v1, v0, v1, vcc_lo
	s_delay_alu instid0(VALU_DEP_3) | instskip(SKIP_1) | instid1(VALU_DEP_1)
	v_cmp_gt_i32_e32 vcc_lo, 32, v6
	v_cndmask_b32_e32 v6, v0, v6, vcc_lo
	v_lshlrev_b32_e32 v6, 2, v6
	s_delay_alu instid0(VALU_DEP_4)
	v_lshlrev_b32_e32 v1, 2, v1
	ds_bpermute_b32 v2, v1, v8
	s_waitcnt lgkmcnt(0)
	v_add_f32_e32 v2, v8, v2
	ds_bpermute_b32 v3, v1, v11
	ds_bpermute_b32 v5, v1, v10
	;; [unrolled: 1-line block ×4, first 2 shown]
	s_waitcnt lgkmcnt(3)
	v_add_f32_e32 v3, v11, v3
	s_waitcnt lgkmcnt(2)
	v_add_f32_e32 v5, v10, v5
	;; [unrolled: 2-line block ×3, first 2 shown]
	v_xor_b32_e32 v11, 8, v0
	s_waitcnt lgkmcnt(0)
	v_add_f32_e32 v2, v2, v8
	ds_bpermute_b32 v9, v6, v3
	ds_bpermute_b32 v10, v6, v5
	;; [unrolled: 1-line block ×3, first 2 shown]
	v_cmp_gt_i32_e32 vcc_lo, 32, v11
	v_cndmask_b32_e32 v11, v0, v11, vcc_lo
	s_delay_alu instid0(VALU_DEP_1)
	v_lshlrev_b32_e32 v11, 2, v11
	s_waitcnt lgkmcnt(2)
	v_add_f32_e32 v3, v3, v9
	s_waitcnt lgkmcnt(1)
	v_add_f32_e32 v5, v5, v10
	;; [unrolled: 2-line block ×3, first 2 shown]
	ds_bpermute_b32 v6, v11, v2
	ds_bpermute_b32 v8, v11, v3
	;; [unrolled: 1-line block ×4, first 2 shown]
	v_xor_b32_e32 v11, 4, v0
	s_delay_alu instid0(VALU_DEP_1) | instskip(SKIP_2) | instid1(VALU_DEP_1)
	v_cmp_gt_i32_e32 vcc_lo, 32, v11
	v_cndmask_b32_e32 v11, v0, v11, vcc_lo
	s_waitcnt lgkmcnt(3)
	v_dual_add_f32 v2, v2, v6 :: v_dual_lshlrev_b32 v11, 2, v11
	s_waitcnt lgkmcnt(2)
	v_add_f32_e32 v3, v3, v8
	s_waitcnt lgkmcnt(1)
	v_add_f32_e32 v5, v5, v9
	;; [unrolled: 2-line block ×3, first 2 shown]
	ds_bpermute_b32 v6, v11, v2
	ds_bpermute_b32 v8, v11, v3
	;; [unrolled: 1-line block ×4, first 2 shown]
	v_xor_b32_e32 v11, 2, v0
	s_delay_alu instid0(VALU_DEP_1) | instskip(SKIP_2) | instid1(VALU_DEP_1)
	v_cmp_gt_i32_e32 vcc_lo, 32, v11
	v_cndmask_b32_e32 v11, v0, v11, vcc_lo
	s_waitcnt lgkmcnt(3)
	v_dual_add_f32 v2, v2, v6 :: v_dual_lshlrev_b32 v11, 2, v11
	s_waitcnt lgkmcnt(2)
	v_add_f32_e32 v3, v3, v8
	s_waitcnt lgkmcnt(1)
	v_add_f32_e32 v5, v5, v9
	;; [unrolled: 2-line block ×3, first 2 shown]
	ds_bpermute_b32 v1, v11, v2
	ds_bpermute_b32 v8, v11, v3
	;; [unrolled: 1-line block ×4, first 2 shown]
	v_xor_b32_e32 v11, 1, v0
	s_delay_alu instid0(VALU_DEP_1) | instskip(SKIP_3) | instid1(VALU_DEP_2)
	v_cmp_gt_i32_e32 vcc_lo, 32, v11
	v_cndmask_b32_e32 v0, v0, v11, vcc_lo
	v_cmp_eq_u32_e32 vcc_lo, 63, v7
	s_waitcnt lgkmcnt(3)
	v_dual_add_f32 v0, v2, v1 :: v_dual_lshlrev_b32 v11, 2, v0
	s_waitcnt lgkmcnt(1)
	v_dual_add_f32 v1, v3, v8 :: v_dual_add_f32 v2, v5, v9
	s_waitcnt lgkmcnt(0)
	v_add_f32_e32 v3, v6, v10
	ds_bpermute_b32 v5, v11, v0
	ds_bpermute_b32 v6, v11, v1
	;; [unrolled: 1-line block ×4, first 2 shown]
	s_and_b32 exec_lo, exec_lo, vcc_lo
	s_cbranch_execz .LBB9_23
; %bb.19:
	s_load_b64 s[0:1], s[0:1], 0x38
	s_waitcnt lgkmcnt(0)
	v_dual_add_f32 v0, v0, v5 :: v_dual_add_f32 v1, v1, v6
	v_dual_add_f32 v2, v2, v8 :: v_dual_add_f32 v3, v3, v9
	v_cmp_eq_f32_e64 s3, s12, 0
	s_delay_alu instid0(VALU_DEP_3) | instskip(NEXT) | instid1(VALU_DEP_3)
	v_dual_mul_f32 v0, s16, v0 :: v_dual_mul_f32 v1, s16, v1
	v_dual_mul_f32 v2, s16, v2 :: v_dual_mul_f32 v3, s16, v3
	v_lshlrev_b32_e32 v4, 2, v4
	s_delay_alu instid0(VALU_DEP_4)
	s_and_b32 vcc_lo, exec_lo, s3
	s_cbranch_vccz .LBB9_21
; %bb.20:
	s_delay_alu instid0(VALU_DEP_1) | instskip(SKIP_1) | instid1(VALU_DEP_1)
	v_ashrrev_i32_e32 v5, 31, v4
	s_mov_b32 s2, 0
	v_lshlrev_b64 v[5:6], 2, v[4:5]
	s_delay_alu instid0(VALU_DEP_1) | instskip(NEXT) | instid1(VALU_DEP_2)
	v_add_co_u32 v5, vcc_lo, s0, v5
	v_add_co_ci_u32_e32 v6, vcc_lo, s1, v6, vcc_lo
	global_store_b128 v[5:6], v[0:3], off
.LBB9_21:
	s_and_not1_b32 vcc_lo, exec_lo, s2
	s_cbranch_vccnz .LBB9_23
; %bb.22:
	v_ashrrev_i32_e32 v5, 31, v4
	s_delay_alu instid0(VALU_DEP_1) | instskip(NEXT) | instid1(VALU_DEP_1)
	v_lshlrev_b64 v[4:5], 2, v[4:5]
	v_add_co_u32 v8, vcc_lo, s0, v4
	s_delay_alu instid0(VALU_DEP_2)
	v_add_co_ci_u32_e32 v9, vcc_lo, s1, v5, vcc_lo
	global_load_b128 v[4:7], v[8:9], off
	s_waitcnt vmcnt(0)
	v_dual_fmac_f32 v0, s12, v4 :: v_dual_fmac_f32 v1, s12, v5
	v_dual_fmac_f32 v2, s12, v6 :: v_dual_fmac_f32 v3, s12, v7
	global_store_b128 v[8:9], v[0:3], off
.LBB9_23:
	s_nop 0
	s_sendmsg sendmsg(MSG_DEALLOC_VGPRS)
	s_endpgm
	.section	.rodata,"a",@progbits
	.p2align	6, 0x0
	.amdhsa_kernel _ZN9rocsparseL19gebsrmvn_4xn_kernelILj128ELj2ELj64EfEEvi20rocsparse_direction_NS_24const_host_device_scalarIT2_EEPKiS6_PKS3_S8_S4_PS3_21rocsparse_index_base_b
		.amdhsa_group_segment_fixed_size 0
		.amdhsa_private_segment_fixed_size 0
		.amdhsa_kernarg_size 72
		.amdhsa_user_sgpr_count 15
		.amdhsa_user_sgpr_dispatch_ptr 0
		.amdhsa_user_sgpr_queue_ptr 0
		.amdhsa_user_sgpr_kernarg_segment_ptr 1
		.amdhsa_user_sgpr_dispatch_id 0
		.amdhsa_user_sgpr_private_segment_size 0
		.amdhsa_wavefront_size32 1
		.amdhsa_uses_dynamic_stack 0
		.amdhsa_enable_private_segment 0
		.amdhsa_system_sgpr_workgroup_id_x 1
		.amdhsa_system_sgpr_workgroup_id_y 0
		.amdhsa_system_sgpr_workgroup_id_z 0
		.amdhsa_system_sgpr_workgroup_info 0
		.amdhsa_system_vgpr_workitem_id 0
		.amdhsa_next_free_vgpr 23
		.amdhsa_next_free_sgpr 20
		.amdhsa_reserve_vcc 1
		.amdhsa_float_round_mode_32 0
		.amdhsa_float_round_mode_16_64 0
		.amdhsa_float_denorm_mode_32 3
		.amdhsa_float_denorm_mode_16_64 3
		.amdhsa_dx10_clamp 1
		.amdhsa_ieee_mode 1
		.amdhsa_fp16_overflow 0
		.amdhsa_workgroup_processor_mode 1
		.amdhsa_memory_ordered 1
		.amdhsa_forward_progress 0
		.amdhsa_shared_vgpr_count 0
		.amdhsa_exception_fp_ieee_invalid_op 0
		.amdhsa_exception_fp_denorm_src 0
		.amdhsa_exception_fp_ieee_div_zero 0
		.amdhsa_exception_fp_ieee_overflow 0
		.amdhsa_exception_fp_ieee_underflow 0
		.amdhsa_exception_fp_ieee_inexact 0
		.amdhsa_exception_int_div_zero 0
	.end_amdhsa_kernel
	.section	.text._ZN9rocsparseL19gebsrmvn_4xn_kernelILj128ELj2ELj64EfEEvi20rocsparse_direction_NS_24const_host_device_scalarIT2_EEPKiS6_PKS3_S8_S4_PS3_21rocsparse_index_base_b,"axG",@progbits,_ZN9rocsparseL19gebsrmvn_4xn_kernelILj128ELj2ELj64EfEEvi20rocsparse_direction_NS_24const_host_device_scalarIT2_EEPKiS6_PKS3_S8_S4_PS3_21rocsparse_index_base_b,comdat
.Lfunc_end9:
	.size	_ZN9rocsparseL19gebsrmvn_4xn_kernelILj128ELj2ELj64EfEEvi20rocsparse_direction_NS_24const_host_device_scalarIT2_EEPKiS6_PKS3_S8_S4_PS3_21rocsparse_index_base_b, .Lfunc_end9-_ZN9rocsparseL19gebsrmvn_4xn_kernelILj128ELj2ELj64EfEEvi20rocsparse_direction_NS_24const_host_device_scalarIT2_EEPKiS6_PKS3_S8_S4_PS3_21rocsparse_index_base_b
                                        ; -- End function
	.section	.AMDGPU.csdata,"",@progbits
; Kernel info:
; codeLenInByte = 1532
; NumSgprs: 22
; NumVgprs: 23
; ScratchSize: 0
; MemoryBound: 0
; FloatMode: 240
; IeeeMode: 1
; LDSByteSize: 0 bytes/workgroup (compile time only)
; SGPRBlocks: 2
; VGPRBlocks: 2
; NumSGPRsForWavesPerEU: 22
; NumVGPRsForWavesPerEU: 23
; Occupancy: 16
; WaveLimiterHint : 1
; COMPUTE_PGM_RSRC2:SCRATCH_EN: 0
; COMPUTE_PGM_RSRC2:USER_SGPR: 15
; COMPUTE_PGM_RSRC2:TRAP_HANDLER: 0
; COMPUTE_PGM_RSRC2:TGID_X_EN: 1
; COMPUTE_PGM_RSRC2:TGID_Y_EN: 0
; COMPUTE_PGM_RSRC2:TGID_Z_EN: 0
; COMPUTE_PGM_RSRC2:TIDIG_COMP_CNT: 0
	.section	.text._ZN9rocsparseL19gebsrmvn_4xn_kernelILj128ELj3ELj4EfEEvi20rocsparse_direction_NS_24const_host_device_scalarIT2_EEPKiS6_PKS3_S8_S4_PS3_21rocsparse_index_base_b,"axG",@progbits,_ZN9rocsparseL19gebsrmvn_4xn_kernelILj128ELj3ELj4EfEEvi20rocsparse_direction_NS_24const_host_device_scalarIT2_EEPKiS6_PKS3_S8_S4_PS3_21rocsparse_index_base_b,comdat
	.globl	_ZN9rocsparseL19gebsrmvn_4xn_kernelILj128ELj3ELj4EfEEvi20rocsparse_direction_NS_24const_host_device_scalarIT2_EEPKiS6_PKS3_S8_S4_PS3_21rocsparse_index_base_b ; -- Begin function _ZN9rocsparseL19gebsrmvn_4xn_kernelILj128ELj3ELj4EfEEvi20rocsparse_direction_NS_24const_host_device_scalarIT2_EEPKiS6_PKS3_S8_S4_PS3_21rocsparse_index_base_b
	.p2align	8
	.type	_ZN9rocsparseL19gebsrmvn_4xn_kernelILj128ELj3ELj4EfEEvi20rocsparse_direction_NS_24const_host_device_scalarIT2_EEPKiS6_PKS3_S8_S4_PS3_21rocsparse_index_base_b,@function
_ZN9rocsparseL19gebsrmvn_4xn_kernelILj128ELj3ELj4EfEEvi20rocsparse_direction_NS_24const_host_device_scalarIT2_EEPKiS6_PKS3_S8_S4_PS3_21rocsparse_index_base_b: ; @_ZN9rocsparseL19gebsrmvn_4xn_kernelILj128ELj3ELj4EfEEvi20rocsparse_direction_NS_24const_host_device_scalarIT2_EEPKiS6_PKS3_S8_S4_PS3_21rocsparse_index_base_b
; %bb.0:
	s_clause 0x2
	s_load_b64 s[18:19], s[0:1], 0x40
	s_load_b64 s[16:17], s[0:1], 0x8
	;; [unrolled: 1-line block ×3, first 2 shown]
	s_waitcnt lgkmcnt(0)
	s_bitcmp1_b32 s19, 0
	s_cselect_b32 s2, -1, 0
	s_delay_alu instid0(SALU_CYCLE_1)
	s_and_b32 vcc_lo, exec_lo, s2
	s_xor_b32 s2, s2, -1
	s_cbranch_vccnz .LBB10_2
; %bb.1:
	s_load_b32 s16, s[16:17], 0x0
.LBB10_2:
	s_and_not1_b32 vcc_lo, exec_lo, s2
	s_cbranch_vccnz .LBB10_4
; %bb.3:
	s_load_b32 s12, s[12:13], 0x0
.LBB10_4:
	s_waitcnt lgkmcnt(0)
	v_cmp_eq_f32_e64 s2, s16, 0
	v_cmp_eq_f32_e64 s3, s12, 1.0
	s_delay_alu instid0(VALU_DEP_1) | instskip(NEXT) | instid1(SALU_CYCLE_1)
	s_and_b32 s2, s2, s3
	s_and_b32 vcc_lo, exec_lo, s2
	s_cbranch_vccnz .LBB10_23
; %bb.5:
	s_load_b64 s[2:3], s[0:1], 0x0
	v_lshrrev_b32_e32 v1, 2, v0
	s_delay_alu instid0(VALU_DEP_1) | instskip(SKIP_1) | instid1(VALU_DEP_1)
	v_lshl_or_b32 v4, s15, 5, v1
	s_waitcnt lgkmcnt(0)
	v_cmp_gt_i32_e32 vcc_lo, s2, v4
	s_and_saveexec_b32 s2, vcc_lo
	s_cbranch_execz .LBB10_23
; %bb.6:
	s_load_b256 s[4:11], s[0:1], 0x10
	v_ashrrev_i32_e32 v5, 31, v4
	v_and_b32_e32 v7, 3, v0
	s_cmp_lg_u32 s3, 0
	s_delay_alu instid0(VALU_DEP_2) | instskip(SKIP_1) | instid1(VALU_DEP_1)
	v_lshlrev_b64 v[1:2], 2, v[4:5]
	s_waitcnt lgkmcnt(0)
	v_add_co_u32 v1, vcc_lo, s4, v1
	s_delay_alu instid0(VALU_DEP_2) | instskip(SKIP_4) | instid1(VALU_DEP_2)
	v_add_co_ci_u32_e32 v2, vcc_lo, s5, v2, vcc_lo
	global_load_b64 v[1:2], v[1:2], off
	s_waitcnt vmcnt(0)
	v_subrev_nc_u32_e32 v0, s18, v1
	v_subrev_nc_u32_e32 v12, s18, v2
	v_add_nc_u32_e32 v0, v0, v7
	s_delay_alu instid0(VALU_DEP_1)
	v_cmp_lt_i32_e64 s2, v0, v12
	s_cbranch_scc0 .LBB10_12
; %bb.7:
	v_dual_mov_b32 v8, 0 :: v_dual_mov_b32 v9, 0
	v_dual_mov_b32 v10, 0 :: v_dual_mov_b32 v11, 0
	s_mov_b32 s3, 0
	s_and_saveexec_b32 s4, s2
	s_cbranch_execz .LBB10_11
; %bb.8:
	v_dual_mov_b32 v2, 0 :: v_dual_mov_b32 v5, v0
	v_mul_lo_u32 v1, v0, 12
	s_mov_b32 s5, 0
	s_delay_alu instid0(VALU_DEP_2)
	v_mov_b32_e32 v8, v2
	v_mov_b32_e32 v9, v2
	;; [unrolled: 1-line block ×4, first 2 shown]
.LBB10_9:                               ; =>This Inner Loop Header: Depth=1
	v_ashrrev_i32_e32 v6, 31, v5
	v_dual_mov_b32 v16, v2 :: v_dual_add_nc_u32 v15, 4, v1
	v_dual_mov_b32 v18, v2 :: v_dual_add_nc_u32 v17, 8, v1
	s_delay_alu instid0(VALU_DEP_3) | instskip(SKIP_1) | instid1(VALU_DEP_4)
	v_lshlrev_b64 v[13:14], 2, v[5:6]
	v_mov_b32_e32 v26, v2
	v_lshlrev_b64 v[19:20], 2, v[15:16]
	v_add_nc_u32_e32 v5, 4, v5
	v_lshlrev_b64 v[17:18], 2, v[17:18]
	v_add_co_u32 v13, vcc_lo, s6, v13
	v_add_co_ci_u32_e32 v14, vcc_lo, s7, v14, vcc_lo
	global_load_b32 v3, v[13:14], off
	v_lshlrev_b64 v[13:14], 2, v[1:2]
	v_add_nc_u32_e32 v1, 48, v1
	s_delay_alu instid0(VALU_DEP_2) | instskip(NEXT) | instid1(VALU_DEP_3)
	v_add_co_u32 v13, vcc_lo, s8, v13
	v_add_co_ci_u32_e32 v14, vcc_lo, s9, v14, vcc_lo
	v_add_co_u32 v19, vcc_lo, s8, v19
	v_add_co_ci_u32_e32 v20, vcc_lo, s9, v20, vcc_lo
	v_add_co_u32 v27, vcc_lo, s8, v17
	v_add_co_ci_u32_e32 v28, vcc_lo, s9, v18, vcc_lo
	s_clause 0x1
	global_load_b128 v[13:16], v[13:14], off
	global_load_b128 v[17:20], v[19:20], off
	s_waitcnt vmcnt(2)
	v_subrev_nc_u32_e32 v3, s18, v3
	s_delay_alu instid0(VALU_DEP_1) | instskip(SKIP_1) | instid1(VALU_DEP_2)
	v_lshl_add_u32 v21, v3, 1, v3
	v_mov_b32_e32 v22, v2
	v_dual_mov_b32 v24, v2 :: v_dual_add_nc_u32 v25, 2, v21
	v_add_nc_u32_e32 v23, 1, v21
	s_delay_alu instid0(VALU_DEP_3) | instskip(NEXT) | instid1(VALU_DEP_3)
	v_lshlrev_b64 v[21:22], 2, v[21:22]
	v_lshlrev_b64 v[25:26], 2, v[25:26]
	s_delay_alu instid0(VALU_DEP_3) | instskip(NEXT) | instid1(VALU_DEP_3)
	v_lshlrev_b64 v[23:24], 2, v[23:24]
	v_add_co_u32 v21, vcc_lo, s10, v21
	s_delay_alu instid0(VALU_DEP_4)
	v_add_co_ci_u32_e32 v22, vcc_lo, s11, v22, vcc_lo
	global_load_b32 v3, v[21:22], off
	v_add_co_u32 v21, vcc_lo, s10, v23
	v_add_co_ci_u32_e32 v22, vcc_lo, s11, v24, vcc_lo
	v_add_co_u32 v25, vcc_lo, s10, v25
	v_add_co_ci_u32_e32 v26, vcc_lo, s11, v26, vcc_lo
	global_load_b32 v6, v[21:22], off
	global_load_b128 v[21:24], v[27:28], off
	global_load_b32 v25, v[25:26], off
	v_cmp_ge_i32_e32 vcc_lo, v5, v12
	s_or_b32 s5, vcc_lo, s5
	s_waitcnt vmcnt(3)
	v_fmac_f32_e32 v8, v13, v3
	s_waitcnt vmcnt(2)
	s_delay_alu instid0(VALU_DEP_1) | instskip(NEXT) | instid1(VALU_DEP_1)
	v_dual_fmac_f32 v11, v14, v3 :: v_dual_fmac_f32 v8, v17, v6
	v_dual_fmac_f32 v10, v15, v3 :: v_dual_fmac_f32 v11, v18, v6
	s_waitcnt vmcnt(0)
	s_delay_alu instid0(VALU_DEP_2) | instskip(NEXT) | instid1(VALU_DEP_2)
	v_dual_fmac_f32 v9, v16, v3 :: v_dual_fmac_f32 v8, v21, v25
	v_dual_fmac_f32 v10, v19, v6 :: v_dual_fmac_f32 v11, v22, v25
	s_delay_alu instid0(VALU_DEP_1) | instskip(NEXT) | instid1(VALU_DEP_1)
	v_dual_fmac_f32 v9, v20, v6 :: v_dual_fmac_f32 v10, v23, v25
	v_fmac_f32_e32 v9, v24, v25
	s_and_not1_b32 exec_lo, exec_lo, s5
	s_cbranch_execnz .LBB10_9
; %bb.10:
	s_or_b32 exec_lo, exec_lo, s5
.LBB10_11:
	s_delay_alu instid0(SALU_CYCLE_1) | instskip(NEXT) | instid1(SALU_CYCLE_1)
	s_or_b32 exec_lo, exec_lo, s4
	s_and_not1_b32 vcc_lo, exec_lo, s3
	s_cbranch_vccz .LBB10_13
	s_branch .LBB10_18
.LBB10_12:
                                        ; implicit-def: $vgpr8
                                        ; implicit-def: $vgpr9
                                        ; implicit-def: $vgpr10
                                        ; implicit-def: $vgpr11
.LBB10_13:
	v_dual_mov_b32 v8, 0 :: v_dual_mov_b32 v9, 0
	v_dual_mov_b32 v10, 0 :: v_dual_mov_b32 v11, 0
	s_delay_alu instid0(VALU_DEP_3)
	s_and_saveexec_b32 s3, s2
	s_cbranch_execz .LBB10_17
; %bb.14:
	v_mad_u64_u32 v[2:3], null, v0, 12, 11
	v_dual_mov_b32 v6, 0 :: v_dual_mov_b32 v9, 0
	v_dual_mov_b32 v8, 0 :: v_dual_mov_b32 v11, 0
	v_mov_b32_e32 v10, 0
	s_mov_b32 s2, 0
.LBB10_15:                              ; =>This Inner Loop Header: Depth=1
	v_ashrrev_i32_e32 v1, 31, v0
	v_dual_mov_b32 v18, v6 :: v_dual_add_nc_u32 v5, -11, v2
	v_dual_mov_b32 v16, v6 :: v_dual_add_nc_u32 v15, -2, v2
	s_delay_alu instid0(VALU_DEP_3) | instskip(NEXT) | instid1(VALU_DEP_3)
	v_lshlrev_b64 v[13:14], 2, v[0:1]
	v_lshlrev_b64 v[19:20], 2, v[5:6]
	v_dual_mov_b32 v3, v6 :: v_dual_add_nc_u32 v0, 4, v0
	s_delay_alu instid0(VALU_DEP_4) | instskip(NEXT) | instid1(VALU_DEP_4)
	v_lshlrev_b64 v[15:16], 2, v[15:16]
	v_add_co_u32 v13, vcc_lo, s6, v13
	v_add_co_ci_u32_e32 v14, vcc_lo, s7, v14, vcc_lo
	v_add_co_u32 v19, vcc_lo, s8, v19
	v_add_co_ci_u32_e32 v20, vcc_lo, s9, v20, vcc_lo
	global_load_b32 v1, v[13:14], off
	v_dual_mov_b32 v14, v6 :: v_dual_add_nc_u32 v13, -5, v2
	v_lshlrev_b64 v[21:22], 2, v[2:3]
	s_delay_alu instid0(VALU_DEP_2) | instskip(NEXT) | instid1(VALU_DEP_1)
	v_lshlrev_b64 v[13:14], 2, v[13:14]
	v_add_co_u32 v23, vcc_lo, s8, v13
	s_delay_alu instid0(VALU_DEP_2)
	v_add_co_ci_u32_e32 v24, vcc_lo, s9, v14, vcc_lo
	v_add_co_u32 v25, vcc_lo, s8, v15
	v_add_co_ci_u32_e32 v26, vcc_lo, s9, v16, vcc_lo
	s_clause 0x2
	global_load_b128 v[13:16], v[19:20], off
	global_load_b32 v3, v[23:24], off
	global_load_b32 v27, v[25:26], off
	v_add_co_u32 v21, vcc_lo, s8, v21
	v_add_co_ci_u32_e32 v22, vcc_lo, s9, v22, vcc_lo
	s_waitcnt vmcnt(3)
	v_subrev_nc_u32_e32 v1, s18, v1
	s_delay_alu instid0(VALU_DEP_1) | instskip(NEXT) | instid1(VALU_DEP_1)
	v_lshl_add_u32 v17, v1, 1, v1
	v_lshlrev_b64 v[18:19], 2, v[17:18]
	s_delay_alu instid0(VALU_DEP_1) | instskip(NEXT) | instid1(VALU_DEP_2)
	v_add_co_u32 v18, vcc_lo, s10, v18
	v_add_co_ci_u32_e32 v19, vcc_lo, s11, v19, vcc_lo
	global_load_b32 v1, v[18:19], off
	s_waitcnt vmcnt(0)
	v_fmac_f32_e32 v9, v27, v1
	v_fmac_f32_e32 v8, v13, v1
	v_add_nc_u32_e32 v5, 1, v17
	v_fmac_f32_e32 v11, v16, v1
	v_fmac_f32_e32 v10, v3, v1
	s_delay_alu instid0(VALU_DEP_3) | instskip(SKIP_1) | instid1(VALU_DEP_1)
	v_lshlrev_b64 v[23:24], 2, v[5:6]
	v_add_nc_u32_e32 v5, -7, v2
	v_lshlrev_b64 v[25:26], 2, v[5:6]
	s_delay_alu instid0(VALU_DEP_3) | instskip(NEXT) | instid1(VALU_DEP_4)
	v_add_co_u32 v18, vcc_lo, s10, v23
	v_add_co_ci_u32_e32 v19, vcc_lo, s11, v24, vcc_lo
	s_delay_alu instid0(VALU_DEP_3) | instskip(SKIP_3) | instid1(VALU_DEP_2)
	v_add_co_u32 v25, vcc_lo, s8, v25
	global_load_b32 v28, v[18:19], off
	v_add_nc_u32_e32 v5, -4, v2
	v_add_co_ci_u32_e32 v26, vcc_lo, s9, v26, vcc_lo
	v_lshlrev_b64 v[23:24], 2, v[5:6]
	v_add_nc_u32_e32 v5, -1, v2
	global_load_b32 v29, v[25:26], off
	v_add_co_u32 v23, vcc_lo, s8, v23
	v_lshlrev_b64 v[18:19], 2, v[5:6]
	v_add_nc_u32_e32 v5, 2, v17
	v_add_co_ci_u32_e32 v24, vcc_lo, s9, v24, vcc_lo
	s_delay_alu instid0(VALU_DEP_3) | instskip(SKIP_4) | instid1(VALU_DEP_2)
	v_add_co_u32 v17, vcc_lo, s8, v18
	global_load_b32 v30, v[23:24], off
	v_lshlrev_b64 v[25:26], 2, v[5:6]
	v_add_nc_u32_e32 v5, -6, v2
	v_add_co_ci_u32_e32 v18, vcc_lo, s9, v19, vcc_lo
	v_lshlrev_b64 v[19:20], 2, v[5:6]
	global_load_b32 v31, v[17:18], off
	v_add_nc_u32_e32 v5, -3, v2
	v_add_co_u32 v17, vcc_lo, s10, v25
	v_add_co_ci_u32_e32 v18, vcc_lo, s11, v26, vcc_lo
	s_delay_alu instid0(VALU_DEP_3) | instskip(SKIP_3) | instid1(VALU_DEP_4)
	v_lshlrev_b64 v[23:24], 2, v[5:6]
	v_add_co_u32 v19, vcc_lo, s8, v19
	v_add_co_ci_u32_e32 v20, vcc_lo, s9, v20, vcc_lo
	v_add_nc_u32_e32 v2, 48, v2
	v_add_co_u32 v23, vcc_lo, s8, v23
	v_add_co_ci_u32_e32 v24, vcc_lo, s9, v24, vcc_lo
	global_load_b32 v5, v[17:18], off
	s_clause 0x2
	global_load_b32 v17, v[19:20], off
	global_load_b32 v18, v[23:24], off
	;; [unrolled: 1-line block ×3, first 2 shown]
	v_cmp_ge_i32_e32 vcc_lo, v0, v12
	s_or_b32 s2, vcc_lo, s2
	s_waitcnt vmcnt(5)
	v_fmac_f32_e32 v10, v30, v28
	s_waitcnt vmcnt(4)
	v_fmac_f32_e32 v9, v31, v28
	v_fmac_f32_e32 v8, v14, v28
	s_waitcnt vmcnt(3)
	s_delay_alu instid0(VALU_DEP_1) | instskip(SKIP_1) | instid1(VALU_DEP_1)
	v_dual_fmac_f32 v11, v29, v28 :: v_dual_fmac_f32 v8, v15, v5
	s_waitcnt vmcnt(2)
	v_fmac_f32_e32 v11, v17, v5
	s_waitcnt vmcnt(1)
	v_fmac_f32_e32 v10, v18, v5
	;; [unrolled: 2-line block ×3, first 2 shown]
	s_and_not1_b32 exec_lo, exec_lo, s2
	s_cbranch_execnz .LBB10_15
; %bb.16:
	s_or_b32 exec_lo, exec_lo, s2
.LBB10_17:
	s_delay_alu instid0(SALU_CYCLE_1)
	s_or_b32 exec_lo, exec_lo, s3
.LBB10_18:
	v_mbcnt_lo_u32_b32 v0, -1, 0
	s_mov_b32 s2, -1
	s_delay_alu instid0(VALU_DEP_1) | instskip(NEXT) | instid1(VALU_DEP_1)
	v_xor_b32_e32 v1, 2, v0
	v_cmp_gt_i32_e32 vcc_lo, 32, v1
	v_cndmask_b32_e32 v1, v0, v1, vcc_lo
	s_delay_alu instid0(VALU_DEP_1)
	v_lshlrev_b32_e32 v1, 2, v1
	ds_bpermute_b32 v2, v1, v8
	ds_bpermute_b32 v3, v1, v11
	ds_bpermute_b32 v5, v1, v10
	ds_bpermute_b32 v6, v1, v9
	v_xor_b32_e32 v1, 1, v0
	s_delay_alu instid0(VALU_DEP_1) | instskip(SKIP_3) | instid1(VALU_DEP_2)
	v_cmp_gt_i32_e32 vcc_lo, 32, v1
	v_cndmask_b32_e32 v0, v0, v1, vcc_lo
	v_cmp_eq_u32_e32 vcc_lo, 3, v7
	s_waitcnt lgkmcnt(2)
	v_dual_add_f32 v1, v11, v3 :: v_dual_lshlrev_b32 v12, 2, v0
	v_add_f32_e32 v0, v8, v2
	s_waitcnt lgkmcnt(0)
	v_dual_add_f32 v2, v10, v5 :: v_dual_add_f32 v3, v9, v6
	ds_bpermute_b32 v6, v12, v1
	ds_bpermute_b32 v5, v12, v0
	;; [unrolled: 1-line block ×4, first 2 shown]
	s_and_b32 exec_lo, exec_lo, vcc_lo
	s_cbranch_execz .LBB10_23
; %bb.19:
	s_load_b64 s[0:1], s[0:1], 0x38
	s_waitcnt lgkmcnt(0)
	v_dual_add_f32 v0, v0, v5 :: v_dual_add_f32 v1, v1, v6
	v_dual_add_f32 v2, v2, v8 :: v_dual_add_f32 v3, v3, v9
	v_cmp_eq_f32_e64 s3, s12, 0
	s_delay_alu instid0(VALU_DEP_3) | instskip(NEXT) | instid1(VALU_DEP_3)
	v_dual_mul_f32 v0, s16, v0 :: v_dual_mul_f32 v1, s16, v1
	v_dual_mul_f32 v2, s16, v2 :: v_dual_mul_f32 v3, s16, v3
	v_lshlrev_b32_e32 v4, 2, v4
	s_delay_alu instid0(VALU_DEP_4)
	s_and_b32 vcc_lo, exec_lo, s3
	s_cbranch_vccz .LBB10_21
; %bb.20:
	s_delay_alu instid0(VALU_DEP_1) | instskip(SKIP_1) | instid1(VALU_DEP_1)
	v_ashrrev_i32_e32 v5, 31, v4
	s_mov_b32 s2, 0
	v_lshlrev_b64 v[5:6], 2, v[4:5]
	s_delay_alu instid0(VALU_DEP_1) | instskip(NEXT) | instid1(VALU_DEP_2)
	v_add_co_u32 v5, vcc_lo, s0, v5
	v_add_co_ci_u32_e32 v6, vcc_lo, s1, v6, vcc_lo
	global_store_b128 v[5:6], v[0:3], off
.LBB10_21:
	s_and_not1_b32 vcc_lo, exec_lo, s2
	s_cbranch_vccnz .LBB10_23
; %bb.22:
	v_ashrrev_i32_e32 v5, 31, v4
	s_delay_alu instid0(VALU_DEP_1) | instskip(NEXT) | instid1(VALU_DEP_1)
	v_lshlrev_b64 v[4:5], 2, v[4:5]
	v_add_co_u32 v8, vcc_lo, s0, v4
	s_delay_alu instid0(VALU_DEP_2)
	v_add_co_ci_u32_e32 v9, vcc_lo, s1, v5, vcc_lo
	global_load_b128 v[4:7], v[8:9], off
	s_waitcnt vmcnt(0)
	v_dual_fmac_f32 v0, s12, v4 :: v_dual_fmac_f32 v1, s12, v5
	v_dual_fmac_f32 v2, s12, v6 :: v_dual_fmac_f32 v3, s12, v7
	global_store_b128 v[8:9], v[0:3], off
.LBB10_23:
	s_nop 0
	s_sendmsg sendmsg(MSG_DEALLOC_VGPRS)
	s_endpgm
	.section	.rodata,"a",@progbits
	.p2align	6, 0x0
	.amdhsa_kernel _ZN9rocsparseL19gebsrmvn_4xn_kernelILj128ELj3ELj4EfEEvi20rocsparse_direction_NS_24const_host_device_scalarIT2_EEPKiS6_PKS3_S8_S4_PS3_21rocsparse_index_base_b
		.amdhsa_group_segment_fixed_size 0
		.amdhsa_private_segment_fixed_size 0
		.amdhsa_kernarg_size 72
		.amdhsa_user_sgpr_count 15
		.amdhsa_user_sgpr_dispatch_ptr 0
		.amdhsa_user_sgpr_queue_ptr 0
		.amdhsa_user_sgpr_kernarg_segment_ptr 1
		.amdhsa_user_sgpr_dispatch_id 0
		.amdhsa_user_sgpr_private_segment_size 0
		.amdhsa_wavefront_size32 1
		.amdhsa_uses_dynamic_stack 0
		.amdhsa_enable_private_segment 0
		.amdhsa_system_sgpr_workgroup_id_x 1
		.amdhsa_system_sgpr_workgroup_id_y 0
		.amdhsa_system_sgpr_workgroup_id_z 0
		.amdhsa_system_sgpr_workgroup_info 0
		.amdhsa_system_vgpr_workitem_id 0
		.amdhsa_next_free_vgpr 32
		.amdhsa_next_free_sgpr 20
		.amdhsa_reserve_vcc 1
		.amdhsa_float_round_mode_32 0
		.amdhsa_float_round_mode_16_64 0
		.amdhsa_float_denorm_mode_32 3
		.amdhsa_float_denorm_mode_16_64 3
		.amdhsa_dx10_clamp 1
		.amdhsa_ieee_mode 1
		.amdhsa_fp16_overflow 0
		.amdhsa_workgroup_processor_mode 1
		.amdhsa_memory_ordered 1
		.amdhsa_forward_progress 0
		.amdhsa_shared_vgpr_count 0
		.amdhsa_exception_fp_ieee_invalid_op 0
		.amdhsa_exception_fp_denorm_src 0
		.amdhsa_exception_fp_ieee_div_zero 0
		.amdhsa_exception_fp_ieee_overflow 0
		.amdhsa_exception_fp_ieee_underflow 0
		.amdhsa_exception_fp_ieee_inexact 0
		.amdhsa_exception_int_div_zero 0
	.end_amdhsa_kernel
	.section	.text._ZN9rocsparseL19gebsrmvn_4xn_kernelILj128ELj3ELj4EfEEvi20rocsparse_direction_NS_24const_host_device_scalarIT2_EEPKiS6_PKS3_S8_S4_PS3_21rocsparse_index_base_b,"axG",@progbits,_ZN9rocsparseL19gebsrmvn_4xn_kernelILj128ELj3ELj4EfEEvi20rocsparse_direction_NS_24const_host_device_scalarIT2_EEPKiS6_PKS3_S8_S4_PS3_21rocsparse_index_base_b,comdat
.Lfunc_end10:
	.size	_ZN9rocsparseL19gebsrmvn_4xn_kernelILj128ELj3ELj4EfEEvi20rocsparse_direction_NS_24const_host_device_scalarIT2_EEPKiS6_PKS3_S8_S4_PS3_21rocsparse_index_base_b, .Lfunc_end10-_ZN9rocsparseL19gebsrmvn_4xn_kernelILj128ELj3ELj4EfEEvi20rocsparse_direction_NS_24const_host_device_scalarIT2_EEPKiS6_PKS3_S8_S4_PS3_21rocsparse_index_base_b
                                        ; -- End function
	.section	.AMDGPU.csdata,"",@progbits
; Kernel info:
; codeLenInByte = 1744
; NumSgprs: 22
; NumVgprs: 32
; ScratchSize: 0
; MemoryBound: 0
; FloatMode: 240
; IeeeMode: 1
; LDSByteSize: 0 bytes/workgroup (compile time only)
; SGPRBlocks: 2
; VGPRBlocks: 3
; NumSGPRsForWavesPerEU: 22
; NumVGPRsForWavesPerEU: 32
; Occupancy: 16
; WaveLimiterHint : 1
; COMPUTE_PGM_RSRC2:SCRATCH_EN: 0
; COMPUTE_PGM_RSRC2:USER_SGPR: 15
; COMPUTE_PGM_RSRC2:TRAP_HANDLER: 0
; COMPUTE_PGM_RSRC2:TGID_X_EN: 1
; COMPUTE_PGM_RSRC2:TGID_Y_EN: 0
; COMPUTE_PGM_RSRC2:TGID_Z_EN: 0
; COMPUTE_PGM_RSRC2:TIDIG_COMP_CNT: 0
	.section	.text._ZN9rocsparseL19gebsrmvn_4xn_kernelILj128ELj3ELj8EfEEvi20rocsparse_direction_NS_24const_host_device_scalarIT2_EEPKiS6_PKS3_S8_S4_PS3_21rocsparse_index_base_b,"axG",@progbits,_ZN9rocsparseL19gebsrmvn_4xn_kernelILj128ELj3ELj8EfEEvi20rocsparse_direction_NS_24const_host_device_scalarIT2_EEPKiS6_PKS3_S8_S4_PS3_21rocsparse_index_base_b,comdat
	.globl	_ZN9rocsparseL19gebsrmvn_4xn_kernelILj128ELj3ELj8EfEEvi20rocsparse_direction_NS_24const_host_device_scalarIT2_EEPKiS6_PKS3_S8_S4_PS3_21rocsparse_index_base_b ; -- Begin function _ZN9rocsparseL19gebsrmvn_4xn_kernelILj128ELj3ELj8EfEEvi20rocsparse_direction_NS_24const_host_device_scalarIT2_EEPKiS6_PKS3_S8_S4_PS3_21rocsparse_index_base_b
	.p2align	8
	.type	_ZN9rocsparseL19gebsrmvn_4xn_kernelILj128ELj3ELj8EfEEvi20rocsparse_direction_NS_24const_host_device_scalarIT2_EEPKiS6_PKS3_S8_S4_PS3_21rocsparse_index_base_b,@function
_ZN9rocsparseL19gebsrmvn_4xn_kernelILj128ELj3ELj8EfEEvi20rocsparse_direction_NS_24const_host_device_scalarIT2_EEPKiS6_PKS3_S8_S4_PS3_21rocsparse_index_base_b: ; @_ZN9rocsparseL19gebsrmvn_4xn_kernelILj128ELj3ELj8EfEEvi20rocsparse_direction_NS_24const_host_device_scalarIT2_EEPKiS6_PKS3_S8_S4_PS3_21rocsparse_index_base_b
; %bb.0:
	s_clause 0x2
	s_load_b64 s[18:19], s[0:1], 0x40
	s_load_b64 s[16:17], s[0:1], 0x8
	;; [unrolled: 1-line block ×3, first 2 shown]
	s_waitcnt lgkmcnt(0)
	s_bitcmp1_b32 s19, 0
	s_cselect_b32 s2, -1, 0
	s_delay_alu instid0(SALU_CYCLE_1)
	s_and_b32 vcc_lo, exec_lo, s2
	s_xor_b32 s2, s2, -1
	s_cbranch_vccnz .LBB11_2
; %bb.1:
	s_load_b32 s16, s[16:17], 0x0
.LBB11_2:
	s_and_not1_b32 vcc_lo, exec_lo, s2
	s_cbranch_vccnz .LBB11_4
; %bb.3:
	s_load_b32 s12, s[12:13], 0x0
.LBB11_4:
	s_waitcnt lgkmcnt(0)
	v_cmp_eq_f32_e64 s2, s16, 0
	v_cmp_eq_f32_e64 s3, s12, 1.0
	s_delay_alu instid0(VALU_DEP_1) | instskip(NEXT) | instid1(SALU_CYCLE_1)
	s_and_b32 s2, s2, s3
	s_and_b32 vcc_lo, exec_lo, s2
	s_cbranch_vccnz .LBB11_23
; %bb.5:
	s_load_b64 s[2:3], s[0:1], 0x0
	v_lshrrev_b32_e32 v1, 3, v0
	s_delay_alu instid0(VALU_DEP_1) | instskip(SKIP_1) | instid1(VALU_DEP_1)
	v_lshl_or_b32 v4, s15, 4, v1
	s_waitcnt lgkmcnt(0)
	v_cmp_gt_i32_e32 vcc_lo, s2, v4
	s_and_saveexec_b32 s2, vcc_lo
	s_cbranch_execz .LBB11_23
; %bb.6:
	s_load_b256 s[4:11], s[0:1], 0x10
	v_ashrrev_i32_e32 v5, 31, v4
	v_and_b32_e32 v7, 7, v0
	s_cmp_lg_u32 s3, 0
	s_delay_alu instid0(VALU_DEP_2) | instskip(SKIP_1) | instid1(VALU_DEP_1)
	v_lshlrev_b64 v[1:2], 2, v[4:5]
	s_waitcnt lgkmcnt(0)
	v_add_co_u32 v1, vcc_lo, s4, v1
	s_delay_alu instid0(VALU_DEP_2) | instskip(SKIP_4) | instid1(VALU_DEP_2)
	v_add_co_ci_u32_e32 v2, vcc_lo, s5, v2, vcc_lo
	global_load_b64 v[1:2], v[1:2], off
	s_waitcnt vmcnt(0)
	v_subrev_nc_u32_e32 v0, s18, v1
	v_subrev_nc_u32_e32 v12, s18, v2
	v_add_nc_u32_e32 v0, v0, v7
	s_delay_alu instid0(VALU_DEP_1)
	v_cmp_lt_i32_e64 s2, v0, v12
	s_cbranch_scc0 .LBB11_12
; %bb.7:
	v_dual_mov_b32 v8, 0 :: v_dual_mov_b32 v9, 0
	v_dual_mov_b32 v10, 0 :: v_dual_mov_b32 v11, 0
	s_mov_b32 s3, 0
	s_and_saveexec_b32 s4, s2
	s_cbranch_execz .LBB11_11
; %bb.8:
	v_dual_mov_b32 v2, 0 :: v_dual_mov_b32 v5, v0
	v_mul_lo_u32 v1, v0, 12
	s_mov_b32 s5, 0
	s_delay_alu instid0(VALU_DEP_2)
	v_mov_b32_e32 v8, v2
	v_mov_b32_e32 v9, v2
	;; [unrolled: 1-line block ×4, first 2 shown]
.LBB11_9:                               ; =>This Inner Loop Header: Depth=1
	v_ashrrev_i32_e32 v6, 31, v5
	v_dual_mov_b32 v16, v2 :: v_dual_add_nc_u32 v15, 4, v1
	v_dual_mov_b32 v18, v2 :: v_dual_add_nc_u32 v17, 8, v1
	s_delay_alu instid0(VALU_DEP_3) | instskip(SKIP_1) | instid1(VALU_DEP_4)
	v_lshlrev_b64 v[13:14], 2, v[5:6]
	v_mov_b32_e32 v26, v2
	v_lshlrev_b64 v[19:20], 2, v[15:16]
	v_add_nc_u32_e32 v5, 8, v5
	v_lshlrev_b64 v[17:18], 2, v[17:18]
	v_add_co_u32 v13, vcc_lo, s6, v13
	v_add_co_ci_u32_e32 v14, vcc_lo, s7, v14, vcc_lo
	global_load_b32 v3, v[13:14], off
	v_lshlrev_b64 v[13:14], 2, v[1:2]
	v_add_nc_u32_e32 v1, 0x60, v1
	s_delay_alu instid0(VALU_DEP_2) | instskip(NEXT) | instid1(VALU_DEP_3)
	v_add_co_u32 v13, vcc_lo, s8, v13
	v_add_co_ci_u32_e32 v14, vcc_lo, s9, v14, vcc_lo
	v_add_co_u32 v19, vcc_lo, s8, v19
	v_add_co_ci_u32_e32 v20, vcc_lo, s9, v20, vcc_lo
	;; [unrolled: 2-line block ×3, first 2 shown]
	s_clause 0x1
	global_load_b128 v[13:16], v[13:14], off
	global_load_b128 v[17:20], v[19:20], off
	s_waitcnt vmcnt(2)
	v_subrev_nc_u32_e32 v3, s18, v3
	s_delay_alu instid0(VALU_DEP_1) | instskip(SKIP_1) | instid1(VALU_DEP_2)
	v_lshl_add_u32 v21, v3, 1, v3
	v_mov_b32_e32 v22, v2
	v_dual_mov_b32 v24, v2 :: v_dual_add_nc_u32 v25, 2, v21
	v_add_nc_u32_e32 v23, 1, v21
	s_delay_alu instid0(VALU_DEP_3) | instskip(NEXT) | instid1(VALU_DEP_3)
	v_lshlrev_b64 v[21:22], 2, v[21:22]
	v_lshlrev_b64 v[25:26], 2, v[25:26]
	s_delay_alu instid0(VALU_DEP_3) | instskip(NEXT) | instid1(VALU_DEP_3)
	v_lshlrev_b64 v[23:24], 2, v[23:24]
	v_add_co_u32 v21, vcc_lo, s10, v21
	s_delay_alu instid0(VALU_DEP_4)
	v_add_co_ci_u32_e32 v22, vcc_lo, s11, v22, vcc_lo
	global_load_b32 v3, v[21:22], off
	v_add_co_u32 v21, vcc_lo, s10, v23
	v_add_co_ci_u32_e32 v22, vcc_lo, s11, v24, vcc_lo
	v_add_co_u32 v25, vcc_lo, s10, v25
	v_add_co_ci_u32_e32 v26, vcc_lo, s11, v26, vcc_lo
	global_load_b32 v6, v[21:22], off
	global_load_b128 v[21:24], v[27:28], off
	global_load_b32 v25, v[25:26], off
	v_cmp_ge_i32_e32 vcc_lo, v5, v12
	s_or_b32 s5, vcc_lo, s5
	s_waitcnt vmcnt(3)
	v_fmac_f32_e32 v8, v13, v3
	s_waitcnt vmcnt(2)
	s_delay_alu instid0(VALU_DEP_1) | instskip(NEXT) | instid1(VALU_DEP_1)
	v_dual_fmac_f32 v11, v14, v3 :: v_dual_fmac_f32 v8, v17, v6
	v_dual_fmac_f32 v10, v15, v3 :: v_dual_fmac_f32 v11, v18, v6
	s_waitcnt vmcnt(0)
	s_delay_alu instid0(VALU_DEP_2) | instskip(NEXT) | instid1(VALU_DEP_2)
	v_dual_fmac_f32 v9, v16, v3 :: v_dual_fmac_f32 v8, v21, v25
	v_dual_fmac_f32 v10, v19, v6 :: v_dual_fmac_f32 v11, v22, v25
	s_delay_alu instid0(VALU_DEP_1) | instskip(NEXT) | instid1(VALU_DEP_1)
	v_dual_fmac_f32 v9, v20, v6 :: v_dual_fmac_f32 v10, v23, v25
	v_fmac_f32_e32 v9, v24, v25
	s_and_not1_b32 exec_lo, exec_lo, s5
	s_cbranch_execnz .LBB11_9
; %bb.10:
	s_or_b32 exec_lo, exec_lo, s5
.LBB11_11:
	s_delay_alu instid0(SALU_CYCLE_1) | instskip(NEXT) | instid1(SALU_CYCLE_1)
	s_or_b32 exec_lo, exec_lo, s4
	s_and_not1_b32 vcc_lo, exec_lo, s3
	s_cbranch_vccz .LBB11_13
	s_branch .LBB11_18
.LBB11_12:
                                        ; implicit-def: $vgpr8
                                        ; implicit-def: $vgpr9
                                        ; implicit-def: $vgpr10
                                        ; implicit-def: $vgpr11
.LBB11_13:
	v_dual_mov_b32 v8, 0 :: v_dual_mov_b32 v9, 0
	v_dual_mov_b32 v10, 0 :: v_dual_mov_b32 v11, 0
	s_delay_alu instid0(VALU_DEP_3)
	s_and_saveexec_b32 s3, s2
	s_cbranch_execz .LBB11_17
; %bb.14:
	v_mad_u64_u32 v[2:3], null, v0, 12, 11
	v_dual_mov_b32 v6, 0 :: v_dual_mov_b32 v9, 0
	v_dual_mov_b32 v8, 0 :: v_dual_mov_b32 v11, 0
	v_mov_b32_e32 v10, 0
	s_mov_b32 s2, 0
.LBB11_15:                              ; =>This Inner Loop Header: Depth=1
	v_ashrrev_i32_e32 v1, 31, v0
	v_dual_mov_b32 v18, v6 :: v_dual_add_nc_u32 v5, -11, v2
	v_dual_mov_b32 v16, v6 :: v_dual_add_nc_u32 v15, -2, v2
	s_delay_alu instid0(VALU_DEP_3) | instskip(NEXT) | instid1(VALU_DEP_3)
	v_lshlrev_b64 v[13:14], 2, v[0:1]
	v_lshlrev_b64 v[19:20], 2, v[5:6]
	v_dual_mov_b32 v3, v6 :: v_dual_add_nc_u32 v0, 8, v0
	s_delay_alu instid0(VALU_DEP_4) | instskip(NEXT) | instid1(VALU_DEP_4)
	v_lshlrev_b64 v[15:16], 2, v[15:16]
	v_add_co_u32 v13, vcc_lo, s6, v13
	v_add_co_ci_u32_e32 v14, vcc_lo, s7, v14, vcc_lo
	v_add_co_u32 v19, vcc_lo, s8, v19
	v_add_co_ci_u32_e32 v20, vcc_lo, s9, v20, vcc_lo
	global_load_b32 v1, v[13:14], off
	v_dual_mov_b32 v14, v6 :: v_dual_add_nc_u32 v13, -5, v2
	v_lshlrev_b64 v[21:22], 2, v[2:3]
	s_delay_alu instid0(VALU_DEP_2) | instskip(NEXT) | instid1(VALU_DEP_1)
	v_lshlrev_b64 v[13:14], 2, v[13:14]
	v_add_co_u32 v23, vcc_lo, s8, v13
	s_delay_alu instid0(VALU_DEP_2)
	v_add_co_ci_u32_e32 v24, vcc_lo, s9, v14, vcc_lo
	v_add_co_u32 v25, vcc_lo, s8, v15
	v_add_co_ci_u32_e32 v26, vcc_lo, s9, v16, vcc_lo
	s_clause 0x2
	global_load_b128 v[13:16], v[19:20], off
	global_load_b32 v3, v[23:24], off
	global_load_b32 v27, v[25:26], off
	v_add_co_u32 v21, vcc_lo, s8, v21
	v_add_co_ci_u32_e32 v22, vcc_lo, s9, v22, vcc_lo
	s_waitcnt vmcnt(3)
	v_subrev_nc_u32_e32 v1, s18, v1
	s_delay_alu instid0(VALU_DEP_1) | instskip(NEXT) | instid1(VALU_DEP_1)
	v_lshl_add_u32 v17, v1, 1, v1
	v_lshlrev_b64 v[18:19], 2, v[17:18]
	s_delay_alu instid0(VALU_DEP_1) | instskip(NEXT) | instid1(VALU_DEP_2)
	v_add_co_u32 v18, vcc_lo, s10, v18
	v_add_co_ci_u32_e32 v19, vcc_lo, s11, v19, vcc_lo
	global_load_b32 v1, v[18:19], off
	s_waitcnt vmcnt(0)
	v_fmac_f32_e32 v9, v27, v1
	v_fmac_f32_e32 v8, v13, v1
	v_add_nc_u32_e32 v5, 1, v17
	v_fmac_f32_e32 v11, v16, v1
	v_fmac_f32_e32 v10, v3, v1
	s_delay_alu instid0(VALU_DEP_3) | instskip(SKIP_1) | instid1(VALU_DEP_1)
	v_lshlrev_b64 v[23:24], 2, v[5:6]
	v_add_nc_u32_e32 v5, -7, v2
	v_lshlrev_b64 v[25:26], 2, v[5:6]
	s_delay_alu instid0(VALU_DEP_3) | instskip(NEXT) | instid1(VALU_DEP_4)
	v_add_co_u32 v18, vcc_lo, s10, v23
	v_add_co_ci_u32_e32 v19, vcc_lo, s11, v24, vcc_lo
	s_delay_alu instid0(VALU_DEP_3) | instskip(SKIP_3) | instid1(VALU_DEP_2)
	v_add_co_u32 v25, vcc_lo, s8, v25
	global_load_b32 v28, v[18:19], off
	v_add_nc_u32_e32 v5, -4, v2
	v_add_co_ci_u32_e32 v26, vcc_lo, s9, v26, vcc_lo
	v_lshlrev_b64 v[23:24], 2, v[5:6]
	v_add_nc_u32_e32 v5, -1, v2
	global_load_b32 v29, v[25:26], off
	v_add_co_u32 v23, vcc_lo, s8, v23
	v_lshlrev_b64 v[18:19], 2, v[5:6]
	v_add_nc_u32_e32 v5, 2, v17
	v_add_co_ci_u32_e32 v24, vcc_lo, s9, v24, vcc_lo
	s_delay_alu instid0(VALU_DEP_3) | instskip(SKIP_4) | instid1(VALU_DEP_2)
	v_add_co_u32 v17, vcc_lo, s8, v18
	global_load_b32 v30, v[23:24], off
	v_lshlrev_b64 v[25:26], 2, v[5:6]
	v_add_nc_u32_e32 v5, -6, v2
	v_add_co_ci_u32_e32 v18, vcc_lo, s9, v19, vcc_lo
	v_lshlrev_b64 v[19:20], 2, v[5:6]
	global_load_b32 v31, v[17:18], off
	v_add_nc_u32_e32 v5, -3, v2
	v_add_co_u32 v17, vcc_lo, s10, v25
	v_add_co_ci_u32_e32 v18, vcc_lo, s11, v26, vcc_lo
	s_delay_alu instid0(VALU_DEP_3) | instskip(SKIP_3) | instid1(VALU_DEP_4)
	v_lshlrev_b64 v[23:24], 2, v[5:6]
	v_add_co_u32 v19, vcc_lo, s8, v19
	v_add_co_ci_u32_e32 v20, vcc_lo, s9, v20, vcc_lo
	v_add_nc_u32_e32 v2, 0x60, v2
	v_add_co_u32 v23, vcc_lo, s8, v23
	v_add_co_ci_u32_e32 v24, vcc_lo, s9, v24, vcc_lo
	global_load_b32 v5, v[17:18], off
	s_clause 0x2
	global_load_b32 v17, v[19:20], off
	global_load_b32 v18, v[23:24], off
	;; [unrolled: 1-line block ×3, first 2 shown]
	v_cmp_ge_i32_e32 vcc_lo, v0, v12
	s_or_b32 s2, vcc_lo, s2
	s_waitcnt vmcnt(5)
	v_fmac_f32_e32 v10, v30, v28
	s_waitcnt vmcnt(4)
	v_fmac_f32_e32 v9, v31, v28
	v_fmac_f32_e32 v8, v14, v28
	s_waitcnt vmcnt(3)
	s_delay_alu instid0(VALU_DEP_1) | instskip(SKIP_1) | instid1(VALU_DEP_1)
	v_dual_fmac_f32 v11, v29, v28 :: v_dual_fmac_f32 v8, v15, v5
	s_waitcnt vmcnt(2)
	v_fmac_f32_e32 v11, v17, v5
	s_waitcnt vmcnt(1)
	v_fmac_f32_e32 v10, v18, v5
	;; [unrolled: 2-line block ×3, first 2 shown]
	s_and_not1_b32 exec_lo, exec_lo, s2
	s_cbranch_execnz .LBB11_15
; %bb.16:
	s_or_b32 exec_lo, exec_lo, s2
.LBB11_17:
	s_delay_alu instid0(SALU_CYCLE_1)
	s_or_b32 exec_lo, exec_lo, s3
.LBB11_18:
	v_mbcnt_lo_u32_b32 v0, -1, 0
	s_mov_b32 s2, -1
	s_delay_alu instid0(VALU_DEP_1) | instskip(SKIP_1) | instid1(VALU_DEP_2)
	v_xor_b32_e32 v1, 4, v0
	v_xor_b32_e32 v6, 2, v0
	v_cmp_gt_i32_e32 vcc_lo, 32, v1
	v_cndmask_b32_e32 v1, v0, v1, vcc_lo
	s_delay_alu instid0(VALU_DEP_3) | instskip(SKIP_1) | instid1(VALU_DEP_1)
	v_cmp_gt_i32_e32 vcc_lo, 32, v6
	v_cndmask_b32_e32 v6, v0, v6, vcc_lo
	v_lshlrev_b32_e32 v6, 2, v6
	s_delay_alu instid0(VALU_DEP_4)
	v_lshlrev_b32_e32 v1, 2, v1
	ds_bpermute_b32 v2, v1, v8
	s_waitcnt lgkmcnt(0)
	v_add_f32_e32 v2, v8, v2
	ds_bpermute_b32 v3, v1, v11
	ds_bpermute_b32 v5, v1, v10
	;; [unrolled: 1-line block ×3, first 2 shown]
	s_waitcnt lgkmcnt(2)
	v_add_f32_e32 v3, v11, v3
	v_xor_b32_e32 v11, 1, v0
	s_delay_alu instid0(VALU_DEP_1)
	v_cmp_gt_i32_e32 vcc_lo, 32, v11
	s_waitcnt lgkmcnt(1)
	v_dual_add_f32 v5, v10, v5 :: v_dual_cndmask_b32 v0, v0, v11
	s_waitcnt lgkmcnt(0)
	v_add_f32_e32 v8, v9, v1
	ds_bpermute_b32 v1, v6, v2
	ds_bpermute_b32 v9, v6, v3
	;; [unrolled: 1-line block ×3, first 2 shown]
	v_lshlrev_b32_e32 v11, 2, v0
	ds_bpermute_b32 v6, v6, v8
	v_cmp_eq_u32_e32 vcc_lo, 7, v7
	s_waitcnt lgkmcnt(3)
	v_add_f32_e32 v0, v2, v1
	s_waitcnt lgkmcnt(1)
	v_dual_add_f32 v1, v3, v9 :: v_dual_add_f32 v2, v5, v10
	s_waitcnt lgkmcnt(0)
	v_add_f32_e32 v3, v8, v6
	ds_bpermute_b32 v5, v11, v0
	ds_bpermute_b32 v6, v11, v1
	;; [unrolled: 1-line block ×4, first 2 shown]
	s_and_b32 exec_lo, exec_lo, vcc_lo
	s_cbranch_execz .LBB11_23
; %bb.19:
	s_load_b64 s[0:1], s[0:1], 0x38
	s_waitcnt lgkmcnt(0)
	v_dual_add_f32 v0, v0, v5 :: v_dual_add_f32 v1, v1, v6
	v_dual_add_f32 v2, v2, v8 :: v_dual_add_f32 v3, v3, v9
	v_cmp_eq_f32_e64 s3, s12, 0
	s_delay_alu instid0(VALU_DEP_3) | instskip(NEXT) | instid1(VALU_DEP_3)
	v_dual_mul_f32 v0, s16, v0 :: v_dual_mul_f32 v1, s16, v1
	v_dual_mul_f32 v2, s16, v2 :: v_dual_mul_f32 v3, s16, v3
	v_lshlrev_b32_e32 v4, 2, v4
	s_delay_alu instid0(VALU_DEP_4)
	s_and_b32 vcc_lo, exec_lo, s3
	s_cbranch_vccz .LBB11_21
; %bb.20:
	s_delay_alu instid0(VALU_DEP_1) | instskip(SKIP_1) | instid1(VALU_DEP_1)
	v_ashrrev_i32_e32 v5, 31, v4
	s_mov_b32 s2, 0
	v_lshlrev_b64 v[5:6], 2, v[4:5]
	s_delay_alu instid0(VALU_DEP_1) | instskip(NEXT) | instid1(VALU_DEP_2)
	v_add_co_u32 v5, vcc_lo, s0, v5
	v_add_co_ci_u32_e32 v6, vcc_lo, s1, v6, vcc_lo
	global_store_b128 v[5:6], v[0:3], off
.LBB11_21:
	s_and_not1_b32 vcc_lo, exec_lo, s2
	s_cbranch_vccnz .LBB11_23
; %bb.22:
	v_ashrrev_i32_e32 v5, 31, v4
	s_delay_alu instid0(VALU_DEP_1) | instskip(NEXT) | instid1(VALU_DEP_1)
	v_lshlrev_b64 v[4:5], 2, v[4:5]
	v_add_co_u32 v8, vcc_lo, s0, v4
	s_delay_alu instid0(VALU_DEP_2)
	v_add_co_ci_u32_e32 v9, vcc_lo, s1, v5, vcc_lo
	global_load_b128 v[4:7], v[8:9], off
	s_waitcnt vmcnt(0)
	v_dual_fmac_f32 v0, s12, v4 :: v_dual_fmac_f32 v1, s12, v5
	v_dual_fmac_f32 v2, s12, v6 :: v_dual_fmac_f32 v3, s12, v7
	global_store_b128 v[8:9], v[0:3], off
.LBB11_23:
	s_nop 0
	s_sendmsg sendmsg(MSG_DEALLOC_VGPRS)
	s_endpgm
	.section	.rodata,"a",@progbits
	.p2align	6, 0x0
	.amdhsa_kernel _ZN9rocsparseL19gebsrmvn_4xn_kernelILj128ELj3ELj8EfEEvi20rocsparse_direction_NS_24const_host_device_scalarIT2_EEPKiS6_PKS3_S8_S4_PS3_21rocsparse_index_base_b
		.amdhsa_group_segment_fixed_size 0
		.amdhsa_private_segment_fixed_size 0
		.amdhsa_kernarg_size 72
		.amdhsa_user_sgpr_count 15
		.amdhsa_user_sgpr_dispatch_ptr 0
		.amdhsa_user_sgpr_queue_ptr 0
		.amdhsa_user_sgpr_kernarg_segment_ptr 1
		.amdhsa_user_sgpr_dispatch_id 0
		.amdhsa_user_sgpr_private_segment_size 0
		.amdhsa_wavefront_size32 1
		.amdhsa_uses_dynamic_stack 0
		.amdhsa_enable_private_segment 0
		.amdhsa_system_sgpr_workgroup_id_x 1
		.amdhsa_system_sgpr_workgroup_id_y 0
		.amdhsa_system_sgpr_workgroup_id_z 0
		.amdhsa_system_sgpr_workgroup_info 0
		.amdhsa_system_vgpr_workitem_id 0
		.amdhsa_next_free_vgpr 32
		.amdhsa_next_free_sgpr 20
		.amdhsa_reserve_vcc 1
		.amdhsa_float_round_mode_32 0
		.amdhsa_float_round_mode_16_64 0
		.amdhsa_float_denorm_mode_32 3
		.amdhsa_float_denorm_mode_16_64 3
		.amdhsa_dx10_clamp 1
		.amdhsa_ieee_mode 1
		.amdhsa_fp16_overflow 0
		.amdhsa_workgroup_processor_mode 1
		.amdhsa_memory_ordered 1
		.amdhsa_forward_progress 0
		.amdhsa_shared_vgpr_count 0
		.amdhsa_exception_fp_ieee_invalid_op 0
		.amdhsa_exception_fp_denorm_src 0
		.amdhsa_exception_fp_ieee_div_zero 0
		.amdhsa_exception_fp_ieee_overflow 0
		.amdhsa_exception_fp_ieee_underflow 0
		.amdhsa_exception_fp_ieee_inexact 0
		.amdhsa_exception_int_div_zero 0
	.end_amdhsa_kernel
	.section	.text._ZN9rocsparseL19gebsrmvn_4xn_kernelILj128ELj3ELj8EfEEvi20rocsparse_direction_NS_24const_host_device_scalarIT2_EEPKiS6_PKS3_S8_S4_PS3_21rocsparse_index_base_b,"axG",@progbits,_ZN9rocsparseL19gebsrmvn_4xn_kernelILj128ELj3ELj8EfEEvi20rocsparse_direction_NS_24const_host_device_scalarIT2_EEPKiS6_PKS3_S8_S4_PS3_21rocsparse_index_base_b,comdat
.Lfunc_end11:
	.size	_ZN9rocsparseL19gebsrmvn_4xn_kernelILj128ELj3ELj8EfEEvi20rocsparse_direction_NS_24const_host_device_scalarIT2_EEPKiS6_PKS3_S8_S4_PS3_21rocsparse_index_base_b, .Lfunc_end11-_ZN9rocsparseL19gebsrmvn_4xn_kernelILj128ELj3ELj8EfEEvi20rocsparse_direction_NS_24const_host_device_scalarIT2_EEPKiS6_PKS3_S8_S4_PS3_21rocsparse_index_base_b
                                        ; -- End function
	.section	.AMDGPU.csdata,"",@progbits
; Kernel info:
; codeLenInByte = 1840
; NumSgprs: 22
; NumVgprs: 32
; ScratchSize: 0
; MemoryBound: 0
; FloatMode: 240
; IeeeMode: 1
; LDSByteSize: 0 bytes/workgroup (compile time only)
; SGPRBlocks: 2
; VGPRBlocks: 3
; NumSGPRsForWavesPerEU: 22
; NumVGPRsForWavesPerEU: 32
; Occupancy: 16
; WaveLimiterHint : 1
; COMPUTE_PGM_RSRC2:SCRATCH_EN: 0
; COMPUTE_PGM_RSRC2:USER_SGPR: 15
; COMPUTE_PGM_RSRC2:TRAP_HANDLER: 0
; COMPUTE_PGM_RSRC2:TGID_X_EN: 1
; COMPUTE_PGM_RSRC2:TGID_Y_EN: 0
; COMPUTE_PGM_RSRC2:TGID_Z_EN: 0
; COMPUTE_PGM_RSRC2:TIDIG_COMP_CNT: 0
	.section	.text._ZN9rocsparseL19gebsrmvn_4xn_kernelILj128ELj3ELj16EfEEvi20rocsparse_direction_NS_24const_host_device_scalarIT2_EEPKiS6_PKS3_S8_S4_PS3_21rocsparse_index_base_b,"axG",@progbits,_ZN9rocsparseL19gebsrmvn_4xn_kernelILj128ELj3ELj16EfEEvi20rocsparse_direction_NS_24const_host_device_scalarIT2_EEPKiS6_PKS3_S8_S4_PS3_21rocsparse_index_base_b,comdat
	.globl	_ZN9rocsparseL19gebsrmvn_4xn_kernelILj128ELj3ELj16EfEEvi20rocsparse_direction_NS_24const_host_device_scalarIT2_EEPKiS6_PKS3_S8_S4_PS3_21rocsparse_index_base_b ; -- Begin function _ZN9rocsparseL19gebsrmvn_4xn_kernelILj128ELj3ELj16EfEEvi20rocsparse_direction_NS_24const_host_device_scalarIT2_EEPKiS6_PKS3_S8_S4_PS3_21rocsparse_index_base_b
	.p2align	8
	.type	_ZN9rocsparseL19gebsrmvn_4xn_kernelILj128ELj3ELj16EfEEvi20rocsparse_direction_NS_24const_host_device_scalarIT2_EEPKiS6_PKS3_S8_S4_PS3_21rocsparse_index_base_b,@function
_ZN9rocsparseL19gebsrmvn_4xn_kernelILj128ELj3ELj16EfEEvi20rocsparse_direction_NS_24const_host_device_scalarIT2_EEPKiS6_PKS3_S8_S4_PS3_21rocsparse_index_base_b: ; @_ZN9rocsparseL19gebsrmvn_4xn_kernelILj128ELj3ELj16EfEEvi20rocsparse_direction_NS_24const_host_device_scalarIT2_EEPKiS6_PKS3_S8_S4_PS3_21rocsparse_index_base_b
; %bb.0:
	s_clause 0x2
	s_load_b64 s[18:19], s[0:1], 0x40
	s_load_b64 s[16:17], s[0:1], 0x8
	;; [unrolled: 1-line block ×3, first 2 shown]
	s_waitcnt lgkmcnt(0)
	s_bitcmp1_b32 s19, 0
	s_cselect_b32 s2, -1, 0
	s_delay_alu instid0(SALU_CYCLE_1)
	s_and_b32 vcc_lo, exec_lo, s2
	s_xor_b32 s2, s2, -1
	s_cbranch_vccnz .LBB12_2
; %bb.1:
	s_load_b32 s16, s[16:17], 0x0
.LBB12_2:
	s_and_not1_b32 vcc_lo, exec_lo, s2
	s_cbranch_vccnz .LBB12_4
; %bb.3:
	s_load_b32 s12, s[12:13], 0x0
.LBB12_4:
	s_waitcnt lgkmcnt(0)
	v_cmp_eq_f32_e64 s2, s16, 0
	v_cmp_eq_f32_e64 s3, s12, 1.0
	s_delay_alu instid0(VALU_DEP_1) | instskip(NEXT) | instid1(SALU_CYCLE_1)
	s_and_b32 s2, s2, s3
	s_and_b32 vcc_lo, exec_lo, s2
	s_cbranch_vccnz .LBB12_23
; %bb.5:
	s_load_b64 s[2:3], s[0:1], 0x0
	v_lshrrev_b32_e32 v1, 4, v0
	s_delay_alu instid0(VALU_DEP_1) | instskip(SKIP_1) | instid1(VALU_DEP_1)
	v_lshl_or_b32 v4, s15, 3, v1
	s_waitcnt lgkmcnt(0)
	v_cmp_gt_i32_e32 vcc_lo, s2, v4
	s_and_saveexec_b32 s2, vcc_lo
	s_cbranch_execz .LBB12_23
; %bb.6:
	s_load_b256 s[4:11], s[0:1], 0x10
	v_ashrrev_i32_e32 v5, 31, v4
	v_and_b32_e32 v7, 15, v0
	s_cmp_lg_u32 s3, 0
	s_delay_alu instid0(VALU_DEP_2) | instskip(SKIP_1) | instid1(VALU_DEP_1)
	v_lshlrev_b64 v[1:2], 2, v[4:5]
	s_waitcnt lgkmcnt(0)
	v_add_co_u32 v1, vcc_lo, s4, v1
	s_delay_alu instid0(VALU_DEP_2) | instskip(SKIP_4) | instid1(VALU_DEP_2)
	v_add_co_ci_u32_e32 v2, vcc_lo, s5, v2, vcc_lo
	global_load_b64 v[1:2], v[1:2], off
	s_waitcnt vmcnt(0)
	v_subrev_nc_u32_e32 v0, s18, v1
	v_subrev_nc_u32_e32 v12, s18, v2
	v_add_nc_u32_e32 v0, v0, v7
	s_delay_alu instid0(VALU_DEP_1)
	v_cmp_lt_i32_e64 s2, v0, v12
	s_cbranch_scc0 .LBB12_12
; %bb.7:
	v_dual_mov_b32 v8, 0 :: v_dual_mov_b32 v9, 0
	v_dual_mov_b32 v10, 0 :: v_dual_mov_b32 v11, 0
	s_mov_b32 s3, 0
	s_and_saveexec_b32 s4, s2
	s_cbranch_execz .LBB12_11
; %bb.8:
	v_dual_mov_b32 v2, 0 :: v_dual_mov_b32 v5, v0
	v_mul_lo_u32 v1, v0, 12
	s_mov_b32 s5, 0
	s_delay_alu instid0(VALU_DEP_2)
	v_mov_b32_e32 v8, v2
	v_mov_b32_e32 v9, v2
	;; [unrolled: 1-line block ×4, first 2 shown]
.LBB12_9:                               ; =>This Inner Loop Header: Depth=1
	v_ashrrev_i32_e32 v6, 31, v5
	v_dual_mov_b32 v16, v2 :: v_dual_add_nc_u32 v15, 4, v1
	v_dual_mov_b32 v18, v2 :: v_dual_add_nc_u32 v17, 8, v1
	s_delay_alu instid0(VALU_DEP_3) | instskip(SKIP_1) | instid1(VALU_DEP_4)
	v_lshlrev_b64 v[13:14], 2, v[5:6]
	v_mov_b32_e32 v26, v2
	v_lshlrev_b64 v[19:20], 2, v[15:16]
	v_add_nc_u32_e32 v5, 16, v5
	v_lshlrev_b64 v[17:18], 2, v[17:18]
	v_add_co_u32 v13, vcc_lo, s6, v13
	v_add_co_ci_u32_e32 v14, vcc_lo, s7, v14, vcc_lo
	global_load_b32 v3, v[13:14], off
	v_lshlrev_b64 v[13:14], 2, v[1:2]
	v_add_nc_u32_e32 v1, 0xc0, v1
	s_delay_alu instid0(VALU_DEP_2) | instskip(NEXT) | instid1(VALU_DEP_3)
	v_add_co_u32 v13, vcc_lo, s8, v13
	v_add_co_ci_u32_e32 v14, vcc_lo, s9, v14, vcc_lo
	v_add_co_u32 v19, vcc_lo, s8, v19
	v_add_co_ci_u32_e32 v20, vcc_lo, s9, v20, vcc_lo
	;; [unrolled: 2-line block ×3, first 2 shown]
	s_clause 0x1
	global_load_b128 v[13:16], v[13:14], off
	global_load_b128 v[17:20], v[19:20], off
	s_waitcnt vmcnt(2)
	v_subrev_nc_u32_e32 v3, s18, v3
	s_delay_alu instid0(VALU_DEP_1) | instskip(SKIP_1) | instid1(VALU_DEP_2)
	v_lshl_add_u32 v21, v3, 1, v3
	v_mov_b32_e32 v22, v2
	v_dual_mov_b32 v24, v2 :: v_dual_add_nc_u32 v25, 2, v21
	v_add_nc_u32_e32 v23, 1, v21
	s_delay_alu instid0(VALU_DEP_3) | instskip(NEXT) | instid1(VALU_DEP_3)
	v_lshlrev_b64 v[21:22], 2, v[21:22]
	v_lshlrev_b64 v[25:26], 2, v[25:26]
	s_delay_alu instid0(VALU_DEP_3) | instskip(NEXT) | instid1(VALU_DEP_3)
	v_lshlrev_b64 v[23:24], 2, v[23:24]
	v_add_co_u32 v21, vcc_lo, s10, v21
	s_delay_alu instid0(VALU_DEP_4)
	v_add_co_ci_u32_e32 v22, vcc_lo, s11, v22, vcc_lo
	global_load_b32 v3, v[21:22], off
	v_add_co_u32 v21, vcc_lo, s10, v23
	v_add_co_ci_u32_e32 v22, vcc_lo, s11, v24, vcc_lo
	v_add_co_u32 v25, vcc_lo, s10, v25
	v_add_co_ci_u32_e32 v26, vcc_lo, s11, v26, vcc_lo
	global_load_b32 v6, v[21:22], off
	global_load_b128 v[21:24], v[27:28], off
	global_load_b32 v25, v[25:26], off
	v_cmp_ge_i32_e32 vcc_lo, v5, v12
	s_or_b32 s5, vcc_lo, s5
	s_waitcnt vmcnt(3)
	v_fmac_f32_e32 v8, v13, v3
	s_waitcnt vmcnt(2)
	s_delay_alu instid0(VALU_DEP_1) | instskip(NEXT) | instid1(VALU_DEP_1)
	v_dual_fmac_f32 v11, v14, v3 :: v_dual_fmac_f32 v8, v17, v6
	v_dual_fmac_f32 v10, v15, v3 :: v_dual_fmac_f32 v11, v18, v6
	s_waitcnt vmcnt(0)
	s_delay_alu instid0(VALU_DEP_2) | instskip(NEXT) | instid1(VALU_DEP_2)
	v_dual_fmac_f32 v9, v16, v3 :: v_dual_fmac_f32 v8, v21, v25
	v_dual_fmac_f32 v10, v19, v6 :: v_dual_fmac_f32 v11, v22, v25
	s_delay_alu instid0(VALU_DEP_1) | instskip(NEXT) | instid1(VALU_DEP_1)
	v_dual_fmac_f32 v9, v20, v6 :: v_dual_fmac_f32 v10, v23, v25
	v_fmac_f32_e32 v9, v24, v25
	s_and_not1_b32 exec_lo, exec_lo, s5
	s_cbranch_execnz .LBB12_9
; %bb.10:
	s_or_b32 exec_lo, exec_lo, s5
.LBB12_11:
	s_delay_alu instid0(SALU_CYCLE_1) | instskip(NEXT) | instid1(SALU_CYCLE_1)
	s_or_b32 exec_lo, exec_lo, s4
	s_and_not1_b32 vcc_lo, exec_lo, s3
	s_cbranch_vccz .LBB12_13
	s_branch .LBB12_18
.LBB12_12:
                                        ; implicit-def: $vgpr8
                                        ; implicit-def: $vgpr9
                                        ; implicit-def: $vgpr10
                                        ; implicit-def: $vgpr11
.LBB12_13:
	v_dual_mov_b32 v8, 0 :: v_dual_mov_b32 v9, 0
	v_dual_mov_b32 v10, 0 :: v_dual_mov_b32 v11, 0
	s_delay_alu instid0(VALU_DEP_3)
	s_and_saveexec_b32 s3, s2
	s_cbranch_execz .LBB12_17
; %bb.14:
	v_mad_u64_u32 v[2:3], null, v0, 12, 11
	v_dual_mov_b32 v6, 0 :: v_dual_mov_b32 v9, 0
	v_dual_mov_b32 v8, 0 :: v_dual_mov_b32 v11, 0
	v_mov_b32_e32 v10, 0
	s_mov_b32 s2, 0
.LBB12_15:                              ; =>This Inner Loop Header: Depth=1
	v_ashrrev_i32_e32 v1, 31, v0
	v_dual_mov_b32 v18, v6 :: v_dual_add_nc_u32 v5, -11, v2
	v_dual_mov_b32 v16, v6 :: v_dual_add_nc_u32 v15, -2, v2
	s_delay_alu instid0(VALU_DEP_3) | instskip(NEXT) | instid1(VALU_DEP_3)
	v_lshlrev_b64 v[13:14], 2, v[0:1]
	v_lshlrev_b64 v[19:20], 2, v[5:6]
	v_dual_mov_b32 v3, v6 :: v_dual_add_nc_u32 v0, 16, v0
	s_delay_alu instid0(VALU_DEP_4) | instskip(NEXT) | instid1(VALU_DEP_4)
	v_lshlrev_b64 v[15:16], 2, v[15:16]
	v_add_co_u32 v13, vcc_lo, s6, v13
	v_add_co_ci_u32_e32 v14, vcc_lo, s7, v14, vcc_lo
	v_add_co_u32 v19, vcc_lo, s8, v19
	v_add_co_ci_u32_e32 v20, vcc_lo, s9, v20, vcc_lo
	global_load_b32 v1, v[13:14], off
	v_dual_mov_b32 v14, v6 :: v_dual_add_nc_u32 v13, -5, v2
	v_lshlrev_b64 v[21:22], 2, v[2:3]
	s_delay_alu instid0(VALU_DEP_2) | instskip(NEXT) | instid1(VALU_DEP_1)
	v_lshlrev_b64 v[13:14], 2, v[13:14]
	v_add_co_u32 v23, vcc_lo, s8, v13
	s_delay_alu instid0(VALU_DEP_2)
	v_add_co_ci_u32_e32 v24, vcc_lo, s9, v14, vcc_lo
	v_add_co_u32 v25, vcc_lo, s8, v15
	v_add_co_ci_u32_e32 v26, vcc_lo, s9, v16, vcc_lo
	s_clause 0x2
	global_load_b128 v[13:16], v[19:20], off
	global_load_b32 v3, v[23:24], off
	global_load_b32 v27, v[25:26], off
	v_add_co_u32 v21, vcc_lo, s8, v21
	v_add_co_ci_u32_e32 v22, vcc_lo, s9, v22, vcc_lo
	s_waitcnt vmcnt(3)
	v_subrev_nc_u32_e32 v1, s18, v1
	s_delay_alu instid0(VALU_DEP_1) | instskip(NEXT) | instid1(VALU_DEP_1)
	v_lshl_add_u32 v17, v1, 1, v1
	v_lshlrev_b64 v[18:19], 2, v[17:18]
	s_delay_alu instid0(VALU_DEP_1) | instskip(NEXT) | instid1(VALU_DEP_2)
	v_add_co_u32 v18, vcc_lo, s10, v18
	v_add_co_ci_u32_e32 v19, vcc_lo, s11, v19, vcc_lo
	global_load_b32 v1, v[18:19], off
	s_waitcnt vmcnt(0)
	v_fmac_f32_e32 v9, v27, v1
	v_fmac_f32_e32 v8, v13, v1
	v_add_nc_u32_e32 v5, 1, v17
	v_fmac_f32_e32 v11, v16, v1
	v_fmac_f32_e32 v10, v3, v1
	s_delay_alu instid0(VALU_DEP_3) | instskip(SKIP_1) | instid1(VALU_DEP_1)
	v_lshlrev_b64 v[23:24], 2, v[5:6]
	v_add_nc_u32_e32 v5, -7, v2
	v_lshlrev_b64 v[25:26], 2, v[5:6]
	s_delay_alu instid0(VALU_DEP_3) | instskip(NEXT) | instid1(VALU_DEP_4)
	v_add_co_u32 v18, vcc_lo, s10, v23
	v_add_co_ci_u32_e32 v19, vcc_lo, s11, v24, vcc_lo
	s_delay_alu instid0(VALU_DEP_3) | instskip(SKIP_3) | instid1(VALU_DEP_2)
	v_add_co_u32 v25, vcc_lo, s8, v25
	global_load_b32 v28, v[18:19], off
	v_add_nc_u32_e32 v5, -4, v2
	v_add_co_ci_u32_e32 v26, vcc_lo, s9, v26, vcc_lo
	v_lshlrev_b64 v[23:24], 2, v[5:6]
	v_add_nc_u32_e32 v5, -1, v2
	global_load_b32 v29, v[25:26], off
	v_add_co_u32 v23, vcc_lo, s8, v23
	v_lshlrev_b64 v[18:19], 2, v[5:6]
	v_add_nc_u32_e32 v5, 2, v17
	v_add_co_ci_u32_e32 v24, vcc_lo, s9, v24, vcc_lo
	s_delay_alu instid0(VALU_DEP_3) | instskip(SKIP_4) | instid1(VALU_DEP_2)
	v_add_co_u32 v17, vcc_lo, s8, v18
	global_load_b32 v30, v[23:24], off
	v_lshlrev_b64 v[25:26], 2, v[5:6]
	v_add_nc_u32_e32 v5, -6, v2
	v_add_co_ci_u32_e32 v18, vcc_lo, s9, v19, vcc_lo
	v_lshlrev_b64 v[19:20], 2, v[5:6]
	global_load_b32 v31, v[17:18], off
	v_add_nc_u32_e32 v5, -3, v2
	v_add_co_u32 v17, vcc_lo, s10, v25
	v_add_co_ci_u32_e32 v18, vcc_lo, s11, v26, vcc_lo
	s_delay_alu instid0(VALU_DEP_3) | instskip(SKIP_3) | instid1(VALU_DEP_4)
	v_lshlrev_b64 v[23:24], 2, v[5:6]
	v_add_co_u32 v19, vcc_lo, s8, v19
	v_add_co_ci_u32_e32 v20, vcc_lo, s9, v20, vcc_lo
	v_add_nc_u32_e32 v2, 0xc0, v2
	v_add_co_u32 v23, vcc_lo, s8, v23
	v_add_co_ci_u32_e32 v24, vcc_lo, s9, v24, vcc_lo
	global_load_b32 v5, v[17:18], off
	s_clause 0x2
	global_load_b32 v17, v[19:20], off
	global_load_b32 v18, v[23:24], off
	;; [unrolled: 1-line block ×3, first 2 shown]
	v_cmp_ge_i32_e32 vcc_lo, v0, v12
	s_or_b32 s2, vcc_lo, s2
	s_waitcnt vmcnt(5)
	v_fmac_f32_e32 v10, v30, v28
	s_waitcnt vmcnt(4)
	v_fmac_f32_e32 v9, v31, v28
	v_fmac_f32_e32 v8, v14, v28
	s_waitcnt vmcnt(3)
	s_delay_alu instid0(VALU_DEP_1) | instskip(SKIP_1) | instid1(VALU_DEP_1)
	v_dual_fmac_f32 v11, v29, v28 :: v_dual_fmac_f32 v8, v15, v5
	s_waitcnt vmcnt(2)
	v_fmac_f32_e32 v11, v17, v5
	s_waitcnt vmcnt(1)
	v_fmac_f32_e32 v10, v18, v5
	;; [unrolled: 2-line block ×3, first 2 shown]
	s_and_not1_b32 exec_lo, exec_lo, s2
	s_cbranch_execnz .LBB12_15
; %bb.16:
	s_or_b32 exec_lo, exec_lo, s2
.LBB12_17:
	s_delay_alu instid0(SALU_CYCLE_1)
	s_or_b32 exec_lo, exec_lo, s3
.LBB12_18:
	v_mbcnt_lo_u32_b32 v0, -1, 0
	s_mov_b32 s2, -1
	s_delay_alu instid0(VALU_DEP_1) | instskip(SKIP_1) | instid1(VALU_DEP_2)
	v_xor_b32_e32 v1, 8, v0
	v_xor_b32_e32 v6, 4, v0
	v_cmp_gt_i32_e32 vcc_lo, 32, v1
	v_cndmask_b32_e32 v1, v0, v1, vcc_lo
	s_delay_alu instid0(VALU_DEP_3) | instskip(SKIP_1) | instid1(VALU_DEP_1)
	v_cmp_gt_i32_e32 vcc_lo, 32, v6
	v_cndmask_b32_e32 v6, v0, v6, vcc_lo
	v_lshlrev_b32_e32 v6, 2, v6
	s_delay_alu instid0(VALU_DEP_4)
	v_lshlrev_b32_e32 v1, 2, v1
	ds_bpermute_b32 v2, v1, v8
	s_waitcnt lgkmcnt(0)
	v_add_f32_e32 v2, v8, v2
	ds_bpermute_b32 v3, v1, v11
	ds_bpermute_b32 v5, v1, v10
	;; [unrolled: 1-line block ×4, first 2 shown]
	s_waitcnt lgkmcnt(3)
	v_add_f32_e32 v3, v11, v3
	v_xor_b32_e32 v11, 2, v0
	s_waitcnt lgkmcnt(0)
	v_dual_add_f32 v1, v9, v1 :: v_dual_add_f32 v2, v2, v8
	v_add_f32_e32 v5, v10, v5
	ds_bpermute_b32 v9, v6, v3
	v_cmp_gt_i32_e32 vcc_lo, 32, v11
	ds_bpermute_b32 v10, v6, v5
	ds_bpermute_b32 v6, v6, v1
	v_cndmask_b32_e32 v11, v0, v11, vcc_lo
	s_waitcnt lgkmcnt(0)
	v_dual_add_f32 v3, v3, v9 :: v_dual_add_f32 v6, v1, v6
	v_add_f32_e32 v5, v5, v10
	s_delay_alu instid0(VALU_DEP_3)
	v_lshlrev_b32_e32 v11, 2, v11
	ds_bpermute_b32 v1, v11, v2
	ds_bpermute_b32 v8, v11, v3
	ds_bpermute_b32 v9, v11, v5
	ds_bpermute_b32 v10, v11, v6
	v_xor_b32_e32 v11, 1, v0
	s_delay_alu instid0(VALU_DEP_1) | instskip(SKIP_3) | instid1(VALU_DEP_2)
	v_cmp_gt_i32_e32 vcc_lo, 32, v11
	v_cndmask_b32_e32 v0, v0, v11, vcc_lo
	v_cmp_eq_u32_e32 vcc_lo, 15, v7
	s_waitcnt lgkmcnt(3)
	v_dual_add_f32 v0, v2, v1 :: v_dual_lshlrev_b32 v11, 2, v0
	s_waitcnt lgkmcnt(1)
	v_dual_add_f32 v1, v3, v8 :: v_dual_add_f32 v2, v5, v9
	s_waitcnt lgkmcnt(0)
	v_add_f32_e32 v3, v6, v10
	ds_bpermute_b32 v5, v11, v0
	ds_bpermute_b32 v6, v11, v1
	;; [unrolled: 1-line block ×4, first 2 shown]
	s_and_b32 exec_lo, exec_lo, vcc_lo
	s_cbranch_execz .LBB12_23
; %bb.19:
	s_load_b64 s[0:1], s[0:1], 0x38
	s_waitcnt lgkmcnt(0)
	v_dual_add_f32 v0, v0, v5 :: v_dual_add_f32 v1, v1, v6
	v_dual_add_f32 v2, v2, v8 :: v_dual_add_f32 v3, v3, v9
	v_cmp_eq_f32_e64 s3, s12, 0
	s_delay_alu instid0(VALU_DEP_3) | instskip(NEXT) | instid1(VALU_DEP_3)
	v_dual_mul_f32 v0, s16, v0 :: v_dual_mul_f32 v1, s16, v1
	v_dual_mul_f32 v2, s16, v2 :: v_dual_mul_f32 v3, s16, v3
	v_lshlrev_b32_e32 v4, 2, v4
	s_delay_alu instid0(VALU_DEP_4)
	s_and_b32 vcc_lo, exec_lo, s3
	s_cbranch_vccz .LBB12_21
; %bb.20:
	s_delay_alu instid0(VALU_DEP_1) | instskip(SKIP_1) | instid1(VALU_DEP_1)
	v_ashrrev_i32_e32 v5, 31, v4
	s_mov_b32 s2, 0
	v_lshlrev_b64 v[5:6], 2, v[4:5]
	s_delay_alu instid0(VALU_DEP_1) | instskip(NEXT) | instid1(VALU_DEP_2)
	v_add_co_u32 v5, vcc_lo, s0, v5
	v_add_co_ci_u32_e32 v6, vcc_lo, s1, v6, vcc_lo
	global_store_b128 v[5:6], v[0:3], off
.LBB12_21:
	s_and_not1_b32 vcc_lo, exec_lo, s2
	s_cbranch_vccnz .LBB12_23
; %bb.22:
	v_ashrrev_i32_e32 v5, 31, v4
	s_delay_alu instid0(VALU_DEP_1) | instskip(NEXT) | instid1(VALU_DEP_1)
	v_lshlrev_b64 v[4:5], 2, v[4:5]
	v_add_co_u32 v8, vcc_lo, s0, v4
	s_delay_alu instid0(VALU_DEP_2)
	v_add_co_ci_u32_e32 v9, vcc_lo, s1, v5, vcc_lo
	global_load_b128 v[4:7], v[8:9], off
	s_waitcnt vmcnt(0)
	v_dual_fmac_f32 v0, s12, v4 :: v_dual_fmac_f32 v1, s12, v5
	v_dual_fmac_f32 v2, s12, v6 :: v_dual_fmac_f32 v3, s12, v7
	global_store_b128 v[8:9], v[0:3], off
.LBB12_23:
	s_nop 0
	s_sendmsg sendmsg(MSG_DEALLOC_VGPRS)
	s_endpgm
	.section	.rodata,"a",@progbits
	.p2align	6, 0x0
	.amdhsa_kernel _ZN9rocsparseL19gebsrmvn_4xn_kernelILj128ELj3ELj16EfEEvi20rocsparse_direction_NS_24const_host_device_scalarIT2_EEPKiS6_PKS3_S8_S4_PS3_21rocsparse_index_base_b
		.amdhsa_group_segment_fixed_size 0
		.amdhsa_private_segment_fixed_size 0
		.amdhsa_kernarg_size 72
		.amdhsa_user_sgpr_count 15
		.amdhsa_user_sgpr_dispatch_ptr 0
		.amdhsa_user_sgpr_queue_ptr 0
		.amdhsa_user_sgpr_kernarg_segment_ptr 1
		.amdhsa_user_sgpr_dispatch_id 0
		.amdhsa_user_sgpr_private_segment_size 0
		.amdhsa_wavefront_size32 1
		.amdhsa_uses_dynamic_stack 0
		.amdhsa_enable_private_segment 0
		.amdhsa_system_sgpr_workgroup_id_x 1
		.amdhsa_system_sgpr_workgroup_id_y 0
		.amdhsa_system_sgpr_workgroup_id_z 0
		.amdhsa_system_sgpr_workgroup_info 0
		.amdhsa_system_vgpr_workitem_id 0
		.amdhsa_next_free_vgpr 32
		.amdhsa_next_free_sgpr 20
		.amdhsa_reserve_vcc 1
		.amdhsa_float_round_mode_32 0
		.amdhsa_float_round_mode_16_64 0
		.amdhsa_float_denorm_mode_32 3
		.amdhsa_float_denorm_mode_16_64 3
		.amdhsa_dx10_clamp 1
		.amdhsa_ieee_mode 1
		.amdhsa_fp16_overflow 0
		.amdhsa_workgroup_processor_mode 1
		.amdhsa_memory_ordered 1
		.amdhsa_forward_progress 0
		.amdhsa_shared_vgpr_count 0
		.amdhsa_exception_fp_ieee_invalid_op 0
		.amdhsa_exception_fp_denorm_src 0
		.amdhsa_exception_fp_ieee_div_zero 0
		.amdhsa_exception_fp_ieee_overflow 0
		.amdhsa_exception_fp_ieee_underflow 0
		.amdhsa_exception_fp_ieee_inexact 0
		.amdhsa_exception_int_div_zero 0
	.end_amdhsa_kernel
	.section	.text._ZN9rocsparseL19gebsrmvn_4xn_kernelILj128ELj3ELj16EfEEvi20rocsparse_direction_NS_24const_host_device_scalarIT2_EEPKiS6_PKS3_S8_S4_PS3_21rocsparse_index_base_b,"axG",@progbits,_ZN9rocsparseL19gebsrmvn_4xn_kernelILj128ELj3ELj16EfEEvi20rocsparse_direction_NS_24const_host_device_scalarIT2_EEPKiS6_PKS3_S8_S4_PS3_21rocsparse_index_base_b,comdat
.Lfunc_end12:
	.size	_ZN9rocsparseL19gebsrmvn_4xn_kernelILj128ELj3ELj16EfEEvi20rocsparse_direction_NS_24const_host_device_scalarIT2_EEPKiS6_PKS3_S8_S4_PS3_21rocsparse_index_base_b, .Lfunc_end12-_ZN9rocsparseL19gebsrmvn_4xn_kernelILj128ELj3ELj16EfEEvi20rocsparse_direction_NS_24const_host_device_scalarIT2_EEPKiS6_PKS3_S8_S4_PS3_21rocsparse_index_base_b
                                        ; -- End function
	.section	.AMDGPU.csdata,"",@progbits
; Kernel info:
; codeLenInByte = 1908
; NumSgprs: 22
; NumVgprs: 32
; ScratchSize: 0
; MemoryBound: 0
; FloatMode: 240
; IeeeMode: 1
; LDSByteSize: 0 bytes/workgroup (compile time only)
; SGPRBlocks: 2
; VGPRBlocks: 3
; NumSGPRsForWavesPerEU: 22
; NumVGPRsForWavesPerEU: 32
; Occupancy: 16
; WaveLimiterHint : 1
; COMPUTE_PGM_RSRC2:SCRATCH_EN: 0
; COMPUTE_PGM_RSRC2:USER_SGPR: 15
; COMPUTE_PGM_RSRC2:TRAP_HANDLER: 0
; COMPUTE_PGM_RSRC2:TGID_X_EN: 1
; COMPUTE_PGM_RSRC2:TGID_Y_EN: 0
; COMPUTE_PGM_RSRC2:TGID_Z_EN: 0
; COMPUTE_PGM_RSRC2:TIDIG_COMP_CNT: 0
	.section	.text._ZN9rocsparseL19gebsrmvn_4xn_kernelILj128ELj3ELj32EfEEvi20rocsparse_direction_NS_24const_host_device_scalarIT2_EEPKiS6_PKS3_S8_S4_PS3_21rocsparse_index_base_b,"axG",@progbits,_ZN9rocsparseL19gebsrmvn_4xn_kernelILj128ELj3ELj32EfEEvi20rocsparse_direction_NS_24const_host_device_scalarIT2_EEPKiS6_PKS3_S8_S4_PS3_21rocsparse_index_base_b,comdat
	.globl	_ZN9rocsparseL19gebsrmvn_4xn_kernelILj128ELj3ELj32EfEEvi20rocsparse_direction_NS_24const_host_device_scalarIT2_EEPKiS6_PKS3_S8_S4_PS3_21rocsparse_index_base_b ; -- Begin function _ZN9rocsparseL19gebsrmvn_4xn_kernelILj128ELj3ELj32EfEEvi20rocsparse_direction_NS_24const_host_device_scalarIT2_EEPKiS6_PKS3_S8_S4_PS3_21rocsparse_index_base_b
	.p2align	8
	.type	_ZN9rocsparseL19gebsrmvn_4xn_kernelILj128ELj3ELj32EfEEvi20rocsparse_direction_NS_24const_host_device_scalarIT2_EEPKiS6_PKS3_S8_S4_PS3_21rocsparse_index_base_b,@function
_ZN9rocsparseL19gebsrmvn_4xn_kernelILj128ELj3ELj32EfEEvi20rocsparse_direction_NS_24const_host_device_scalarIT2_EEPKiS6_PKS3_S8_S4_PS3_21rocsparse_index_base_b: ; @_ZN9rocsparseL19gebsrmvn_4xn_kernelILj128ELj3ELj32EfEEvi20rocsparse_direction_NS_24const_host_device_scalarIT2_EEPKiS6_PKS3_S8_S4_PS3_21rocsparse_index_base_b
; %bb.0:
	s_clause 0x2
	s_load_b64 s[18:19], s[0:1], 0x40
	s_load_b64 s[16:17], s[0:1], 0x8
	;; [unrolled: 1-line block ×3, first 2 shown]
	s_waitcnt lgkmcnt(0)
	s_bitcmp1_b32 s19, 0
	s_cselect_b32 s2, -1, 0
	s_delay_alu instid0(SALU_CYCLE_1)
	s_and_b32 vcc_lo, exec_lo, s2
	s_xor_b32 s2, s2, -1
	s_cbranch_vccnz .LBB13_2
; %bb.1:
	s_load_b32 s16, s[16:17], 0x0
.LBB13_2:
	s_and_not1_b32 vcc_lo, exec_lo, s2
	s_cbranch_vccnz .LBB13_4
; %bb.3:
	s_load_b32 s12, s[12:13], 0x0
.LBB13_4:
	s_waitcnt lgkmcnt(0)
	v_cmp_eq_f32_e64 s2, s16, 0
	v_cmp_eq_f32_e64 s3, s12, 1.0
	s_delay_alu instid0(VALU_DEP_1) | instskip(NEXT) | instid1(SALU_CYCLE_1)
	s_and_b32 s2, s2, s3
	s_and_b32 vcc_lo, exec_lo, s2
	s_cbranch_vccnz .LBB13_23
; %bb.5:
	s_load_b64 s[2:3], s[0:1], 0x0
	v_lshrrev_b32_e32 v1, 5, v0
	s_delay_alu instid0(VALU_DEP_1) | instskip(SKIP_1) | instid1(VALU_DEP_1)
	v_lshl_or_b32 v4, s15, 2, v1
	s_waitcnt lgkmcnt(0)
	v_cmp_gt_i32_e32 vcc_lo, s2, v4
	s_and_saveexec_b32 s2, vcc_lo
	s_cbranch_execz .LBB13_23
; %bb.6:
	s_load_b256 s[4:11], s[0:1], 0x10
	v_ashrrev_i32_e32 v5, 31, v4
	v_and_b32_e32 v7, 31, v0
	s_cmp_lg_u32 s3, 0
	s_delay_alu instid0(VALU_DEP_2) | instskip(SKIP_1) | instid1(VALU_DEP_1)
	v_lshlrev_b64 v[1:2], 2, v[4:5]
	s_waitcnt lgkmcnt(0)
	v_add_co_u32 v1, vcc_lo, s4, v1
	s_delay_alu instid0(VALU_DEP_2) | instskip(SKIP_4) | instid1(VALU_DEP_2)
	v_add_co_ci_u32_e32 v2, vcc_lo, s5, v2, vcc_lo
	global_load_b64 v[1:2], v[1:2], off
	s_waitcnt vmcnt(0)
	v_subrev_nc_u32_e32 v0, s18, v1
	v_subrev_nc_u32_e32 v12, s18, v2
	v_add_nc_u32_e32 v0, v0, v7
	s_delay_alu instid0(VALU_DEP_1)
	v_cmp_lt_i32_e64 s2, v0, v12
	s_cbranch_scc0 .LBB13_12
; %bb.7:
	v_dual_mov_b32 v8, 0 :: v_dual_mov_b32 v9, 0
	v_dual_mov_b32 v10, 0 :: v_dual_mov_b32 v11, 0
	s_mov_b32 s3, 0
	s_and_saveexec_b32 s4, s2
	s_cbranch_execz .LBB13_11
; %bb.8:
	v_dual_mov_b32 v2, 0 :: v_dual_mov_b32 v5, v0
	v_mul_lo_u32 v1, v0, 12
	s_mov_b32 s5, 0
	s_delay_alu instid0(VALU_DEP_2)
	v_mov_b32_e32 v8, v2
	v_mov_b32_e32 v9, v2
	;; [unrolled: 1-line block ×4, first 2 shown]
.LBB13_9:                               ; =>This Inner Loop Header: Depth=1
	v_ashrrev_i32_e32 v6, 31, v5
	v_dual_mov_b32 v16, v2 :: v_dual_add_nc_u32 v15, 4, v1
	v_dual_mov_b32 v18, v2 :: v_dual_add_nc_u32 v17, 8, v1
	s_delay_alu instid0(VALU_DEP_3) | instskip(SKIP_1) | instid1(VALU_DEP_4)
	v_lshlrev_b64 v[13:14], 2, v[5:6]
	v_mov_b32_e32 v26, v2
	v_lshlrev_b64 v[19:20], 2, v[15:16]
	v_add_nc_u32_e32 v5, 32, v5
	v_lshlrev_b64 v[17:18], 2, v[17:18]
	v_add_co_u32 v13, vcc_lo, s6, v13
	v_add_co_ci_u32_e32 v14, vcc_lo, s7, v14, vcc_lo
	global_load_b32 v3, v[13:14], off
	v_lshlrev_b64 v[13:14], 2, v[1:2]
	v_add_nc_u32_e32 v1, 0x180, v1
	s_delay_alu instid0(VALU_DEP_2) | instskip(NEXT) | instid1(VALU_DEP_3)
	v_add_co_u32 v13, vcc_lo, s8, v13
	v_add_co_ci_u32_e32 v14, vcc_lo, s9, v14, vcc_lo
	v_add_co_u32 v19, vcc_lo, s8, v19
	v_add_co_ci_u32_e32 v20, vcc_lo, s9, v20, vcc_lo
	;; [unrolled: 2-line block ×3, first 2 shown]
	s_clause 0x1
	global_load_b128 v[13:16], v[13:14], off
	global_load_b128 v[17:20], v[19:20], off
	s_waitcnt vmcnt(2)
	v_subrev_nc_u32_e32 v3, s18, v3
	s_delay_alu instid0(VALU_DEP_1) | instskip(SKIP_1) | instid1(VALU_DEP_2)
	v_lshl_add_u32 v21, v3, 1, v3
	v_mov_b32_e32 v22, v2
	v_dual_mov_b32 v24, v2 :: v_dual_add_nc_u32 v25, 2, v21
	v_add_nc_u32_e32 v23, 1, v21
	s_delay_alu instid0(VALU_DEP_3) | instskip(NEXT) | instid1(VALU_DEP_3)
	v_lshlrev_b64 v[21:22], 2, v[21:22]
	v_lshlrev_b64 v[25:26], 2, v[25:26]
	s_delay_alu instid0(VALU_DEP_3) | instskip(NEXT) | instid1(VALU_DEP_3)
	v_lshlrev_b64 v[23:24], 2, v[23:24]
	v_add_co_u32 v21, vcc_lo, s10, v21
	s_delay_alu instid0(VALU_DEP_4)
	v_add_co_ci_u32_e32 v22, vcc_lo, s11, v22, vcc_lo
	global_load_b32 v3, v[21:22], off
	v_add_co_u32 v21, vcc_lo, s10, v23
	v_add_co_ci_u32_e32 v22, vcc_lo, s11, v24, vcc_lo
	v_add_co_u32 v25, vcc_lo, s10, v25
	v_add_co_ci_u32_e32 v26, vcc_lo, s11, v26, vcc_lo
	global_load_b32 v6, v[21:22], off
	global_load_b128 v[21:24], v[27:28], off
	global_load_b32 v25, v[25:26], off
	v_cmp_ge_i32_e32 vcc_lo, v5, v12
	s_or_b32 s5, vcc_lo, s5
	s_waitcnt vmcnt(3)
	v_fmac_f32_e32 v8, v13, v3
	s_waitcnt vmcnt(2)
	s_delay_alu instid0(VALU_DEP_1) | instskip(NEXT) | instid1(VALU_DEP_1)
	v_dual_fmac_f32 v11, v14, v3 :: v_dual_fmac_f32 v8, v17, v6
	v_dual_fmac_f32 v10, v15, v3 :: v_dual_fmac_f32 v11, v18, v6
	s_waitcnt vmcnt(0)
	s_delay_alu instid0(VALU_DEP_2) | instskip(NEXT) | instid1(VALU_DEP_2)
	v_dual_fmac_f32 v9, v16, v3 :: v_dual_fmac_f32 v8, v21, v25
	v_dual_fmac_f32 v10, v19, v6 :: v_dual_fmac_f32 v11, v22, v25
	s_delay_alu instid0(VALU_DEP_1) | instskip(NEXT) | instid1(VALU_DEP_1)
	v_dual_fmac_f32 v9, v20, v6 :: v_dual_fmac_f32 v10, v23, v25
	v_fmac_f32_e32 v9, v24, v25
	s_and_not1_b32 exec_lo, exec_lo, s5
	s_cbranch_execnz .LBB13_9
; %bb.10:
	s_or_b32 exec_lo, exec_lo, s5
.LBB13_11:
	s_delay_alu instid0(SALU_CYCLE_1) | instskip(NEXT) | instid1(SALU_CYCLE_1)
	s_or_b32 exec_lo, exec_lo, s4
	s_and_not1_b32 vcc_lo, exec_lo, s3
	s_cbranch_vccz .LBB13_13
	s_branch .LBB13_18
.LBB13_12:
                                        ; implicit-def: $vgpr8
                                        ; implicit-def: $vgpr9
                                        ; implicit-def: $vgpr10
                                        ; implicit-def: $vgpr11
.LBB13_13:
	v_dual_mov_b32 v8, 0 :: v_dual_mov_b32 v9, 0
	v_dual_mov_b32 v10, 0 :: v_dual_mov_b32 v11, 0
	s_delay_alu instid0(VALU_DEP_3)
	s_and_saveexec_b32 s3, s2
	s_cbranch_execz .LBB13_17
; %bb.14:
	v_mad_u64_u32 v[2:3], null, v0, 12, 11
	v_dual_mov_b32 v6, 0 :: v_dual_mov_b32 v9, 0
	v_dual_mov_b32 v8, 0 :: v_dual_mov_b32 v11, 0
	v_mov_b32_e32 v10, 0
	s_mov_b32 s2, 0
.LBB13_15:                              ; =>This Inner Loop Header: Depth=1
	v_ashrrev_i32_e32 v1, 31, v0
	v_dual_mov_b32 v18, v6 :: v_dual_add_nc_u32 v5, -11, v2
	v_dual_mov_b32 v16, v6 :: v_dual_add_nc_u32 v15, -2, v2
	s_delay_alu instid0(VALU_DEP_3) | instskip(NEXT) | instid1(VALU_DEP_3)
	v_lshlrev_b64 v[13:14], 2, v[0:1]
	v_lshlrev_b64 v[19:20], 2, v[5:6]
	v_dual_mov_b32 v3, v6 :: v_dual_add_nc_u32 v0, 32, v0
	s_delay_alu instid0(VALU_DEP_4) | instskip(NEXT) | instid1(VALU_DEP_4)
	v_lshlrev_b64 v[15:16], 2, v[15:16]
	v_add_co_u32 v13, vcc_lo, s6, v13
	v_add_co_ci_u32_e32 v14, vcc_lo, s7, v14, vcc_lo
	v_add_co_u32 v19, vcc_lo, s8, v19
	v_add_co_ci_u32_e32 v20, vcc_lo, s9, v20, vcc_lo
	global_load_b32 v1, v[13:14], off
	v_dual_mov_b32 v14, v6 :: v_dual_add_nc_u32 v13, -5, v2
	v_lshlrev_b64 v[21:22], 2, v[2:3]
	s_delay_alu instid0(VALU_DEP_2) | instskip(NEXT) | instid1(VALU_DEP_1)
	v_lshlrev_b64 v[13:14], 2, v[13:14]
	v_add_co_u32 v23, vcc_lo, s8, v13
	s_delay_alu instid0(VALU_DEP_2)
	v_add_co_ci_u32_e32 v24, vcc_lo, s9, v14, vcc_lo
	v_add_co_u32 v25, vcc_lo, s8, v15
	v_add_co_ci_u32_e32 v26, vcc_lo, s9, v16, vcc_lo
	s_clause 0x2
	global_load_b128 v[13:16], v[19:20], off
	global_load_b32 v3, v[23:24], off
	global_load_b32 v27, v[25:26], off
	v_add_co_u32 v21, vcc_lo, s8, v21
	v_add_co_ci_u32_e32 v22, vcc_lo, s9, v22, vcc_lo
	s_waitcnt vmcnt(3)
	v_subrev_nc_u32_e32 v1, s18, v1
	s_delay_alu instid0(VALU_DEP_1) | instskip(NEXT) | instid1(VALU_DEP_1)
	v_lshl_add_u32 v17, v1, 1, v1
	v_lshlrev_b64 v[18:19], 2, v[17:18]
	s_delay_alu instid0(VALU_DEP_1) | instskip(NEXT) | instid1(VALU_DEP_2)
	v_add_co_u32 v18, vcc_lo, s10, v18
	v_add_co_ci_u32_e32 v19, vcc_lo, s11, v19, vcc_lo
	global_load_b32 v1, v[18:19], off
	s_waitcnt vmcnt(0)
	v_fmac_f32_e32 v9, v27, v1
	v_fmac_f32_e32 v8, v13, v1
	v_add_nc_u32_e32 v5, 1, v17
	v_fmac_f32_e32 v11, v16, v1
	v_fmac_f32_e32 v10, v3, v1
	s_delay_alu instid0(VALU_DEP_3) | instskip(SKIP_1) | instid1(VALU_DEP_1)
	v_lshlrev_b64 v[23:24], 2, v[5:6]
	v_add_nc_u32_e32 v5, -7, v2
	v_lshlrev_b64 v[25:26], 2, v[5:6]
	s_delay_alu instid0(VALU_DEP_3) | instskip(NEXT) | instid1(VALU_DEP_4)
	v_add_co_u32 v18, vcc_lo, s10, v23
	v_add_co_ci_u32_e32 v19, vcc_lo, s11, v24, vcc_lo
	s_delay_alu instid0(VALU_DEP_3) | instskip(SKIP_3) | instid1(VALU_DEP_2)
	v_add_co_u32 v25, vcc_lo, s8, v25
	global_load_b32 v28, v[18:19], off
	v_add_nc_u32_e32 v5, -4, v2
	v_add_co_ci_u32_e32 v26, vcc_lo, s9, v26, vcc_lo
	v_lshlrev_b64 v[23:24], 2, v[5:6]
	v_add_nc_u32_e32 v5, -1, v2
	global_load_b32 v29, v[25:26], off
	v_add_co_u32 v23, vcc_lo, s8, v23
	v_lshlrev_b64 v[18:19], 2, v[5:6]
	v_add_nc_u32_e32 v5, 2, v17
	v_add_co_ci_u32_e32 v24, vcc_lo, s9, v24, vcc_lo
	s_delay_alu instid0(VALU_DEP_3) | instskip(SKIP_4) | instid1(VALU_DEP_2)
	v_add_co_u32 v17, vcc_lo, s8, v18
	global_load_b32 v30, v[23:24], off
	v_lshlrev_b64 v[25:26], 2, v[5:6]
	v_add_nc_u32_e32 v5, -6, v2
	v_add_co_ci_u32_e32 v18, vcc_lo, s9, v19, vcc_lo
	v_lshlrev_b64 v[19:20], 2, v[5:6]
	global_load_b32 v31, v[17:18], off
	v_add_nc_u32_e32 v5, -3, v2
	v_add_co_u32 v17, vcc_lo, s10, v25
	v_add_co_ci_u32_e32 v18, vcc_lo, s11, v26, vcc_lo
	s_delay_alu instid0(VALU_DEP_3) | instskip(SKIP_3) | instid1(VALU_DEP_4)
	v_lshlrev_b64 v[23:24], 2, v[5:6]
	v_add_co_u32 v19, vcc_lo, s8, v19
	v_add_co_ci_u32_e32 v20, vcc_lo, s9, v20, vcc_lo
	v_add_nc_u32_e32 v2, 0x180, v2
	v_add_co_u32 v23, vcc_lo, s8, v23
	v_add_co_ci_u32_e32 v24, vcc_lo, s9, v24, vcc_lo
	global_load_b32 v5, v[17:18], off
	s_clause 0x2
	global_load_b32 v17, v[19:20], off
	global_load_b32 v18, v[23:24], off
	global_load_b32 v19, v[21:22], off
	v_cmp_ge_i32_e32 vcc_lo, v0, v12
	s_or_b32 s2, vcc_lo, s2
	s_waitcnt vmcnt(5)
	v_fmac_f32_e32 v10, v30, v28
	s_waitcnt vmcnt(4)
	v_fmac_f32_e32 v9, v31, v28
	v_fmac_f32_e32 v8, v14, v28
	s_waitcnt vmcnt(3)
	s_delay_alu instid0(VALU_DEP_1) | instskip(SKIP_1) | instid1(VALU_DEP_1)
	v_dual_fmac_f32 v11, v29, v28 :: v_dual_fmac_f32 v8, v15, v5
	s_waitcnt vmcnt(2)
	v_fmac_f32_e32 v11, v17, v5
	s_waitcnt vmcnt(1)
	v_fmac_f32_e32 v10, v18, v5
	;; [unrolled: 2-line block ×3, first 2 shown]
	s_and_not1_b32 exec_lo, exec_lo, s2
	s_cbranch_execnz .LBB13_15
; %bb.16:
	s_or_b32 exec_lo, exec_lo, s2
.LBB13_17:
	s_delay_alu instid0(SALU_CYCLE_1)
	s_or_b32 exec_lo, exec_lo, s3
.LBB13_18:
	v_mbcnt_lo_u32_b32 v0, -1, 0
	s_mov_b32 s2, -1
	s_delay_alu instid0(VALU_DEP_1) | instskip(SKIP_1) | instid1(VALU_DEP_2)
	v_xor_b32_e32 v1, 16, v0
	v_xor_b32_e32 v6, 8, v0
	v_cmp_gt_i32_e32 vcc_lo, 32, v1
	v_cndmask_b32_e32 v1, v0, v1, vcc_lo
	s_delay_alu instid0(VALU_DEP_3) | instskip(SKIP_1) | instid1(VALU_DEP_1)
	v_cmp_gt_i32_e32 vcc_lo, 32, v6
	v_cndmask_b32_e32 v6, v0, v6, vcc_lo
	v_lshlrev_b32_e32 v6, 2, v6
	s_delay_alu instid0(VALU_DEP_4)
	v_lshlrev_b32_e32 v1, 2, v1
	ds_bpermute_b32 v2, v1, v8
	s_waitcnt lgkmcnt(0)
	v_add_f32_e32 v2, v8, v2
	ds_bpermute_b32 v5, v1, v10
	ds_bpermute_b32 v3, v1, v11
	;; [unrolled: 1-line block ×4, first 2 shown]
	s_waitcnt lgkmcnt(3)
	v_add_f32_e32 v5, v10, v5
	s_waitcnt lgkmcnt(2)
	v_add_f32_e32 v3, v11, v3
	;; [unrolled: 2-line block ×3, first 2 shown]
	v_xor_b32_e32 v11, 4, v0
	s_waitcnt lgkmcnt(0)
	v_add_f32_e32 v2, v2, v8
	ds_bpermute_b32 v10, v6, v5
	ds_bpermute_b32 v9, v6, v3
	;; [unrolled: 1-line block ×3, first 2 shown]
	v_cmp_gt_i32_e32 vcc_lo, 32, v11
	v_cndmask_b32_e32 v11, v0, v11, vcc_lo
	s_delay_alu instid0(VALU_DEP_1)
	v_lshlrev_b32_e32 v11, 2, v11
	s_waitcnt lgkmcnt(2)
	v_add_f32_e32 v5, v5, v10
	s_waitcnt lgkmcnt(1)
	v_add_f32_e32 v3, v3, v9
	;; [unrolled: 2-line block ×3, first 2 shown]
	ds_bpermute_b32 v6, v11, v2
	ds_bpermute_b32 v9, v11, v5
	;; [unrolled: 1-line block ×4, first 2 shown]
	v_xor_b32_e32 v11, 2, v0
	s_delay_alu instid0(VALU_DEP_1)
	v_cmp_gt_i32_e32 vcc_lo, 32, v11
	s_waitcnt lgkmcnt(2)
	v_dual_add_f32 v2, v2, v6 :: v_dual_add_f32 v5, v5, v9
	v_cndmask_b32_e32 v11, v0, v11, vcc_lo
	s_waitcnt lgkmcnt(0)
	v_dual_add_f32 v3, v3, v8 :: v_dual_add_f32 v6, v1, v10
	s_delay_alu instid0(VALU_DEP_2)
	v_lshlrev_b32_e32 v11, 2, v11
	ds_bpermute_b32 v1, v11, v2
	ds_bpermute_b32 v8, v11, v3
	;; [unrolled: 1-line block ×4, first 2 shown]
	v_xor_b32_e32 v11, 1, v0
	s_delay_alu instid0(VALU_DEP_1) | instskip(SKIP_3) | instid1(VALU_DEP_2)
	v_cmp_gt_i32_e32 vcc_lo, 32, v11
	v_cndmask_b32_e32 v0, v0, v11, vcc_lo
	v_cmp_eq_u32_e32 vcc_lo, 31, v7
	s_waitcnt lgkmcnt(3)
	v_dual_add_f32 v0, v2, v1 :: v_dual_lshlrev_b32 v11, 2, v0
	s_waitcnt lgkmcnt(1)
	v_dual_add_f32 v1, v3, v8 :: v_dual_add_f32 v2, v5, v9
	s_waitcnt lgkmcnt(0)
	v_add_f32_e32 v3, v6, v10
	ds_bpermute_b32 v5, v11, v0
	ds_bpermute_b32 v6, v11, v1
	;; [unrolled: 1-line block ×4, first 2 shown]
	s_and_b32 exec_lo, exec_lo, vcc_lo
	s_cbranch_execz .LBB13_23
; %bb.19:
	s_load_b64 s[0:1], s[0:1], 0x38
	s_waitcnt lgkmcnt(0)
	v_dual_add_f32 v0, v0, v5 :: v_dual_add_f32 v1, v1, v6
	v_dual_add_f32 v2, v2, v8 :: v_dual_add_f32 v3, v3, v9
	v_cmp_eq_f32_e64 s3, s12, 0
	s_delay_alu instid0(VALU_DEP_3) | instskip(NEXT) | instid1(VALU_DEP_3)
	v_dual_mul_f32 v0, s16, v0 :: v_dual_mul_f32 v1, s16, v1
	v_dual_mul_f32 v2, s16, v2 :: v_dual_mul_f32 v3, s16, v3
	v_lshlrev_b32_e32 v4, 2, v4
	s_delay_alu instid0(VALU_DEP_4)
	s_and_b32 vcc_lo, exec_lo, s3
	s_cbranch_vccz .LBB13_21
; %bb.20:
	s_delay_alu instid0(VALU_DEP_1) | instskip(SKIP_1) | instid1(VALU_DEP_1)
	v_ashrrev_i32_e32 v5, 31, v4
	s_mov_b32 s2, 0
	v_lshlrev_b64 v[5:6], 2, v[4:5]
	s_delay_alu instid0(VALU_DEP_1) | instskip(NEXT) | instid1(VALU_DEP_2)
	v_add_co_u32 v5, vcc_lo, s0, v5
	v_add_co_ci_u32_e32 v6, vcc_lo, s1, v6, vcc_lo
	global_store_b128 v[5:6], v[0:3], off
.LBB13_21:
	s_and_not1_b32 vcc_lo, exec_lo, s2
	s_cbranch_vccnz .LBB13_23
; %bb.22:
	v_ashrrev_i32_e32 v5, 31, v4
	s_delay_alu instid0(VALU_DEP_1) | instskip(NEXT) | instid1(VALU_DEP_1)
	v_lshlrev_b64 v[4:5], 2, v[4:5]
	v_add_co_u32 v8, vcc_lo, s0, v4
	s_delay_alu instid0(VALU_DEP_2)
	v_add_co_ci_u32_e32 v9, vcc_lo, s1, v5, vcc_lo
	global_load_b128 v[4:7], v[8:9], off
	s_waitcnt vmcnt(0)
	v_dual_fmac_f32 v0, s12, v4 :: v_dual_fmac_f32 v1, s12, v5
	v_dual_fmac_f32 v2, s12, v6 :: v_dual_fmac_f32 v3, s12, v7
	global_store_b128 v[8:9], v[0:3], off
.LBB13_23:
	s_nop 0
	s_sendmsg sendmsg(MSG_DEALLOC_VGPRS)
	s_endpgm
	.section	.rodata,"a",@progbits
	.p2align	6, 0x0
	.amdhsa_kernel _ZN9rocsparseL19gebsrmvn_4xn_kernelILj128ELj3ELj32EfEEvi20rocsparse_direction_NS_24const_host_device_scalarIT2_EEPKiS6_PKS3_S8_S4_PS3_21rocsparse_index_base_b
		.amdhsa_group_segment_fixed_size 0
		.amdhsa_private_segment_fixed_size 0
		.amdhsa_kernarg_size 72
		.amdhsa_user_sgpr_count 15
		.amdhsa_user_sgpr_dispatch_ptr 0
		.amdhsa_user_sgpr_queue_ptr 0
		.amdhsa_user_sgpr_kernarg_segment_ptr 1
		.amdhsa_user_sgpr_dispatch_id 0
		.amdhsa_user_sgpr_private_segment_size 0
		.amdhsa_wavefront_size32 1
		.amdhsa_uses_dynamic_stack 0
		.amdhsa_enable_private_segment 0
		.amdhsa_system_sgpr_workgroup_id_x 1
		.amdhsa_system_sgpr_workgroup_id_y 0
		.amdhsa_system_sgpr_workgroup_id_z 0
		.amdhsa_system_sgpr_workgroup_info 0
		.amdhsa_system_vgpr_workitem_id 0
		.amdhsa_next_free_vgpr 32
		.amdhsa_next_free_sgpr 20
		.amdhsa_reserve_vcc 1
		.amdhsa_float_round_mode_32 0
		.amdhsa_float_round_mode_16_64 0
		.amdhsa_float_denorm_mode_32 3
		.amdhsa_float_denorm_mode_16_64 3
		.amdhsa_dx10_clamp 1
		.amdhsa_ieee_mode 1
		.amdhsa_fp16_overflow 0
		.amdhsa_workgroup_processor_mode 1
		.amdhsa_memory_ordered 1
		.amdhsa_forward_progress 0
		.amdhsa_shared_vgpr_count 0
		.amdhsa_exception_fp_ieee_invalid_op 0
		.amdhsa_exception_fp_denorm_src 0
		.amdhsa_exception_fp_ieee_div_zero 0
		.amdhsa_exception_fp_ieee_overflow 0
		.amdhsa_exception_fp_ieee_underflow 0
		.amdhsa_exception_fp_ieee_inexact 0
		.amdhsa_exception_int_div_zero 0
	.end_amdhsa_kernel
	.section	.text._ZN9rocsparseL19gebsrmvn_4xn_kernelILj128ELj3ELj32EfEEvi20rocsparse_direction_NS_24const_host_device_scalarIT2_EEPKiS6_PKS3_S8_S4_PS3_21rocsparse_index_base_b,"axG",@progbits,_ZN9rocsparseL19gebsrmvn_4xn_kernelILj128ELj3ELj32EfEEvi20rocsparse_direction_NS_24const_host_device_scalarIT2_EEPKiS6_PKS3_S8_S4_PS3_21rocsparse_index_base_b,comdat
.Lfunc_end13:
	.size	_ZN9rocsparseL19gebsrmvn_4xn_kernelILj128ELj3ELj32EfEEvi20rocsparse_direction_NS_24const_host_device_scalarIT2_EEPKiS6_PKS3_S8_S4_PS3_21rocsparse_index_base_b, .Lfunc_end13-_ZN9rocsparseL19gebsrmvn_4xn_kernelILj128ELj3ELj32EfEEvi20rocsparse_direction_NS_24const_host_device_scalarIT2_EEPKiS6_PKS3_S8_S4_PS3_21rocsparse_index_base_b
                                        ; -- End function
	.section	.AMDGPU.csdata,"",@progbits
; Kernel info:
; codeLenInByte = 2004
; NumSgprs: 22
; NumVgprs: 32
; ScratchSize: 0
; MemoryBound: 0
; FloatMode: 240
; IeeeMode: 1
; LDSByteSize: 0 bytes/workgroup (compile time only)
; SGPRBlocks: 2
; VGPRBlocks: 3
; NumSGPRsForWavesPerEU: 22
; NumVGPRsForWavesPerEU: 32
; Occupancy: 16
; WaveLimiterHint : 1
; COMPUTE_PGM_RSRC2:SCRATCH_EN: 0
; COMPUTE_PGM_RSRC2:USER_SGPR: 15
; COMPUTE_PGM_RSRC2:TRAP_HANDLER: 0
; COMPUTE_PGM_RSRC2:TGID_X_EN: 1
; COMPUTE_PGM_RSRC2:TGID_Y_EN: 0
; COMPUTE_PGM_RSRC2:TGID_Z_EN: 0
; COMPUTE_PGM_RSRC2:TIDIG_COMP_CNT: 0
	.section	.text._ZN9rocsparseL19gebsrmvn_4xn_kernelILj128ELj3ELj64EfEEvi20rocsparse_direction_NS_24const_host_device_scalarIT2_EEPKiS6_PKS3_S8_S4_PS3_21rocsparse_index_base_b,"axG",@progbits,_ZN9rocsparseL19gebsrmvn_4xn_kernelILj128ELj3ELj64EfEEvi20rocsparse_direction_NS_24const_host_device_scalarIT2_EEPKiS6_PKS3_S8_S4_PS3_21rocsparse_index_base_b,comdat
	.globl	_ZN9rocsparseL19gebsrmvn_4xn_kernelILj128ELj3ELj64EfEEvi20rocsparse_direction_NS_24const_host_device_scalarIT2_EEPKiS6_PKS3_S8_S4_PS3_21rocsparse_index_base_b ; -- Begin function _ZN9rocsparseL19gebsrmvn_4xn_kernelILj128ELj3ELj64EfEEvi20rocsparse_direction_NS_24const_host_device_scalarIT2_EEPKiS6_PKS3_S8_S4_PS3_21rocsparse_index_base_b
	.p2align	8
	.type	_ZN9rocsparseL19gebsrmvn_4xn_kernelILj128ELj3ELj64EfEEvi20rocsparse_direction_NS_24const_host_device_scalarIT2_EEPKiS6_PKS3_S8_S4_PS3_21rocsparse_index_base_b,@function
_ZN9rocsparseL19gebsrmvn_4xn_kernelILj128ELj3ELj64EfEEvi20rocsparse_direction_NS_24const_host_device_scalarIT2_EEPKiS6_PKS3_S8_S4_PS3_21rocsparse_index_base_b: ; @_ZN9rocsparseL19gebsrmvn_4xn_kernelILj128ELj3ELj64EfEEvi20rocsparse_direction_NS_24const_host_device_scalarIT2_EEPKiS6_PKS3_S8_S4_PS3_21rocsparse_index_base_b
; %bb.0:
	s_clause 0x2
	s_load_b64 s[18:19], s[0:1], 0x40
	s_load_b64 s[16:17], s[0:1], 0x8
	;; [unrolled: 1-line block ×3, first 2 shown]
	s_waitcnt lgkmcnt(0)
	s_bitcmp1_b32 s19, 0
	s_cselect_b32 s2, -1, 0
	s_delay_alu instid0(SALU_CYCLE_1)
	s_and_b32 vcc_lo, exec_lo, s2
	s_xor_b32 s2, s2, -1
	s_cbranch_vccnz .LBB14_2
; %bb.1:
	s_load_b32 s16, s[16:17], 0x0
.LBB14_2:
	s_and_not1_b32 vcc_lo, exec_lo, s2
	s_cbranch_vccnz .LBB14_4
; %bb.3:
	s_load_b32 s12, s[12:13], 0x0
.LBB14_4:
	s_waitcnt lgkmcnt(0)
	v_cmp_eq_f32_e64 s2, s16, 0
	v_cmp_eq_f32_e64 s3, s12, 1.0
	s_delay_alu instid0(VALU_DEP_1) | instskip(NEXT) | instid1(SALU_CYCLE_1)
	s_and_b32 s2, s2, s3
	s_and_b32 vcc_lo, exec_lo, s2
	s_cbranch_vccnz .LBB14_23
; %bb.5:
	s_load_b64 s[2:3], s[0:1], 0x0
	v_lshrrev_b32_e32 v1, 6, v0
	s_delay_alu instid0(VALU_DEP_1) | instskip(SKIP_1) | instid1(VALU_DEP_1)
	v_lshl_or_b32 v4, s15, 1, v1
	s_waitcnt lgkmcnt(0)
	v_cmp_gt_i32_e32 vcc_lo, s2, v4
	s_and_saveexec_b32 s2, vcc_lo
	s_cbranch_execz .LBB14_23
; %bb.6:
	s_load_b256 s[4:11], s[0:1], 0x10
	v_ashrrev_i32_e32 v5, 31, v4
	v_and_b32_e32 v7, 63, v0
	s_cmp_lg_u32 s3, 0
	s_delay_alu instid0(VALU_DEP_2) | instskip(SKIP_1) | instid1(VALU_DEP_1)
	v_lshlrev_b64 v[1:2], 2, v[4:5]
	s_waitcnt lgkmcnt(0)
	v_add_co_u32 v1, vcc_lo, s4, v1
	s_delay_alu instid0(VALU_DEP_2) | instskip(SKIP_4) | instid1(VALU_DEP_2)
	v_add_co_ci_u32_e32 v2, vcc_lo, s5, v2, vcc_lo
	global_load_b64 v[1:2], v[1:2], off
	s_waitcnt vmcnt(0)
	v_subrev_nc_u32_e32 v0, s18, v1
	v_subrev_nc_u32_e32 v12, s18, v2
	v_add_nc_u32_e32 v0, v0, v7
	s_delay_alu instid0(VALU_DEP_1)
	v_cmp_lt_i32_e64 s2, v0, v12
	s_cbranch_scc0 .LBB14_12
; %bb.7:
	v_dual_mov_b32 v8, 0 :: v_dual_mov_b32 v9, 0
	v_dual_mov_b32 v10, 0 :: v_dual_mov_b32 v11, 0
	s_mov_b32 s3, 0
	s_and_saveexec_b32 s4, s2
	s_cbranch_execz .LBB14_11
; %bb.8:
	v_dual_mov_b32 v2, 0 :: v_dual_mov_b32 v5, v0
	v_mul_lo_u32 v1, v0, 12
	s_mov_b32 s5, 0
	s_delay_alu instid0(VALU_DEP_2)
	v_mov_b32_e32 v8, v2
	v_mov_b32_e32 v9, v2
	;; [unrolled: 1-line block ×4, first 2 shown]
.LBB14_9:                               ; =>This Inner Loop Header: Depth=1
	v_ashrrev_i32_e32 v6, 31, v5
	v_dual_mov_b32 v16, v2 :: v_dual_add_nc_u32 v15, 4, v1
	v_dual_mov_b32 v18, v2 :: v_dual_add_nc_u32 v17, 8, v1
	s_delay_alu instid0(VALU_DEP_3) | instskip(SKIP_1) | instid1(VALU_DEP_4)
	v_lshlrev_b64 v[13:14], 2, v[5:6]
	v_mov_b32_e32 v26, v2
	v_lshlrev_b64 v[19:20], 2, v[15:16]
	v_add_nc_u32_e32 v5, 64, v5
	v_lshlrev_b64 v[17:18], 2, v[17:18]
	v_add_co_u32 v13, vcc_lo, s6, v13
	v_add_co_ci_u32_e32 v14, vcc_lo, s7, v14, vcc_lo
	global_load_b32 v3, v[13:14], off
	v_lshlrev_b64 v[13:14], 2, v[1:2]
	v_add_nc_u32_e32 v1, 0x300, v1
	s_delay_alu instid0(VALU_DEP_2) | instskip(NEXT) | instid1(VALU_DEP_3)
	v_add_co_u32 v13, vcc_lo, s8, v13
	v_add_co_ci_u32_e32 v14, vcc_lo, s9, v14, vcc_lo
	v_add_co_u32 v19, vcc_lo, s8, v19
	v_add_co_ci_u32_e32 v20, vcc_lo, s9, v20, vcc_lo
	;; [unrolled: 2-line block ×3, first 2 shown]
	s_clause 0x1
	global_load_b128 v[13:16], v[13:14], off
	global_load_b128 v[17:20], v[19:20], off
	s_waitcnt vmcnt(2)
	v_subrev_nc_u32_e32 v3, s18, v3
	s_delay_alu instid0(VALU_DEP_1) | instskip(SKIP_1) | instid1(VALU_DEP_2)
	v_lshl_add_u32 v21, v3, 1, v3
	v_mov_b32_e32 v22, v2
	v_dual_mov_b32 v24, v2 :: v_dual_add_nc_u32 v25, 2, v21
	v_add_nc_u32_e32 v23, 1, v21
	s_delay_alu instid0(VALU_DEP_3) | instskip(NEXT) | instid1(VALU_DEP_3)
	v_lshlrev_b64 v[21:22], 2, v[21:22]
	v_lshlrev_b64 v[25:26], 2, v[25:26]
	s_delay_alu instid0(VALU_DEP_3) | instskip(NEXT) | instid1(VALU_DEP_3)
	v_lshlrev_b64 v[23:24], 2, v[23:24]
	v_add_co_u32 v21, vcc_lo, s10, v21
	s_delay_alu instid0(VALU_DEP_4)
	v_add_co_ci_u32_e32 v22, vcc_lo, s11, v22, vcc_lo
	global_load_b32 v3, v[21:22], off
	v_add_co_u32 v21, vcc_lo, s10, v23
	v_add_co_ci_u32_e32 v22, vcc_lo, s11, v24, vcc_lo
	v_add_co_u32 v25, vcc_lo, s10, v25
	v_add_co_ci_u32_e32 v26, vcc_lo, s11, v26, vcc_lo
	global_load_b32 v6, v[21:22], off
	global_load_b128 v[21:24], v[27:28], off
	global_load_b32 v25, v[25:26], off
	v_cmp_ge_i32_e32 vcc_lo, v5, v12
	s_or_b32 s5, vcc_lo, s5
	s_waitcnt vmcnt(3)
	v_fmac_f32_e32 v8, v13, v3
	s_waitcnt vmcnt(2)
	s_delay_alu instid0(VALU_DEP_1) | instskip(NEXT) | instid1(VALU_DEP_1)
	v_dual_fmac_f32 v11, v14, v3 :: v_dual_fmac_f32 v8, v17, v6
	v_dual_fmac_f32 v10, v15, v3 :: v_dual_fmac_f32 v11, v18, v6
	s_waitcnt vmcnt(0)
	s_delay_alu instid0(VALU_DEP_2) | instskip(NEXT) | instid1(VALU_DEP_2)
	v_dual_fmac_f32 v9, v16, v3 :: v_dual_fmac_f32 v8, v21, v25
	v_dual_fmac_f32 v10, v19, v6 :: v_dual_fmac_f32 v11, v22, v25
	s_delay_alu instid0(VALU_DEP_1) | instskip(NEXT) | instid1(VALU_DEP_1)
	v_dual_fmac_f32 v9, v20, v6 :: v_dual_fmac_f32 v10, v23, v25
	v_fmac_f32_e32 v9, v24, v25
	s_and_not1_b32 exec_lo, exec_lo, s5
	s_cbranch_execnz .LBB14_9
; %bb.10:
	s_or_b32 exec_lo, exec_lo, s5
.LBB14_11:
	s_delay_alu instid0(SALU_CYCLE_1) | instskip(NEXT) | instid1(SALU_CYCLE_1)
	s_or_b32 exec_lo, exec_lo, s4
	s_and_not1_b32 vcc_lo, exec_lo, s3
	s_cbranch_vccz .LBB14_13
	s_branch .LBB14_18
.LBB14_12:
                                        ; implicit-def: $vgpr8
                                        ; implicit-def: $vgpr9
                                        ; implicit-def: $vgpr10
                                        ; implicit-def: $vgpr11
.LBB14_13:
	v_dual_mov_b32 v8, 0 :: v_dual_mov_b32 v9, 0
	v_dual_mov_b32 v10, 0 :: v_dual_mov_b32 v11, 0
	s_delay_alu instid0(VALU_DEP_3)
	s_and_saveexec_b32 s3, s2
	s_cbranch_execz .LBB14_17
; %bb.14:
	v_mad_u64_u32 v[2:3], null, v0, 12, 11
	v_dual_mov_b32 v6, 0 :: v_dual_mov_b32 v9, 0
	v_dual_mov_b32 v8, 0 :: v_dual_mov_b32 v11, 0
	v_mov_b32_e32 v10, 0
	s_mov_b32 s2, 0
.LBB14_15:                              ; =>This Inner Loop Header: Depth=1
	v_ashrrev_i32_e32 v1, 31, v0
	v_dual_mov_b32 v18, v6 :: v_dual_add_nc_u32 v5, -11, v2
	v_dual_mov_b32 v16, v6 :: v_dual_add_nc_u32 v15, -2, v2
	s_delay_alu instid0(VALU_DEP_3) | instskip(NEXT) | instid1(VALU_DEP_3)
	v_lshlrev_b64 v[13:14], 2, v[0:1]
	v_lshlrev_b64 v[19:20], 2, v[5:6]
	v_dual_mov_b32 v3, v6 :: v_dual_add_nc_u32 v0, 64, v0
	s_delay_alu instid0(VALU_DEP_4) | instskip(NEXT) | instid1(VALU_DEP_4)
	v_lshlrev_b64 v[15:16], 2, v[15:16]
	v_add_co_u32 v13, vcc_lo, s6, v13
	v_add_co_ci_u32_e32 v14, vcc_lo, s7, v14, vcc_lo
	v_add_co_u32 v19, vcc_lo, s8, v19
	v_add_co_ci_u32_e32 v20, vcc_lo, s9, v20, vcc_lo
	global_load_b32 v1, v[13:14], off
	v_dual_mov_b32 v14, v6 :: v_dual_add_nc_u32 v13, -5, v2
	v_lshlrev_b64 v[21:22], 2, v[2:3]
	s_delay_alu instid0(VALU_DEP_2) | instskip(NEXT) | instid1(VALU_DEP_1)
	v_lshlrev_b64 v[13:14], 2, v[13:14]
	v_add_co_u32 v23, vcc_lo, s8, v13
	s_delay_alu instid0(VALU_DEP_2)
	v_add_co_ci_u32_e32 v24, vcc_lo, s9, v14, vcc_lo
	v_add_co_u32 v25, vcc_lo, s8, v15
	v_add_co_ci_u32_e32 v26, vcc_lo, s9, v16, vcc_lo
	s_clause 0x2
	global_load_b128 v[13:16], v[19:20], off
	global_load_b32 v3, v[23:24], off
	global_load_b32 v27, v[25:26], off
	v_add_co_u32 v21, vcc_lo, s8, v21
	v_add_co_ci_u32_e32 v22, vcc_lo, s9, v22, vcc_lo
	s_waitcnt vmcnt(3)
	v_subrev_nc_u32_e32 v1, s18, v1
	s_delay_alu instid0(VALU_DEP_1) | instskip(NEXT) | instid1(VALU_DEP_1)
	v_lshl_add_u32 v17, v1, 1, v1
	v_lshlrev_b64 v[18:19], 2, v[17:18]
	s_delay_alu instid0(VALU_DEP_1) | instskip(NEXT) | instid1(VALU_DEP_2)
	v_add_co_u32 v18, vcc_lo, s10, v18
	v_add_co_ci_u32_e32 v19, vcc_lo, s11, v19, vcc_lo
	global_load_b32 v1, v[18:19], off
	s_waitcnt vmcnt(0)
	v_fmac_f32_e32 v9, v27, v1
	v_fmac_f32_e32 v8, v13, v1
	v_add_nc_u32_e32 v5, 1, v17
	v_fmac_f32_e32 v11, v16, v1
	v_fmac_f32_e32 v10, v3, v1
	s_delay_alu instid0(VALU_DEP_3) | instskip(SKIP_1) | instid1(VALU_DEP_1)
	v_lshlrev_b64 v[23:24], 2, v[5:6]
	v_add_nc_u32_e32 v5, -7, v2
	v_lshlrev_b64 v[25:26], 2, v[5:6]
	s_delay_alu instid0(VALU_DEP_3) | instskip(NEXT) | instid1(VALU_DEP_4)
	v_add_co_u32 v18, vcc_lo, s10, v23
	v_add_co_ci_u32_e32 v19, vcc_lo, s11, v24, vcc_lo
	s_delay_alu instid0(VALU_DEP_3) | instskip(SKIP_3) | instid1(VALU_DEP_2)
	v_add_co_u32 v25, vcc_lo, s8, v25
	global_load_b32 v28, v[18:19], off
	v_add_nc_u32_e32 v5, -4, v2
	v_add_co_ci_u32_e32 v26, vcc_lo, s9, v26, vcc_lo
	v_lshlrev_b64 v[23:24], 2, v[5:6]
	v_add_nc_u32_e32 v5, -1, v2
	global_load_b32 v29, v[25:26], off
	v_add_co_u32 v23, vcc_lo, s8, v23
	v_lshlrev_b64 v[18:19], 2, v[5:6]
	v_add_nc_u32_e32 v5, 2, v17
	v_add_co_ci_u32_e32 v24, vcc_lo, s9, v24, vcc_lo
	s_delay_alu instid0(VALU_DEP_3) | instskip(SKIP_4) | instid1(VALU_DEP_2)
	v_add_co_u32 v17, vcc_lo, s8, v18
	global_load_b32 v30, v[23:24], off
	v_lshlrev_b64 v[25:26], 2, v[5:6]
	v_add_nc_u32_e32 v5, -6, v2
	v_add_co_ci_u32_e32 v18, vcc_lo, s9, v19, vcc_lo
	v_lshlrev_b64 v[19:20], 2, v[5:6]
	global_load_b32 v31, v[17:18], off
	v_add_nc_u32_e32 v5, -3, v2
	v_add_co_u32 v17, vcc_lo, s10, v25
	v_add_co_ci_u32_e32 v18, vcc_lo, s11, v26, vcc_lo
	s_delay_alu instid0(VALU_DEP_3) | instskip(SKIP_3) | instid1(VALU_DEP_4)
	v_lshlrev_b64 v[23:24], 2, v[5:6]
	v_add_co_u32 v19, vcc_lo, s8, v19
	v_add_co_ci_u32_e32 v20, vcc_lo, s9, v20, vcc_lo
	v_add_nc_u32_e32 v2, 0x300, v2
	v_add_co_u32 v23, vcc_lo, s8, v23
	v_add_co_ci_u32_e32 v24, vcc_lo, s9, v24, vcc_lo
	global_load_b32 v5, v[17:18], off
	s_clause 0x2
	global_load_b32 v17, v[19:20], off
	global_load_b32 v18, v[23:24], off
	;; [unrolled: 1-line block ×3, first 2 shown]
	v_cmp_ge_i32_e32 vcc_lo, v0, v12
	s_or_b32 s2, vcc_lo, s2
	s_waitcnt vmcnt(5)
	v_fmac_f32_e32 v10, v30, v28
	s_waitcnt vmcnt(4)
	v_fmac_f32_e32 v9, v31, v28
	v_fmac_f32_e32 v8, v14, v28
	s_waitcnt vmcnt(3)
	s_delay_alu instid0(VALU_DEP_1) | instskip(SKIP_1) | instid1(VALU_DEP_1)
	v_dual_fmac_f32 v11, v29, v28 :: v_dual_fmac_f32 v8, v15, v5
	s_waitcnt vmcnt(2)
	v_fmac_f32_e32 v11, v17, v5
	s_waitcnt vmcnt(1)
	v_fmac_f32_e32 v10, v18, v5
	;; [unrolled: 2-line block ×3, first 2 shown]
	s_and_not1_b32 exec_lo, exec_lo, s2
	s_cbranch_execnz .LBB14_15
; %bb.16:
	s_or_b32 exec_lo, exec_lo, s2
.LBB14_17:
	s_delay_alu instid0(SALU_CYCLE_1)
	s_or_b32 exec_lo, exec_lo, s3
.LBB14_18:
	v_mbcnt_lo_u32_b32 v0, -1, 0
	s_mov_b32 s2, -1
	s_delay_alu instid0(VALU_DEP_1) | instskip(SKIP_1) | instid1(VALU_DEP_2)
	v_or_b32_e32 v1, 32, v0
	v_xor_b32_e32 v6, 16, v0
	v_cmp_gt_i32_e32 vcc_lo, 32, v1
	v_cndmask_b32_e32 v1, v0, v1, vcc_lo
	s_delay_alu instid0(VALU_DEP_3) | instskip(SKIP_1) | instid1(VALU_DEP_1)
	v_cmp_gt_i32_e32 vcc_lo, 32, v6
	v_cndmask_b32_e32 v6, v0, v6, vcc_lo
	v_lshlrev_b32_e32 v6, 2, v6
	s_delay_alu instid0(VALU_DEP_4)
	v_lshlrev_b32_e32 v1, 2, v1
	ds_bpermute_b32 v2, v1, v8
	s_waitcnt lgkmcnt(0)
	v_add_f32_e32 v2, v8, v2
	ds_bpermute_b32 v3, v1, v11
	ds_bpermute_b32 v5, v1, v10
	;; [unrolled: 1-line block ×4, first 2 shown]
	s_waitcnt lgkmcnt(3)
	v_add_f32_e32 v3, v11, v3
	s_waitcnt lgkmcnt(2)
	v_add_f32_e32 v5, v10, v5
	;; [unrolled: 2-line block ×3, first 2 shown]
	v_xor_b32_e32 v11, 8, v0
	s_waitcnt lgkmcnt(0)
	v_add_f32_e32 v2, v2, v8
	ds_bpermute_b32 v9, v6, v3
	ds_bpermute_b32 v10, v6, v5
	;; [unrolled: 1-line block ×3, first 2 shown]
	v_cmp_gt_i32_e32 vcc_lo, 32, v11
	v_cndmask_b32_e32 v11, v0, v11, vcc_lo
	s_delay_alu instid0(VALU_DEP_1)
	v_lshlrev_b32_e32 v11, 2, v11
	s_waitcnt lgkmcnt(2)
	v_add_f32_e32 v3, v3, v9
	s_waitcnt lgkmcnt(1)
	v_add_f32_e32 v5, v5, v10
	;; [unrolled: 2-line block ×3, first 2 shown]
	ds_bpermute_b32 v6, v11, v2
	ds_bpermute_b32 v8, v11, v3
	;; [unrolled: 1-line block ×4, first 2 shown]
	v_xor_b32_e32 v11, 4, v0
	s_delay_alu instid0(VALU_DEP_1) | instskip(SKIP_2) | instid1(VALU_DEP_1)
	v_cmp_gt_i32_e32 vcc_lo, 32, v11
	v_cndmask_b32_e32 v11, v0, v11, vcc_lo
	s_waitcnt lgkmcnt(3)
	v_dual_add_f32 v2, v2, v6 :: v_dual_lshlrev_b32 v11, 2, v11
	s_waitcnt lgkmcnt(2)
	v_add_f32_e32 v3, v3, v8
	s_waitcnt lgkmcnt(1)
	v_add_f32_e32 v5, v5, v9
	;; [unrolled: 2-line block ×3, first 2 shown]
	ds_bpermute_b32 v6, v11, v2
	ds_bpermute_b32 v8, v11, v3
	;; [unrolled: 1-line block ×4, first 2 shown]
	v_xor_b32_e32 v11, 2, v0
	s_delay_alu instid0(VALU_DEP_1) | instskip(SKIP_2) | instid1(VALU_DEP_1)
	v_cmp_gt_i32_e32 vcc_lo, 32, v11
	v_cndmask_b32_e32 v11, v0, v11, vcc_lo
	s_waitcnt lgkmcnt(3)
	v_dual_add_f32 v2, v2, v6 :: v_dual_lshlrev_b32 v11, 2, v11
	s_waitcnt lgkmcnt(2)
	v_add_f32_e32 v3, v3, v8
	s_waitcnt lgkmcnt(1)
	v_add_f32_e32 v5, v5, v9
	;; [unrolled: 2-line block ×3, first 2 shown]
	ds_bpermute_b32 v1, v11, v2
	ds_bpermute_b32 v8, v11, v3
	ds_bpermute_b32 v9, v11, v5
	ds_bpermute_b32 v10, v11, v6
	v_xor_b32_e32 v11, 1, v0
	s_delay_alu instid0(VALU_DEP_1) | instskip(SKIP_3) | instid1(VALU_DEP_2)
	v_cmp_gt_i32_e32 vcc_lo, 32, v11
	v_cndmask_b32_e32 v0, v0, v11, vcc_lo
	v_cmp_eq_u32_e32 vcc_lo, 63, v7
	s_waitcnt lgkmcnt(3)
	v_dual_add_f32 v0, v2, v1 :: v_dual_lshlrev_b32 v11, 2, v0
	s_waitcnt lgkmcnt(1)
	v_dual_add_f32 v1, v3, v8 :: v_dual_add_f32 v2, v5, v9
	s_waitcnt lgkmcnt(0)
	v_add_f32_e32 v3, v6, v10
	ds_bpermute_b32 v5, v11, v0
	ds_bpermute_b32 v6, v11, v1
	;; [unrolled: 1-line block ×4, first 2 shown]
	s_and_b32 exec_lo, exec_lo, vcc_lo
	s_cbranch_execz .LBB14_23
; %bb.19:
	s_load_b64 s[0:1], s[0:1], 0x38
	s_waitcnt lgkmcnt(0)
	v_dual_add_f32 v0, v0, v5 :: v_dual_add_f32 v1, v1, v6
	v_dual_add_f32 v2, v2, v8 :: v_dual_add_f32 v3, v3, v9
	v_cmp_eq_f32_e64 s3, s12, 0
	s_delay_alu instid0(VALU_DEP_3) | instskip(NEXT) | instid1(VALU_DEP_3)
	v_dual_mul_f32 v0, s16, v0 :: v_dual_mul_f32 v1, s16, v1
	v_dual_mul_f32 v2, s16, v2 :: v_dual_mul_f32 v3, s16, v3
	v_lshlrev_b32_e32 v4, 2, v4
	s_delay_alu instid0(VALU_DEP_4)
	s_and_b32 vcc_lo, exec_lo, s3
	s_cbranch_vccz .LBB14_21
; %bb.20:
	s_delay_alu instid0(VALU_DEP_1) | instskip(SKIP_1) | instid1(VALU_DEP_1)
	v_ashrrev_i32_e32 v5, 31, v4
	s_mov_b32 s2, 0
	v_lshlrev_b64 v[5:6], 2, v[4:5]
	s_delay_alu instid0(VALU_DEP_1) | instskip(NEXT) | instid1(VALU_DEP_2)
	v_add_co_u32 v5, vcc_lo, s0, v5
	v_add_co_ci_u32_e32 v6, vcc_lo, s1, v6, vcc_lo
	global_store_b128 v[5:6], v[0:3], off
.LBB14_21:
	s_and_not1_b32 vcc_lo, exec_lo, s2
	s_cbranch_vccnz .LBB14_23
; %bb.22:
	v_ashrrev_i32_e32 v5, 31, v4
	s_delay_alu instid0(VALU_DEP_1) | instskip(NEXT) | instid1(VALU_DEP_1)
	v_lshlrev_b64 v[4:5], 2, v[4:5]
	v_add_co_u32 v8, vcc_lo, s0, v4
	s_delay_alu instid0(VALU_DEP_2)
	v_add_co_ci_u32_e32 v9, vcc_lo, s1, v5, vcc_lo
	global_load_b128 v[4:7], v[8:9], off
	s_waitcnt vmcnt(0)
	v_dual_fmac_f32 v0, s12, v4 :: v_dual_fmac_f32 v1, s12, v5
	v_dual_fmac_f32 v2, s12, v6 :: v_dual_fmac_f32 v3, s12, v7
	global_store_b128 v[8:9], v[0:3], off
.LBB14_23:
	s_nop 0
	s_sendmsg sendmsg(MSG_DEALLOC_VGPRS)
	s_endpgm
	.section	.rodata,"a",@progbits
	.p2align	6, 0x0
	.amdhsa_kernel _ZN9rocsparseL19gebsrmvn_4xn_kernelILj128ELj3ELj64EfEEvi20rocsparse_direction_NS_24const_host_device_scalarIT2_EEPKiS6_PKS3_S8_S4_PS3_21rocsparse_index_base_b
		.amdhsa_group_segment_fixed_size 0
		.amdhsa_private_segment_fixed_size 0
		.amdhsa_kernarg_size 72
		.amdhsa_user_sgpr_count 15
		.amdhsa_user_sgpr_dispatch_ptr 0
		.amdhsa_user_sgpr_queue_ptr 0
		.amdhsa_user_sgpr_kernarg_segment_ptr 1
		.amdhsa_user_sgpr_dispatch_id 0
		.amdhsa_user_sgpr_private_segment_size 0
		.amdhsa_wavefront_size32 1
		.amdhsa_uses_dynamic_stack 0
		.amdhsa_enable_private_segment 0
		.amdhsa_system_sgpr_workgroup_id_x 1
		.amdhsa_system_sgpr_workgroup_id_y 0
		.amdhsa_system_sgpr_workgroup_id_z 0
		.amdhsa_system_sgpr_workgroup_info 0
		.amdhsa_system_vgpr_workitem_id 0
		.amdhsa_next_free_vgpr 32
		.amdhsa_next_free_sgpr 20
		.amdhsa_reserve_vcc 1
		.amdhsa_float_round_mode_32 0
		.amdhsa_float_round_mode_16_64 0
		.amdhsa_float_denorm_mode_32 3
		.amdhsa_float_denorm_mode_16_64 3
		.amdhsa_dx10_clamp 1
		.amdhsa_ieee_mode 1
		.amdhsa_fp16_overflow 0
		.amdhsa_workgroup_processor_mode 1
		.amdhsa_memory_ordered 1
		.amdhsa_forward_progress 0
		.amdhsa_shared_vgpr_count 0
		.amdhsa_exception_fp_ieee_invalid_op 0
		.amdhsa_exception_fp_denorm_src 0
		.amdhsa_exception_fp_ieee_div_zero 0
		.amdhsa_exception_fp_ieee_overflow 0
		.amdhsa_exception_fp_ieee_underflow 0
		.amdhsa_exception_fp_ieee_inexact 0
		.amdhsa_exception_int_div_zero 0
	.end_amdhsa_kernel
	.section	.text._ZN9rocsparseL19gebsrmvn_4xn_kernelILj128ELj3ELj64EfEEvi20rocsparse_direction_NS_24const_host_device_scalarIT2_EEPKiS6_PKS3_S8_S4_PS3_21rocsparse_index_base_b,"axG",@progbits,_ZN9rocsparseL19gebsrmvn_4xn_kernelILj128ELj3ELj64EfEEvi20rocsparse_direction_NS_24const_host_device_scalarIT2_EEPKiS6_PKS3_S8_S4_PS3_21rocsparse_index_base_b,comdat
.Lfunc_end14:
	.size	_ZN9rocsparseL19gebsrmvn_4xn_kernelILj128ELj3ELj64EfEEvi20rocsparse_direction_NS_24const_host_device_scalarIT2_EEPKiS6_PKS3_S8_S4_PS3_21rocsparse_index_base_b, .Lfunc_end14-_ZN9rocsparseL19gebsrmvn_4xn_kernelILj128ELj3ELj64EfEEvi20rocsparse_direction_NS_24const_host_device_scalarIT2_EEPKiS6_PKS3_S8_S4_PS3_21rocsparse_index_base_b
                                        ; -- End function
	.section	.AMDGPU.csdata,"",@progbits
; Kernel info:
; codeLenInByte = 2092
; NumSgprs: 22
; NumVgprs: 32
; ScratchSize: 0
; MemoryBound: 0
; FloatMode: 240
; IeeeMode: 1
; LDSByteSize: 0 bytes/workgroup (compile time only)
; SGPRBlocks: 2
; VGPRBlocks: 3
; NumSGPRsForWavesPerEU: 22
; NumVGPRsForWavesPerEU: 32
; Occupancy: 16
; WaveLimiterHint : 1
; COMPUTE_PGM_RSRC2:SCRATCH_EN: 0
; COMPUTE_PGM_RSRC2:USER_SGPR: 15
; COMPUTE_PGM_RSRC2:TRAP_HANDLER: 0
; COMPUTE_PGM_RSRC2:TGID_X_EN: 1
; COMPUTE_PGM_RSRC2:TGID_Y_EN: 0
; COMPUTE_PGM_RSRC2:TGID_Z_EN: 0
; COMPUTE_PGM_RSRC2:TIDIG_COMP_CNT: 0
	.section	.text._ZN9rocsparseL19gebsrmvn_4xn_kernelILj128ELj5ELj4EfEEvi20rocsparse_direction_NS_24const_host_device_scalarIT2_EEPKiS6_PKS3_S8_S4_PS3_21rocsparse_index_base_b,"axG",@progbits,_ZN9rocsparseL19gebsrmvn_4xn_kernelILj128ELj5ELj4EfEEvi20rocsparse_direction_NS_24const_host_device_scalarIT2_EEPKiS6_PKS3_S8_S4_PS3_21rocsparse_index_base_b,comdat
	.globl	_ZN9rocsparseL19gebsrmvn_4xn_kernelILj128ELj5ELj4EfEEvi20rocsparse_direction_NS_24const_host_device_scalarIT2_EEPKiS6_PKS3_S8_S4_PS3_21rocsparse_index_base_b ; -- Begin function _ZN9rocsparseL19gebsrmvn_4xn_kernelILj128ELj5ELj4EfEEvi20rocsparse_direction_NS_24const_host_device_scalarIT2_EEPKiS6_PKS3_S8_S4_PS3_21rocsparse_index_base_b
	.p2align	8
	.type	_ZN9rocsparseL19gebsrmvn_4xn_kernelILj128ELj5ELj4EfEEvi20rocsparse_direction_NS_24const_host_device_scalarIT2_EEPKiS6_PKS3_S8_S4_PS3_21rocsparse_index_base_b,@function
_ZN9rocsparseL19gebsrmvn_4xn_kernelILj128ELj5ELj4EfEEvi20rocsparse_direction_NS_24const_host_device_scalarIT2_EEPKiS6_PKS3_S8_S4_PS3_21rocsparse_index_base_b: ; @_ZN9rocsparseL19gebsrmvn_4xn_kernelILj128ELj5ELj4EfEEvi20rocsparse_direction_NS_24const_host_device_scalarIT2_EEPKiS6_PKS3_S8_S4_PS3_21rocsparse_index_base_b
; %bb.0:
	s_clause 0x2
	s_load_b64 s[18:19], s[0:1], 0x40
	s_load_b64 s[16:17], s[0:1], 0x8
	;; [unrolled: 1-line block ×3, first 2 shown]
	s_waitcnt lgkmcnt(0)
	s_bitcmp1_b32 s19, 0
	s_cselect_b32 s2, -1, 0
	s_delay_alu instid0(SALU_CYCLE_1)
	s_and_b32 vcc_lo, exec_lo, s2
	s_xor_b32 s2, s2, -1
	s_cbranch_vccnz .LBB15_2
; %bb.1:
	s_load_b32 s16, s[16:17], 0x0
.LBB15_2:
	s_and_not1_b32 vcc_lo, exec_lo, s2
	s_cbranch_vccnz .LBB15_4
; %bb.3:
	s_load_b32 s12, s[12:13], 0x0
.LBB15_4:
	s_waitcnt lgkmcnt(0)
	v_cmp_eq_f32_e64 s2, s16, 0
	v_cmp_eq_f32_e64 s3, s12, 1.0
	s_delay_alu instid0(VALU_DEP_1) | instskip(NEXT) | instid1(SALU_CYCLE_1)
	s_and_b32 s2, s2, s3
	s_and_b32 vcc_lo, exec_lo, s2
	s_cbranch_vccnz .LBB15_23
; %bb.5:
	s_load_b64 s[2:3], s[0:1], 0x0
	v_lshrrev_b32_e32 v1, 2, v0
	s_delay_alu instid0(VALU_DEP_1) | instskip(SKIP_1) | instid1(VALU_DEP_1)
	v_lshl_or_b32 v4, s15, 5, v1
	s_waitcnt lgkmcnt(0)
	v_cmp_gt_i32_e32 vcc_lo, s2, v4
	s_and_saveexec_b32 s2, vcc_lo
	s_cbranch_execz .LBB15_23
; %bb.6:
	s_load_b256 s[4:11], s[0:1], 0x10
	v_ashrrev_i32_e32 v5, 31, v4
	v_and_b32_e32 v9, 3, v0
	s_cmp_lg_u32 s3, 0
	s_delay_alu instid0(VALU_DEP_2) | instskip(SKIP_1) | instid1(VALU_DEP_1)
	v_lshlrev_b64 v[1:2], 2, v[4:5]
	s_waitcnt lgkmcnt(0)
	v_add_co_u32 v1, vcc_lo, s4, v1
	s_delay_alu instid0(VALU_DEP_2) | instskip(SKIP_4) | instid1(VALU_DEP_2)
	v_add_co_ci_u32_e32 v2, vcc_lo, s5, v2, vcc_lo
	global_load_b64 v[1:2], v[1:2], off
	s_waitcnt vmcnt(0)
	v_subrev_nc_u32_e32 v0, s18, v1
	v_subrev_nc_u32_e32 v14, s18, v2
	v_add_nc_u32_e32 v0, v0, v9
	s_delay_alu instid0(VALU_DEP_1)
	v_cmp_lt_i32_e64 s2, v0, v14
	s_cbranch_scc0 .LBB15_12
; %bb.7:
	v_dual_mov_b32 v10, 0 :: v_dual_mov_b32 v11, 0
	v_dual_mov_b32 v12, 0 :: v_dual_mov_b32 v13, 0
	s_mov_b32 s3, 0
	s_and_saveexec_b32 s4, s2
	s_cbranch_execz .LBB15_11
; %bb.8:
	v_mad_u64_u32 v[1:2], null, v0, 20, 16
	v_dual_mov_b32 v6, 0 :: v_dual_mov_b32 v7, v0
	v_dual_mov_b32 v10, 0 :: v_dual_mov_b32 v11, 0
	;; [unrolled: 1-line block ×3, first 2 shown]
	s_mov_b32 s5, 0
.LBB15_9:                               ; =>This Inner Loop Header: Depth=1
	s_delay_alu instid0(VALU_DEP_3) | instskip(SKIP_1) | instid1(VALU_DEP_2)
	v_ashrrev_i32_e32 v8, 31, v7
	v_add_nc_u32_e32 v5, -16, v1
	v_lshlrev_b64 v[2:3], 2, v[7:8]
	v_add_nc_u32_e32 v7, 4, v7
	s_delay_alu instid0(VALU_DEP_2) | instskip(NEXT) | instid1(VALU_DEP_3)
	v_add_co_u32 v2, vcc_lo, s6, v2
	v_add_co_ci_u32_e32 v3, vcc_lo, s7, v3, vcc_lo
	global_load_b32 v8, v[2:3], off
	v_mov_b32_e32 v2, v6
	v_lshlrev_b64 v[15:16], 2, v[5:6]
	v_add_nc_u32_e32 v5, -12, v1
	s_delay_alu instid0(VALU_DEP_3) | instskip(NEXT) | instid1(VALU_DEP_2)
	v_lshlrev_b64 v[17:18], 2, v[1:2]
	v_lshlrev_b64 v[19:20], 2, v[5:6]
	s_delay_alu instid0(VALU_DEP_4) | instskip(SKIP_1) | instid1(VALU_DEP_4)
	v_add_co_u32 v15, vcc_lo, s8, v15
	v_add_co_ci_u32_e32 v16, vcc_lo, s9, v16, vcc_lo
	v_add_co_u32 v31, vcc_lo, s8, v17
	v_add_co_ci_u32_e32 v32, vcc_lo, s9, v18, vcc_lo
	;; [unrolled: 2-line block ×3, first 2 shown]
	s_clause 0x1
	global_load_b128 v[15:18], v[15:16], off
	global_load_b128 v[19:22], v[19:20], off
	v_mov_b32_e32 v3, v6
	s_waitcnt vmcnt(2)
	v_subrev_nc_u32_e32 v2, s18, v8
	s_delay_alu instid0(VALU_DEP_1) | instskip(NEXT) | instid1(VALU_DEP_1)
	v_lshl_add_u32 v2, v2, 2, v2
	v_add_nc_u32_e32 v5, 1, v2
	v_lshlrev_b64 v[23:24], 2, v[2:3]
	s_delay_alu instid0(VALU_DEP_2) | instskip(NEXT) | instid1(VALU_DEP_2)
	v_lshlrev_b64 v[25:26], 2, v[5:6]
	v_add_co_u32 v23, vcc_lo, s10, v23
	s_delay_alu instid0(VALU_DEP_3) | instskip(NEXT) | instid1(VALU_DEP_3)
	v_add_co_ci_u32_e32 v24, vcc_lo, s11, v24, vcc_lo
	v_add_co_u32 v25, vcc_lo, s10, v25
	s_delay_alu instid0(VALU_DEP_4)
	v_add_co_ci_u32_e32 v26, vcc_lo, s11, v26, vcc_lo
	s_clause 0x1
	global_load_b32 v8, v[23:24], off
	global_load_b32 v37, v[25:26], off
	s_waitcnt vmcnt(1)
	v_fmac_f32_e32 v10, v15, v8
	v_fmac_f32_e32 v12, v17, v8
	s_waitcnt vmcnt(0)
	s_delay_alu instid0(VALU_DEP_2) | instskip(SKIP_1) | instid1(VALU_DEP_3)
	v_fmac_f32_e32 v10, v19, v37
	v_add_nc_u32_e32 v5, -8, v1
	v_fmac_f32_e32 v12, v21, v37
	s_delay_alu instid0(VALU_DEP_2) | instskip(SKIP_1) | instid1(VALU_DEP_1)
	v_lshlrev_b64 v[27:28], 2, v[5:6]
	v_add_nc_u32_e32 v5, 2, v2
	v_lshlrev_b64 v[23:24], 2, v[5:6]
	s_delay_alu instid0(VALU_DEP_3) | instskip(NEXT) | instid1(VALU_DEP_4)
	v_add_co_u32 v25, vcc_lo, s8, v27
	v_add_co_ci_u32_e32 v26, vcc_lo, s9, v28, vcc_lo
	s_delay_alu instid0(VALU_DEP_3) | instskip(NEXT) | instid1(VALU_DEP_4)
	v_add_co_u32 v29, vcc_lo, s10, v23
	v_add_co_ci_u32_e32 v30, vcc_lo, s11, v24, vcc_lo
	global_load_b128 v[23:26], v[25:26], off
	global_load_b32 v38, v[29:30], off
	v_add_nc_u32_e32 v5, -4, v1
	s_waitcnt vmcnt(0)
	v_dual_fmac_f32 v12, v25, v38 :: v_dual_add_nc_u32 v1, 0x50, v1
	s_delay_alu instid0(VALU_DEP_2) | instskip(SKIP_2) | instid1(VALU_DEP_2)
	v_lshlrev_b64 v[27:28], 2, v[5:6]
	v_add_nc_u32_e32 v5, 3, v2
	v_fmac_f32_e32 v10, v23, v38
	v_lshlrev_b64 v[33:34], 2, v[5:6]
	v_add_nc_u32_e32 v5, 4, v2
	v_add_co_u32 v2, vcc_lo, s8, v27
	v_add_co_ci_u32_e32 v3, vcc_lo, s9, v28, vcc_lo
	s_delay_alu instid0(VALU_DEP_3)
	v_lshlrev_b64 v[35:36], 2, v[5:6]
	v_add_co_u32 v33, vcc_lo, s10, v33
	v_add_co_ci_u32_e32 v34, vcc_lo, s11, v34, vcc_lo
	global_load_b128 v[27:30], v[2:3], off
	global_load_b32 v5, v[33:34], off
	v_add_co_u32 v2, vcc_lo, s10, v35
	v_add_co_ci_u32_e32 v3, vcc_lo, s11, v36, vcc_lo
	global_load_b128 v[31:34], v[31:32], off
	global_load_b32 v2, v[2:3], off
	v_fmac_f32_e32 v13, v16, v8
	v_fmac_f32_e32 v11, v18, v8
	v_cmp_ge_i32_e32 vcc_lo, v7, v14
	s_or_b32 s5, vcc_lo, s5
	s_waitcnt vmcnt(2)
	v_fmac_f32_e32 v12, v29, v5
	v_fmac_f32_e32 v11, v22, v37
	;; [unrolled: 1-line block ×3, first 2 shown]
	s_waitcnt vmcnt(0)
	s_delay_alu instid0(VALU_DEP_1) | instskip(NEXT) | instid1(VALU_DEP_1)
	v_dual_fmac_f32 v13, v20, v37 :: v_dual_fmac_f32 v10, v31, v2
	v_fmac_f32_e32 v13, v24, v38
	v_fmac_f32_e32 v12, v33, v2
	;; [unrolled: 1-line block ×3, first 2 shown]
	s_delay_alu instid0(VALU_DEP_3) | instskip(NEXT) | instid1(VALU_DEP_2)
	v_fmac_f32_e32 v13, v28, v5
	v_fmac_f32_e32 v11, v30, v5
	s_delay_alu instid0(VALU_DEP_2) | instskip(NEXT) | instid1(VALU_DEP_2)
	v_fmac_f32_e32 v13, v32, v2
	v_fmac_f32_e32 v11, v34, v2
	s_and_not1_b32 exec_lo, exec_lo, s5
	s_cbranch_execnz .LBB15_9
; %bb.10:
	s_or_b32 exec_lo, exec_lo, s5
.LBB15_11:
	s_delay_alu instid0(SALU_CYCLE_1) | instskip(NEXT) | instid1(SALU_CYCLE_1)
	s_or_b32 exec_lo, exec_lo, s4
	s_and_not1_b32 vcc_lo, exec_lo, s3
	s_cbranch_vccz .LBB15_13
	s_branch .LBB15_18
.LBB15_12:
                                        ; implicit-def: $vgpr10
                                        ; implicit-def: $vgpr11
                                        ; implicit-def: $vgpr12
                                        ; implicit-def: $vgpr13
.LBB15_13:
	v_dual_mov_b32 v10, 0 :: v_dual_mov_b32 v11, 0
	v_dual_mov_b32 v12, 0 :: v_dual_mov_b32 v13, 0
	s_delay_alu instid0(VALU_DEP_3)
	s_and_saveexec_b32 s3, s2
	s_cbranch_execz .LBB15_17
; %bb.14:
	v_mad_u64_u32 v[2:3], null, v0, 20, 19
	v_dual_mov_b32 v6, 0 :: v_dual_mov_b32 v11, 0
	v_dual_mov_b32 v10, 0 :: v_dual_mov_b32 v13, 0
	v_mov_b32_e32 v12, 0
	s_mov_b32 s2, 0
.LBB15_15:                              ; =>This Inner Loop Header: Depth=1
	v_ashrrev_i32_e32 v1, 31, v0
	v_subrev_nc_u32_e32 v5, 19, v2
	v_add_nc_u32_e32 v15, -9, v2
	v_dual_mov_b32 v16, v6 :: v_dual_add_nc_u32 v17, -4, v2
	s_delay_alu instid0(VALU_DEP_4) | instskip(NEXT) | instid1(VALU_DEP_4)
	v_lshlrev_b64 v[7:8], 2, v[0:1]
	v_lshlrev_b64 v[21:22], 2, v[5:6]
	v_mov_b32_e32 v3, v6
	v_mov_b32_e32 v20, v6
	v_add_nc_u32_e32 v0, 4, v0
	v_add_co_u32 v7, vcc_lo, s6, v7
	v_add_co_ci_u32_e32 v8, vcc_lo, s7, v8, vcc_lo
	v_add_co_u32 v21, vcc_lo, s8, v21
	v_add_co_ci_u32_e32 v22, vcc_lo, s9, v22, vcc_lo
	global_load_b32 v1, v[7:8], off
	v_dual_mov_b32 v8, v6 :: v_dual_add_nc_u32 v7, -14, v2
	v_lshlrev_b64 v[15:16], 2, v[15:16]
	v_lshlrev_b64 v[23:24], 2, v[2:3]
	s_delay_alu instid0(VALU_DEP_3) | instskip(NEXT) | instid1(VALU_DEP_1)
	v_lshlrev_b64 v[7:8], 2, v[7:8]
	v_add_co_u32 v7, vcc_lo, s8, v7
	s_delay_alu instid0(VALU_DEP_2) | instskip(SKIP_4) | instid1(VALU_DEP_1)
	v_add_co_ci_u32_e32 v8, vcc_lo, s9, v8, vcc_lo
	v_add_co_u32 v25, vcc_lo, s8, v15
	v_add_co_ci_u32_e32 v26, vcc_lo, s9, v16, vcc_lo
	s_waitcnt vmcnt(0)
	v_subrev_nc_u32_e32 v1, s18, v1
	v_lshl_add_u32 v19, v1, 2, v1
	s_delay_alu instid0(VALU_DEP_1) | instskip(NEXT) | instid1(VALU_DEP_1)
	v_dual_mov_b32 v18, v6 :: v_dual_add_nc_u32 v5, 1, v19
	v_lshlrev_b64 v[17:18], 2, v[17:18]
	s_delay_alu instid0(VALU_DEP_1) | instskip(NEXT) | instid1(VALU_DEP_2)
	v_add_co_u32 v27, vcc_lo, s8, v17
	v_add_co_ci_u32_e32 v28, vcc_lo, s9, v18, vcc_lo
	s_clause 0x3
	global_load_b128 v[15:18], v[21:22], off
	global_load_b32 v3, v[7:8], off
	global_load_b32 v29, v[25:26], off
	;; [unrolled: 1-line block ×3, first 2 shown]
	v_lshlrev_b64 v[7:8], 2, v[19:20]
	v_add_co_u32 v23, vcc_lo, s8, v23
	v_add_co_ci_u32_e32 v24, vcc_lo, s9, v24, vcc_lo
	v_lshlrev_b64 v[20:21], 2, v[5:6]
	s_delay_alu instid0(VALU_DEP_4)
	v_add_co_u32 v7, vcc_lo, s10, v7
	v_add_co_ci_u32_e32 v8, vcc_lo, s11, v8, vcc_lo
	global_load_b32 v1, v[7:8], off
	v_add_co_u32 v7, vcc_lo, s10, v20
	v_add_co_ci_u32_e32 v8, vcc_lo, s11, v21, vcc_lo
	v_add_nc_u32_e32 v5, -13, v2
	global_load_b32 v28, v[7:8], off
	s_waitcnt vmcnt(1)
	v_fmac_f32_e32 v12, v29, v1
	v_lshlrev_b64 v[25:26], 2, v[5:6]
	v_dual_fmac_f32 v10, v15, v1 :: v_dual_add_nc_u32 v5, -8, v2
	v_fmac_f32_e32 v13, v3, v1
	v_fmac_f32_e32 v11, v27, v1
	s_delay_alu instid0(VALU_DEP_4) | instskip(SKIP_4) | instid1(VALU_DEP_2)
	v_add_co_u32 v25, vcc_lo, s8, v25
	s_waitcnt vmcnt(0)
	v_fmac_f32_e32 v10, v16, v28
	v_lshlrev_b64 v[20:21], 2, v[5:6]
	v_add_co_ci_u32_e32 v26, vcc_lo, s9, v26, vcc_lo
	v_add_co_u32 v20, vcc_lo, s8, v20
	s_delay_alu instid0(VALU_DEP_3) | instskip(SKIP_4) | instid1(VALU_DEP_1)
	v_add_co_ci_u32_e32 v21, vcc_lo, s9, v21, vcc_lo
	s_clause 0x1
	global_load_b32 v30, v[25:26], off
	global_load_b32 v31, v[20:21], off
	v_add_nc_u32_e32 v5, -3, v2
	v_lshlrev_b64 v[7:8], 2, v[5:6]
	v_add_nc_u32_e32 v5, 2, v19
	s_delay_alu instid0(VALU_DEP_2) | instskip(NEXT) | instid1(VALU_DEP_2)
	v_add_co_u32 v7, vcc_lo, s8, v7
	v_lshlrev_b64 v[25:26], 2, v[5:6]
	s_delay_alu instid0(VALU_DEP_4)
	v_add_co_ci_u32_e32 v8, vcc_lo, s9, v8, vcc_lo
	global_load_b32 v32, v[7:8], off
	v_add_co_u32 v7, vcc_lo, s10, v25
	v_add_co_ci_u32_e32 v8, vcc_lo, s11, v26, vcc_lo
	global_load_b32 v33, v[7:8], off
	s_waitcnt vmcnt(2)
	v_dual_fmac_f32 v12, v31, v28 :: v_dual_add_nc_u32 v5, -12, v2
	s_delay_alu instid0(VALU_DEP_1) | instskip(NEXT) | instid1(VALU_DEP_1)
	v_lshlrev_b64 v[20:21], 2, v[5:6]
	v_add_co_u32 v20, vcc_lo, s8, v20
	s_delay_alu instid0(VALU_DEP_2) | instskip(SKIP_3) | instid1(VALU_DEP_1)
	v_add_co_ci_u32_e32 v21, vcc_lo, s9, v21, vcc_lo
	global_load_b32 v34, v[20:21], off
	s_waitcnt vmcnt(1)
	v_dual_fmac_f32 v10, v17, v33 :: v_dual_add_nc_u32 v5, -7, v2
	v_lshlrev_b64 v[25:26], 2, v[5:6]
	v_add_nc_u32_e32 v5, -2, v2
	s_delay_alu instid0(VALU_DEP_1) | instskip(SKIP_1) | instid1(VALU_DEP_4)
	v_lshlrev_b64 v[7:8], 2, v[5:6]
	v_add_nc_u32_e32 v5, 3, v19
	v_add_co_u32 v20, vcc_lo, s8, v25
	v_add_co_ci_u32_e32 v21, vcc_lo, s9, v26, vcc_lo
	s_delay_alu instid0(VALU_DEP_4) | instskip(NEXT) | instid1(VALU_DEP_4)
	v_add_co_u32 v7, vcc_lo, s8, v7
	v_lshlrev_b64 v[25:26], 2, v[5:6]
	v_add_nc_u32_e32 v5, -11, v2
	v_add_co_ci_u32_e32 v8, vcc_lo, s9, v8, vcc_lo
	s_clause 0x1
	global_load_b32 v35, v[20:21], off
	global_load_b32 v36, v[7:8], off
	v_lshlrev_b64 v[20:21], 2, v[5:6]
	v_add_nc_u32_e32 v5, -6, v2
	v_add_co_u32 v7, vcc_lo, s10, v25
	v_add_co_ci_u32_e32 v8, vcc_lo, s11, v26, vcc_lo
	s_delay_alu instid0(VALU_DEP_3)
	v_lshlrev_b64 v[25:26], 2, v[5:6]
	v_add_nc_u32_e32 v5, -1, v2
	v_add_co_u32 v20, vcc_lo, s8, v20
	v_add_co_ci_u32_e32 v21, vcc_lo, s9, v21, vcc_lo
	global_load_b32 v37, v[7:8], off
	v_lshlrev_b64 v[7:8], 2, v[5:6]
	v_add_nc_u32_e32 v5, -15, v2
	global_load_b32 v38, v[20:21], off
	v_add_co_u32 v20, vcc_lo, s8, v25
	v_add_co_ci_u32_e32 v21, vcc_lo, s9, v26, vcc_lo
	v_add_co_u32 v7, vcc_lo, s8, v7
	v_lshlrev_b64 v[25:26], 2, v[5:6]
	v_add_nc_u32_e32 v5, 4, v19
	v_add_co_ci_u32_e32 v8, vcc_lo, s9, v8, vcc_lo
	s_clause 0x1
	global_load_b32 v39, v[20:21], off
	global_load_b32 v40, v[7:8], off
	v_lshlrev_b64 v[19:20], 2, v[5:6]
	v_add_nc_u32_e32 v5, -10, v2
	v_add_co_u32 v7, vcc_lo, s8, v25
	v_add_co_ci_u32_e32 v8, vcc_lo, s9, v26, vcc_lo
	s_delay_alu instid0(VALU_DEP_3) | instskip(SKIP_3) | instid1(VALU_DEP_3)
	v_lshlrev_b64 v[21:22], 2, v[5:6]
	v_add_nc_u32_e32 v5, -5, v2
	v_add_co_u32 v19, vcc_lo, s10, v19
	v_add_co_ci_u32_e32 v20, vcc_lo, s11, v20, vcc_lo
	v_lshlrev_b64 v[25:26], 2, v[5:6]
	v_add_co_u32 v21, vcc_lo, s8, v21
	v_add_co_ci_u32_e32 v22, vcc_lo, s9, v22, vcc_lo
	v_add_nc_u32_e32 v2, 0x50, v2
	s_delay_alu instid0(VALU_DEP_4)
	v_add_co_u32 v25, vcc_lo, s8, v25
	v_add_co_ci_u32_e32 v26, vcc_lo, s9, v26, vcc_lo
	global_load_b32 v5, v[7:8], off
	global_load_b32 v7, v[19:20], off
	s_clause 0x2
	global_load_b32 v8, v[21:22], off
	global_load_b32 v19, v[25:26], off
	;; [unrolled: 1-line block ×3, first 2 shown]
	v_fmac_f32_e32 v11, v32, v28
	v_cmp_ge_i32_e32 vcc_lo, v0, v14
	s_or_b32 s2, vcc_lo, s2
	s_waitcnt vmcnt(10)
	v_fmac_f32_e32 v12, v35, v33
	s_waitcnt vmcnt(9)
	v_fmac_f32_e32 v11, v36, v33
	;; [unrolled: 2-line block ×3, first 2 shown]
	s_waitcnt vmcnt(6)
	v_dual_fmac_f32 v13, v30, v28 :: v_dual_fmac_f32 v12, v39, v37
	s_waitcnt vmcnt(3)
	s_delay_alu instid0(VALU_DEP_2) | instskip(SKIP_1) | instid1(VALU_DEP_2)
	v_dual_fmac_f32 v11, v40, v37 :: v_dual_fmac_f32 v10, v5, v7
	s_waitcnt vmcnt(1)
	v_dual_fmac_f32 v13, v34, v33 :: v_dual_fmac_f32 v12, v19, v7
	s_waitcnt vmcnt(0)
	s_delay_alu instid0(VALU_DEP_2) | instskip(NEXT) | instid1(VALU_DEP_2)
	v_fmac_f32_e32 v11, v20, v7
	v_fmac_f32_e32 v13, v38, v37
	s_delay_alu instid0(VALU_DEP_1)
	v_fmac_f32_e32 v13, v8, v7
	s_and_not1_b32 exec_lo, exec_lo, s2
	s_cbranch_execnz .LBB15_15
; %bb.16:
	s_or_b32 exec_lo, exec_lo, s2
.LBB15_17:
	s_delay_alu instid0(SALU_CYCLE_1)
	s_or_b32 exec_lo, exec_lo, s3
.LBB15_18:
	v_mbcnt_lo_u32_b32 v0, -1, 0
	s_mov_b32 s2, -1
	s_delay_alu instid0(VALU_DEP_1) | instskip(NEXT) | instid1(VALU_DEP_1)
	v_xor_b32_e32 v1, 2, v0
	v_cmp_gt_i32_e32 vcc_lo, 32, v1
	v_cndmask_b32_e32 v1, v0, v1, vcc_lo
	s_delay_alu instid0(VALU_DEP_1)
	v_lshlrev_b32_e32 v1, 2, v1
	ds_bpermute_b32 v2, v1, v10
	ds_bpermute_b32 v3, v1, v13
	;; [unrolled: 1-line block ×4, first 2 shown]
	v_xor_b32_e32 v1, 1, v0
	s_delay_alu instid0(VALU_DEP_1) | instskip(SKIP_3) | instid1(VALU_DEP_2)
	v_cmp_gt_i32_e32 vcc_lo, 32, v1
	v_cndmask_b32_e32 v0, v0, v1, vcc_lo
	v_cmp_eq_u32_e32 vcc_lo, 3, v9
	s_waitcnt lgkmcnt(2)
	v_dual_add_f32 v1, v13, v3 :: v_dual_lshlrev_b32 v8, 2, v0
	v_add_f32_e32 v0, v10, v2
	s_waitcnt lgkmcnt(0)
	v_dual_add_f32 v2, v12, v5 :: v_dual_add_f32 v3, v11, v6
	ds_bpermute_b32 v6, v8, v1
	ds_bpermute_b32 v5, v8, v0
	;; [unrolled: 1-line block ×4, first 2 shown]
	s_and_b32 exec_lo, exec_lo, vcc_lo
	s_cbranch_execz .LBB15_23
; %bb.19:
	s_load_b64 s[0:1], s[0:1], 0x38
	s_waitcnt lgkmcnt(0)
	v_dual_add_f32 v0, v0, v5 :: v_dual_add_f32 v1, v1, v6
	v_dual_add_f32 v2, v2, v7 :: v_dual_add_f32 v3, v3, v8
	v_cmp_eq_f32_e64 s3, s12, 0
	s_delay_alu instid0(VALU_DEP_3) | instskip(NEXT) | instid1(VALU_DEP_3)
	v_dual_mul_f32 v0, s16, v0 :: v_dual_mul_f32 v1, s16, v1
	v_dual_mul_f32 v2, s16, v2 :: v_dual_mul_f32 v3, s16, v3
	v_lshlrev_b32_e32 v4, 2, v4
	s_delay_alu instid0(VALU_DEP_4)
	s_and_b32 vcc_lo, exec_lo, s3
	s_cbranch_vccz .LBB15_21
; %bb.20:
	s_delay_alu instid0(VALU_DEP_1) | instskip(SKIP_1) | instid1(VALU_DEP_1)
	v_ashrrev_i32_e32 v5, 31, v4
	s_mov_b32 s2, 0
	v_lshlrev_b64 v[5:6], 2, v[4:5]
	s_delay_alu instid0(VALU_DEP_1) | instskip(NEXT) | instid1(VALU_DEP_2)
	v_add_co_u32 v5, vcc_lo, s0, v5
	v_add_co_ci_u32_e32 v6, vcc_lo, s1, v6, vcc_lo
	global_store_b128 v[5:6], v[0:3], off
.LBB15_21:
	s_and_not1_b32 vcc_lo, exec_lo, s2
	s_cbranch_vccnz .LBB15_23
; %bb.22:
	v_ashrrev_i32_e32 v5, 31, v4
	s_delay_alu instid0(VALU_DEP_1) | instskip(NEXT) | instid1(VALU_DEP_1)
	v_lshlrev_b64 v[4:5], 2, v[4:5]
	v_add_co_u32 v8, vcc_lo, s0, v4
	s_delay_alu instid0(VALU_DEP_2)
	v_add_co_ci_u32_e32 v9, vcc_lo, s1, v5, vcc_lo
	global_load_b128 v[4:7], v[8:9], off
	s_waitcnt vmcnt(0)
	v_dual_fmac_f32 v0, s12, v4 :: v_dual_fmac_f32 v1, s12, v5
	v_dual_fmac_f32 v2, s12, v6 :: v_dual_fmac_f32 v3, s12, v7
	global_store_b128 v[8:9], v[0:3], off
.LBB15_23:
	s_nop 0
	s_sendmsg sendmsg(MSG_DEALLOC_VGPRS)
	s_endpgm
	.section	.rodata,"a",@progbits
	.p2align	6, 0x0
	.amdhsa_kernel _ZN9rocsparseL19gebsrmvn_4xn_kernelILj128ELj5ELj4EfEEvi20rocsparse_direction_NS_24const_host_device_scalarIT2_EEPKiS6_PKS3_S8_S4_PS3_21rocsparse_index_base_b
		.amdhsa_group_segment_fixed_size 0
		.amdhsa_private_segment_fixed_size 0
		.amdhsa_kernarg_size 72
		.amdhsa_user_sgpr_count 15
		.amdhsa_user_sgpr_dispatch_ptr 0
		.amdhsa_user_sgpr_queue_ptr 0
		.amdhsa_user_sgpr_kernarg_segment_ptr 1
		.amdhsa_user_sgpr_dispatch_id 0
		.amdhsa_user_sgpr_private_segment_size 0
		.amdhsa_wavefront_size32 1
		.amdhsa_uses_dynamic_stack 0
		.amdhsa_enable_private_segment 0
		.amdhsa_system_sgpr_workgroup_id_x 1
		.amdhsa_system_sgpr_workgroup_id_y 0
		.amdhsa_system_sgpr_workgroup_id_z 0
		.amdhsa_system_sgpr_workgroup_info 0
		.amdhsa_system_vgpr_workitem_id 0
		.amdhsa_next_free_vgpr 41
		.amdhsa_next_free_sgpr 20
		.amdhsa_reserve_vcc 1
		.amdhsa_float_round_mode_32 0
		.amdhsa_float_round_mode_16_64 0
		.amdhsa_float_denorm_mode_32 3
		.amdhsa_float_denorm_mode_16_64 3
		.amdhsa_dx10_clamp 1
		.amdhsa_ieee_mode 1
		.amdhsa_fp16_overflow 0
		.amdhsa_workgroup_processor_mode 1
		.amdhsa_memory_ordered 1
		.amdhsa_forward_progress 0
		.amdhsa_shared_vgpr_count 0
		.amdhsa_exception_fp_ieee_invalid_op 0
		.amdhsa_exception_fp_denorm_src 0
		.amdhsa_exception_fp_ieee_div_zero 0
		.amdhsa_exception_fp_ieee_overflow 0
		.amdhsa_exception_fp_ieee_underflow 0
		.amdhsa_exception_fp_ieee_inexact 0
		.amdhsa_exception_int_div_zero 0
	.end_amdhsa_kernel
	.section	.text._ZN9rocsparseL19gebsrmvn_4xn_kernelILj128ELj5ELj4EfEEvi20rocsparse_direction_NS_24const_host_device_scalarIT2_EEPKiS6_PKS3_S8_S4_PS3_21rocsparse_index_base_b,"axG",@progbits,_ZN9rocsparseL19gebsrmvn_4xn_kernelILj128ELj5ELj4EfEEvi20rocsparse_direction_NS_24const_host_device_scalarIT2_EEPKiS6_PKS3_S8_S4_PS3_21rocsparse_index_base_b,comdat
.Lfunc_end15:
	.size	_ZN9rocsparseL19gebsrmvn_4xn_kernelILj128ELj5ELj4EfEEvi20rocsparse_direction_NS_24const_host_device_scalarIT2_EEPKiS6_PKS3_S8_S4_PS3_21rocsparse_index_base_b, .Lfunc_end15-_ZN9rocsparseL19gebsrmvn_4xn_kernelILj128ELj5ELj4EfEEvi20rocsparse_direction_NS_24const_host_device_scalarIT2_EEPKiS6_PKS3_S8_S4_PS3_21rocsparse_index_base_b
                                        ; -- End function
	.section	.AMDGPU.csdata,"",@progbits
; Kernel info:
; codeLenInByte = 2356
; NumSgprs: 22
; NumVgprs: 41
; ScratchSize: 0
; MemoryBound: 0
; FloatMode: 240
; IeeeMode: 1
; LDSByteSize: 0 bytes/workgroup (compile time only)
; SGPRBlocks: 2
; VGPRBlocks: 5
; NumSGPRsForWavesPerEU: 22
; NumVGPRsForWavesPerEU: 41
; Occupancy: 16
; WaveLimiterHint : 1
; COMPUTE_PGM_RSRC2:SCRATCH_EN: 0
; COMPUTE_PGM_RSRC2:USER_SGPR: 15
; COMPUTE_PGM_RSRC2:TRAP_HANDLER: 0
; COMPUTE_PGM_RSRC2:TGID_X_EN: 1
; COMPUTE_PGM_RSRC2:TGID_Y_EN: 0
; COMPUTE_PGM_RSRC2:TGID_Z_EN: 0
; COMPUTE_PGM_RSRC2:TIDIG_COMP_CNT: 0
	.section	.text._ZN9rocsparseL19gebsrmvn_4xn_kernelILj128ELj5ELj8EfEEvi20rocsparse_direction_NS_24const_host_device_scalarIT2_EEPKiS6_PKS3_S8_S4_PS3_21rocsparse_index_base_b,"axG",@progbits,_ZN9rocsparseL19gebsrmvn_4xn_kernelILj128ELj5ELj8EfEEvi20rocsparse_direction_NS_24const_host_device_scalarIT2_EEPKiS6_PKS3_S8_S4_PS3_21rocsparse_index_base_b,comdat
	.globl	_ZN9rocsparseL19gebsrmvn_4xn_kernelILj128ELj5ELj8EfEEvi20rocsparse_direction_NS_24const_host_device_scalarIT2_EEPKiS6_PKS3_S8_S4_PS3_21rocsparse_index_base_b ; -- Begin function _ZN9rocsparseL19gebsrmvn_4xn_kernelILj128ELj5ELj8EfEEvi20rocsparse_direction_NS_24const_host_device_scalarIT2_EEPKiS6_PKS3_S8_S4_PS3_21rocsparse_index_base_b
	.p2align	8
	.type	_ZN9rocsparseL19gebsrmvn_4xn_kernelILj128ELj5ELj8EfEEvi20rocsparse_direction_NS_24const_host_device_scalarIT2_EEPKiS6_PKS3_S8_S4_PS3_21rocsparse_index_base_b,@function
_ZN9rocsparseL19gebsrmvn_4xn_kernelILj128ELj5ELj8EfEEvi20rocsparse_direction_NS_24const_host_device_scalarIT2_EEPKiS6_PKS3_S8_S4_PS3_21rocsparse_index_base_b: ; @_ZN9rocsparseL19gebsrmvn_4xn_kernelILj128ELj5ELj8EfEEvi20rocsparse_direction_NS_24const_host_device_scalarIT2_EEPKiS6_PKS3_S8_S4_PS3_21rocsparse_index_base_b
; %bb.0:
	s_clause 0x2
	s_load_b64 s[18:19], s[0:1], 0x40
	s_load_b64 s[16:17], s[0:1], 0x8
	;; [unrolled: 1-line block ×3, first 2 shown]
	s_waitcnt lgkmcnt(0)
	s_bitcmp1_b32 s19, 0
	s_cselect_b32 s2, -1, 0
	s_delay_alu instid0(SALU_CYCLE_1)
	s_and_b32 vcc_lo, exec_lo, s2
	s_xor_b32 s2, s2, -1
	s_cbranch_vccnz .LBB16_2
; %bb.1:
	s_load_b32 s16, s[16:17], 0x0
.LBB16_2:
	s_and_not1_b32 vcc_lo, exec_lo, s2
	s_cbranch_vccnz .LBB16_4
; %bb.3:
	s_load_b32 s12, s[12:13], 0x0
.LBB16_4:
	s_waitcnt lgkmcnt(0)
	v_cmp_eq_f32_e64 s2, s16, 0
	v_cmp_eq_f32_e64 s3, s12, 1.0
	s_delay_alu instid0(VALU_DEP_1) | instskip(NEXT) | instid1(SALU_CYCLE_1)
	s_and_b32 s2, s2, s3
	s_and_b32 vcc_lo, exec_lo, s2
	s_cbranch_vccnz .LBB16_23
; %bb.5:
	s_load_b64 s[2:3], s[0:1], 0x0
	v_lshrrev_b32_e32 v1, 3, v0
	s_delay_alu instid0(VALU_DEP_1) | instskip(SKIP_1) | instid1(VALU_DEP_1)
	v_lshl_or_b32 v4, s15, 4, v1
	s_waitcnt lgkmcnt(0)
	v_cmp_gt_i32_e32 vcc_lo, s2, v4
	s_and_saveexec_b32 s2, vcc_lo
	s_cbranch_execz .LBB16_23
; %bb.6:
	s_load_b256 s[4:11], s[0:1], 0x10
	v_ashrrev_i32_e32 v5, 31, v4
	v_and_b32_e32 v9, 7, v0
	s_cmp_lg_u32 s3, 0
	s_delay_alu instid0(VALU_DEP_2) | instskip(SKIP_1) | instid1(VALU_DEP_1)
	v_lshlrev_b64 v[1:2], 2, v[4:5]
	s_waitcnt lgkmcnt(0)
	v_add_co_u32 v1, vcc_lo, s4, v1
	s_delay_alu instid0(VALU_DEP_2) | instskip(SKIP_4) | instid1(VALU_DEP_2)
	v_add_co_ci_u32_e32 v2, vcc_lo, s5, v2, vcc_lo
	global_load_b64 v[1:2], v[1:2], off
	s_waitcnt vmcnt(0)
	v_subrev_nc_u32_e32 v0, s18, v1
	v_subrev_nc_u32_e32 v14, s18, v2
	v_add_nc_u32_e32 v0, v0, v9
	s_delay_alu instid0(VALU_DEP_1)
	v_cmp_lt_i32_e64 s2, v0, v14
	s_cbranch_scc0 .LBB16_12
; %bb.7:
	v_dual_mov_b32 v10, 0 :: v_dual_mov_b32 v11, 0
	v_dual_mov_b32 v12, 0 :: v_dual_mov_b32 v13, 0
	s_mov_b32 s3, 0
	s_and_saveexec_b32 s4, s2
	s_cbranch_execz .LBB16_11
; %bb.8:
	v_mad_u64_u32 v[1:2], null, v0, 20, 16
	v_dual_mov_b32 v6, 0 :: v_dual_mov_b32 v7, v0
	v_dual_mov_b32 v10, 0 :: v_dual_mov_b32 v11, 0
	;; [unrolled: 1-line block ×3, first 2 shown]
	s_mov_b32 s5, 0
.LBB16_9:                               ; =>This Inner Loop Header: Depth=1
	s_delay_alu instid0(VALU_DEP_3) | instskip(SKIP_1) | instid1(VALU_DEP_2)
	v_ashrrev_i32_e32 v8, 31, v7
	v_add_nc_u32_e32 v5, -16, v1
	v_lshlrev_b64 v[2:3], 2, v[7:8]
	v_add_nc_u32_e32 v7, 8, v7
	s_delay_alu instid0(VALU_DEP_2) | instskip(NEXT) | instid1(VALU_DEP_3)
	v_add_co_u32 v2, vcc_lo, s6, v2
	v_add_co_ci_u32_e32 v3, vcc_lo, s7, v3, vcc_lo
	global_load_b32 v8, v[2:3], off
	v_mov_b32_e32 v2, v6
	v_lshlrev_b64 v[15:16], 2, v[5:6]
	v_add_nc_u32_e32 v5, -12, v1
	s_delay_alu instid0(VALU_DEP_3) | instskip(NEXT) | instid1(VALU_DEP_2)
	v_lshlrev_b64 v[17:18], 2, v[1:2]
	v_lshlrev_b64 v[19:20], 2, v[5:6]
	s_delay_alu instid0(VALU_DEP_4) | instskip(SKIP_1) | instid1(VALU_DEP_4)
	v_add_co_u32 v15, vcc_lo, s8, v15
	v_add_co_ci_u32_e32 v16, vcc_lo, s9, v16, vcc_lo
	v_add_co_u32 v31, vcc_lo, s8, v17
	v_add_co_ci_u32_e32 v32, vcc_lo, s9, v18, vcc_lo
	;; [unrolled: 2-line block ×3, first 2 shown]
	s_clause 0x1
	global_load_b128 v[15:18], v[15:16], off
	global_load_b128 v[19:22], v[19:20], off
	v_mov_b32_e32 v3, v6
	s_waitcnt vmcnt(2)
	v_subrev_nc_u32_e32 v2, s18, v8
	s_delay_alu instid0(VALU_DEP_1) | instskip(NEXT) | instid1(VALU_DEP_1)
	v_lshl_add_u32 v2, v2, 2, v2
	v_add_nc_u32_e32 v5, 1, v2
	v_lshlrev_b64 v[23:24], 2, v[2:3]
	s_delay_alu instid0(VALU_DEP_2) | instskip(NEXT) | instid1(VALU_DEP_2)
	v_lshlrev_b64 v[25:26], 2, v[5:6]
	v_add_co_u32 v23, vcc_lo, s10, v23
	s_delay_alu instid0(VALU_DEP_3) | instskip(NEXT) | instid1(VALU_DEP_3)
	v_add_co_ci_u32_e32 v24, vcc_lo, s11, v24, vcc_lo
	v_add_co_u32 v25, vcc_lo, s10, v25
	s_delay_alu instid0(VALU_DEP_4)
	v_add_co_ci_u32_e32 v26, vcc_lo, s11, v26, vcc_lo
	s_clause 0x1
	global_load_b32 v8, v[23:24], off
	global_load_b32 v37, v[25:26], off
	s_waitcnt vmcnt(1)
	v_fmac_f32_e32 v10, v15, v8
	v_fmac_f32_e32 v12, v17, v8
	s_waitcnt vmcnt(0)
	s_delay_alu instid0(VALU_DEP_2) | instskip(SKIP_1) | instid1(VALU_DEP_3)
	v_fmac_f32_e32 v10, v19, v37
	v_add_nc_u32_e32 v5, -8, v1
	v_fmac_f32_e32 v12, v21, v37
	s_delay_alu instid0(VALU_DEP_2) | instskip(SKIP_1) | instid1(VALU_DEP_1)
	v_lshlrev_b64 v[27:28], 2, v[5:6]
	v_add_nc_u32_e32 v5, 2, v2
	v_lshlrev_b64 v[23:24], 2, v[5:6]
	s_delay_alu instid0(VALU_DEP_3) | instskip(NEXT) | instid1(VALU_DEP_4)
	v_add_co_u32 v25, vcc_lo, s8, v27
	v_add_co_ci_u32_e32 v26, vcc_lo, s9, v28, vcc_lo
	s_delay_alu instid0(VALU_DEP_3) | instskip(NEXT) | instid1(VALU_DEP_4)
	v_add_co_u32 v29, vcc_lo, s10, v23
	v_add_co_ci_u32_e32 v30, vcc_lo, s11, v24, vcc_lo
	global_load_b128 v[23:26], v[25:26], off
	global_load_b32 v38, v[29:30], off
	v_add_nc_u32_e32 v5, -4, v1
	s_waitcnt vmcnt(0)
	v_dual_fmac_f32 v12, v25, v38 :: v_dual_add_nc_u32 v1, 0xa0, v1
	s_delay_alu instid0(VALU_DEP_2) | instskip(SKIP_2) | instid1(VALU_DEP_2)
	v_lshlrev_b64 v[27:28], 2, v[5:6]
	v_add_nc_u32_e32 v5, 3, v2
	v_fmac_f32_e32 v10, v23, v38
	v_lshlrev_b64 v[33:34], 2, v[5:6]
	v_add_nc_u32_e32 v5, 4, v2
	v_add_co_u32 v2, vcc_lo, s8, v27
	v_add_co_ci_u32_e32 v3, vcc_lo, s9, v28, vcc_lo
	s_delay_alu instid0(VALU_DEP_3)
	v_lshlrev_b64 v[35:36], 2, v[5:6]
	v_add_co_u32 v33, vcc_lo, s10, v33
	v_add_co_ci_u32_e32 v34, vcc_lo, s11, v34, vcc_lo
	global_load_b128 v[27:30], v[2:3], off
	global_load_b32 v5, v[33:34], off
	v_add_co_u32 v2, vcc_lo, s10, v35
	v_add_co_ci_u32_e32 v3, vcc_lo, s11, v36, vcc_lo
	global_load_b128 v[31:34], v[31:32], off
	global_load_b32 v2, v[2:3], off
	v_fmac_f32_e32 v13, v16, v8
	v_fmac_f32_e32 v11, v18, v8
	v_cmp_ge_i32_e32 vcc_lo, v7, v14
	s_or_b32 s5, vcc_lo, s5
	s_waitcnt vmcnt(2)
	v_fmac_f32_e32 v12, v29, v5
	v_fmac_f32_e32 v11, v22, v37
	v_fmac_f32_e32 v10, v27, v5
	s_waitcnt vmcnt(0)
	s_delay_alu instid0(VALU_DEP_1) | instskip(NEXT) | instid1(VALU_DEP_1)
	v_dual_fmac_f32 v13, v20, v37 :: v_dual_fmac_f32 v10, v31, v2
	v_fmac_f32_e32 v13, v24, v38
	v_fmac_f32_e32 v12, v33, v2
	;; [unrolled: 1-line block ×3, first 2 shown]
	s_delay_alu instid0(VALU_DEP_3) | instskip(NEXT) | instid1(VALU_DEP_2)
	v_fmac_f32_e32 v13, v28, v5
	v_fmac_f32_e32 v11, v30, v5
	s_delay_alu instid0(VALU_DEP_2) | instskip(NEXT) | instid1(VALU_DEP_2)
	v_fmac_f32_e32 v13, v32, v2
	v_fmac_f32_e32 v11, v34, v2
	s_and_not1_b32 exec_lo, exec_lo, s5
	s_cbranch_execnz .LBB16_9
; %bb.10:
	s_or_b32 exec_lo, exec_lo, s5
.LBB16_11:
	s_delay_alu instid0(SALU_CYCLE_1) | instskip(NEXT) | instid1(SALU_CYCLE_1)
	s_or_b32 exec_lo, exec_lo, s4
	s_and_not1_b32 vcc_lo, exec_lo, s3
	s_cbranch_vccz .LBB16_13
	s_branch .LBB16_18
.LBB16_12:
                                        ; implicit-def: $vgpr10
                                        ; implicit-def: $vgpr11
                                        ; implicit-def: $vgpr12
                                        ; implicit-def: $vgpr13
.LBB16_13:
	v_dual_mov_b32 v10, 0 :: v_dual_mov_b32 v11, 0
	v_dual_mov_b32 v12, 0 :: v_dual_mov_b32 v13, 0
	s_delay_alu instid0(VALU_DEP_3)
	s_and_saveexec_b32 s3, s2
	s_cbranch_execz .LBB16_17
; %bb.14:
	v_mad_u64_u32 v[2:3], null, v0, 20, 19
	v_dual_mov_b32 v6, 0 :: v_dual_mov_b32 v11, 0
	v_dual_mov_b32 v10, 0 :: v_dual_mov_b32 v13, 0
	v_mov_b32_e32 v12, 0
	s_mov_b32 s2, 0
.LBB16_15:                              ; =>This Inner Loop Header: Depth=1
	v_ashrrev_i32_e32 v1, 31, v0
	v_subrev_nc_u32_e32 v5, 19, v2
	v_add_nc_u32_e32 v15, -9, v2
	v_dual_mov_b32 v16, v6 :: v_dual_add_nc_u32 v17, -4, v2
	s_delay_alu instid0(VALU_DEP_4) | instskip(NEXT) | instid1(VALU_DEP_4)
	v_lshlrev_b64 v[7:8], 2, v[0:1]
	v_lshlrev_b64 v[21:22], 2, v[5:6]
	v_mov_b32_e32 v3, v6
	v_mov_b32_e32 v20, v6
	v_add_nc_u32_e32 v0, 8, v0
	v_add_co_u32 v7, vcc_lo, s6, v7
	v_add_co_ci_u32_e32 v8, vcc_lo, s7, v8, vcc_lo
	v_add_co_u32 v21, vcc_lo, s8, v21
	v_add_co_ci_u32_e32 v22, vcc_lo, s9, v22, vcc_lo
	global_load_b32 v1, v[7:8], off
	v_dual_mov_b32 v8, v6 :: v_dual_add_nc_u32 v7, -14, v2
	v_lshlrev_b64 v[15:16], 2, v[15:16]
	v_lshlrev_b64 v[23:24], 2, v[2:3]
	s_delay_alu instid0(VALU_DEP_3) | instskip(NEXT) | instid1(VALU_DEP_1)
	v_lshlrev_b64 v[7:8], 2, v[7:8]
	v_add_co_u32 v7, vcc_lo, s8, v7
	s_delay_alu instid0(VALU_DEP_2) | instskip(SKIP_4) | instid1(VALU_DEP_1)
	v_add_co_ci_u32_e32 v8, vcc_lo, s9, v8, vcc_lo
	v_add_co_u32 v25, vcc_lo, s8, v15
	v_add_co_ci_u32_e32 v26, vcc_lo, s9, v16, vcc_lo
	s_waitcnt vmcnt(0)
	v_subrev_nc_u32_e32 v1, s18, v1
	v_lshl_add_u32 v19, v1, 2, v1
	s_delay_alu instid0(VALU_DEP_1) | instskip(NEXT) | instid1(VALU_DEP_1)
	v_dual_mov_b32 v18, v6 :: v_dual_add_nc_u32 v5, 1, v19
	v_lshlrev_b64 v[17:18], 2, v[17:18]
	s_delay_alu instid0(VALU_DEP_1) | instskip(NEXT) | instid1(VALU_DEP_2)
	v_add_co_u32 v27, vcc_lo, s8, v17
	v_add_co_ci_u32_e32 v28, vcc_lo, s9, v18, vcc_lo
	s_clause 0x3
	global_load_b128 v[15:18], v[21:22], off
	global_load_b32 v3, v[7:8], off
	global_load_b32 v29, v[25:26], off
	;; [unrolled: 1-line block ×3, first 2 shown]
	v_lshlrev_b64 v[7:8], 2, v[19:20]
	v_add_co_u32 v23, vcc_lo, s8, v23
	v_add_co_ci_u32_e32 v24, vcc_lo, s9, v24, vcc_lo
	v_lshlrev_b64 v[20:21], 2, v[5:6]
	s_delay_alu instid0(VALU_DEP_4)
	v_add_co_u32 v7, vcc_lo, s10, v7
	v_add_co_ci_u32_e32 v8, vcc_lo, s11, v8, vcc_lo
	global_load_b32 v1, v[7:8], off
	v_add_co_u32 v7, vcc_lo, s10, v20
	v_add_co_ci_u32_e32 v8, vcc_lo, s11, v21, vcc_lo
	v_add_nc_u32_e32 v5, -13, v2
	global_load_b32 v28, v[7:8], off
	s_waitcnt vmcnt(1)
	v_fmac_f32_e32 v12, v29, v1
	v_lshlrev_b64 v[25:26], 2, v[5:6]
	v_dual_fmac_f32 v10, v15, v1 :: v_dual_add_nc_u32 v5, -8, v2
	v_fmac_f32_e32 v13, v3, v1
	v_fmac_f32_e32 v11, v27, v1
	s_delay_alu instid0(VALU_DEP_4) | instskip(SKIP_4) | instid1(VALU_DEP_2)
	v_add_co_u32 v25, vcc_lo, s8, v25
	s_waitcnt vmcnt(0)
	v_fmac_f32_e32 v10, v16, v28
	v_lshlrev_b64 v[20:21], 2, v[5:6]
	v_add_co_ci_u32_e32 v26, vcc_lo, s9, v26, vcc_lo
	v_add_co_u32 v20, vcc_lo, s8, v20
	s_delay_alu instid0(VALU_DEP_3) | instskip(SKIP_4) | instid1(VALU_DEP_1)
	v_add_co_ci_u32_e32 v21, vcc_lo, s9, v21, vcc_lo
	s_clause 0x1
	global_load_b32 v30, v[25:26], off
	global_load_b32 v31, v[20:21], off
	v_add_nc_u32_e32 v5, -3, v2
	v_lshlrev_b64 v[7:8], 2, v[5:6]
	v_add_nc_u32_e32 v5, 2, v19
	s_delay_alu instid0(VALU_DEP_2) | instskip(NEXT) | instid1(VALU_DEP_2)
	v_add_co_u32 v7, vcc_lo, s8, v7
	v_lshlrev_b64 v[25:26], 2, v[5:6]
	s_delay_alu instid0(VALU_DEP_4)
	v_add_co_ci_u32_e32 v8, vcc_lo, s9, v8, vcc_lo
	global_load_b32 v32, v[7:8], off
	v_add_co_u32 v7, vcc_lo, s10, v25
	v_add_co_ci_u32_e32 v8, vcc_lo, s11, v26, vcc_lo
	global_load_b32 v33, v[7:8], off
	s_waitcnt vmcnt(2)
	v_dual_fmac_f32 v12, v31, v28 :: v_dual_add_nc_u32 v5, -12, v2
	s_delay_alu instid0(VALU_DEP_1) | instskip(NEXT) | instid1(VALU_DEP_1)
	v_lshlrev_b64 v[20:21], 2, v[5:6]
	v_add_co_u32 v20, vcc_lo, s8, v20
	s_delay_alu instid0(VALU_DEP_2) | instskip(SKIP_3) | instid1(VALU_DEP_1)
	v_add_co_ci_u32_e32 v21, vcc_lo, s9, v21, vcc_lo
	global_load_b32 v34, v[20:21], off
	s_waitcnt vmcnt(1)
	v_dual_fmac_f32 v10, v17, v33 :: v_dual_add_nc_u32 v5, -7, v2
	v_lshlrev_b64 v[25:26], 2, v[5:6]
	v_add_nc_u32_e32 v5, -2, v2
	s_delay_alu instid0(VALU_DEP_1) | instskip(SKIP_1) | instid1(VALU_DEP_4)
	v_lshlrev_b64 v[7:8], 2, v[5:6]
	v_add_nc_u32_e32 v5, 3, v19
	v_add_co_u32 v20, vcc_lo, s8, v25
	v_add_co_ci_u32_e32 v21, vcc_lo, s9, v26, vcc_lo
	s_delay_alu instid0(VALU_DEP_4) | instskip(NEXT) | instid1(VALU_DEP_4)
	v_add_co_u32 v7, vcc_lo, s8, v7
	v_lshlrev_b64 v[25:26], 2, v[5:6]
	v_add_nc_u32_e32 v5, -11, v2
	v_add_co_ci_u32_e32 v8, vcc_lo, s9, v8, vcc_lo
	s_clause 0x1
	global_load_b32 v35, v[20:21], off
	global_load_b32 v36, v[7:8], off
	v_lshlrev_b64 v[20:21], 2, v[5:6]
	v_add_nc_u32_e32 v5, -6, v2
	v_add_co_u32 v7, vcc_lo, s10, v25
	v_add_co_ci_u32_e32 v8, vcc_lo, s11, v26, vcc_lo
	s_delay_alu instid0(VALU_DEP_3)
	v_lshlrev_b64 v[25:26], 2, v[5:6]
	v_add_nc_u32_e32 v5, -1, v2
	v_add_co_u32 v20, vcc_lo, s8, v20
	v_add_co_ci_u32_e32 v21, vcc_lo, s9, v21, vcc_lo
	global_load_b32 v37, v[7:8], off
	v_lshlrev_b64 v[7:8], 2, v[5:6]
	v_add_nc_u32_e32 v5, -15, v2
	global_load_b32 v38, v[20:21], off
	v_add_co_u32 v20, vcc_lo, s8, v25
	v_add_co_ci_u32_e32 v21, vcc_lo, s9, v26, vcc_lo
	v_add_co_u32 v7, vcc_lo, s8, v7
	v_lshlrev_b64 v[25:26], 2, v[5:6]
	v_add_nc_u32_e32 v5, 4, v19
	v_add_co_ci_u32_e32 v8, vcc_lo, s9, v8, vcc_lo
	s_clause 0x1
	global_load_b32 v39, v[20:21], off
	global_load_b32 v40, v[7:8], off
	v_lshlrev_b64 v[19:20], 2, v[5:6]
	v_add_nc_u32_e32 v5, -10, v2
	v_add_co_u32 v7, vcc_lo, s8, v25
	v_add_co_ci_u32_e32 v8, vcc_lo, s9, v26, vcc_lo
	s_delay_alu instid0(VALU_DEP_3) | instskip(SKIP_3) | instid1(VALU_DEP_3)
	v_lshlrev_b64 v[21:22], 2, v[5:6]
	v_add_nc_u32_e32 v5, -5, v2
	v_add_co_u32 v19, vcc_lo, s10, v19
	v_add_co_ci_u32_e32 v20, vcc_lo, s11, v20, vcc_lo
	v_lshlrev_b64 v[25:26], 2, v[5:6]
	v_add_co_u32 v21, vcc_lo, s8, v21
	v_add_co_ci_u32_e32 v22, vcc_lo, s9, v22, vcc_lo
	v_add_nc_u32_e32 v2, 0xa0, v2
	s_delay_alu instid0(VALU_DEP_4)
	v_add_co_u32 v25, vcc_lo, s8, v25
	v_add_co_ci_u32_e32 v26, vcc_lo, s9, v26, vcc_lo
	global_load_b32 v5, v[7:8], off
	global_load_b32 v7, v[19:20], off
	s_clause 0x2
	global_load_b32 v8, v[21:22], off
	global_load_b32 v19, v[25:26], off
	;; [unrolled: 1-line block ×3, first 2 shown]
	v_fmac_f32_e32 v11, v32, v28
	v_cmp_ge_i32_e32 vcc_lo, v0, v14
	s_or_b32 s2, vcc_lo, s2
	s_waitcnt vmcnt(10)
	v_fmac_f32_e32 v12, v35, v33
	s_waitcnt vmcnt(9)
	v_fmac_f32_e32 v11, v36, v33
	;; [unrolled: 2-line block ×3, first 2 shown]
	s_waitcnt vmcnt(6)
	v_dual_fmac_f32 v13, v30, v28 :: v_dual_fmac_f32 v12, v39, v37
	s_waitcnt vmcnt(3)
	s_delay_alu instid0(VALU_DEP_2) | instskip(SKIP_1) | instid1(VALU_DEP_2)
	v_dual_fmac_f32 v11, v40, v37 :: v_dual_fmac_f32 v10, v5, v7
	s_waitcnt vmcnt(1)
	v_dual_fmac_f32 v13, v34, v33 :: v_dual_fmac_f32 v12, v19, v7
	s_waitcnt vmcnt(0)
	s_delay_alu instid0(VALU_DEP_2) | instskip(NEXT) | instid1(VALU_DEP_2)
	v_fmac_f32_e32 v11, v20, v7
	v_fmac_f32_e32 v13, v38, v37
	s_delay_alu instid0(VALU_DEP_1)
	v_fmac_f32_e32 v13, v8, v7
	s_and_not1_b32 exec_lo, exec_lo, s2
	s_cbranch_execnz .LBB16_15
; %bb.16:
	s_or_b32 exec_lo, exec_lo, s2
.LBB16_17:
	s_delay_alu instid0(SALU_CYCLE_1)
	s_or_b32 exec_lo, exec_lo, s3
.LBB16_18:
	v_mbcnt_lo_u32_b32 v0, -1, 0
	s_mov_b32 s2, -1
	s_delay_alu instid0(VALU_DEP_1) | instskip(SKIP_1) | instid1(VALU_DEP_2)
	v_xor_b32_e32 v1, 4, v0
	v_xor_b32_e32 v6, 2, v0
	v_cmp_gt_i32_e32 vcc_lo, 32, v1
	v_cndmask_b32_e32 v1, v0, v1, vcc_lo
	s_delay_alu instid0(VALU_DEP_3) | instskip(SKIP_1) | instid1(VALU_DEP_1)
	v_cmp_gt_i32_e32 vcc_lo, 32, v6
	v_cndmask_b32_e32 v6, v0, v6, vcc_lo
	v_lshlrev_b32_e32 v6, 2, v6
	s_delay_alu instid0(VALU_DEP_4)
	v_lshlrev_b32_e32 v1, 2, v1
	ds_bpermute_b32 v2, v1, v10
	s_waitcnt lgkmcnt(0)
	v_add_f32_e32 v2, v10, v2
	ds_bpermute_b32 v3, v1, v13
	ds_bpermute_b32 v5, v1, v12
	;; [unrolled: 1-line block ×3, first 2 shown]
	s_waitcnt lgkmcnt(2)
	v_add_f32_e32 v3, v13, v3
	s_waitcnt lgkmcnt(1)
	v_add_f32_e32 v5, v12, v5
	;; [unrolled: 2-line block ×3, first 2 shown]
	v_xor_b32_e32 v11, 1, v0
	ds_bpermute_b32 v1, v6, v2
	ds_bpermute_b32 v8, v6, v3
	;; [unrolled: 1-line block ×3, first 2 shown]
	v_cmp_gt_i32_e32 vcc_lo, 32, v11
	v_cndmask_b32_e32 v0, v0, v11, vcc_lo
	ds_bpermute_b32 v6, v6, v7
	v_cmp_eq_u32_e32 vcc_lo, 7, v9
	s_waitcnt lgkmcnt(3)
	v_dual_add_f32 v0, v2, v1 :: v_dual_lshlrev_b32 v11, 2, v0
	s_waitcnt lgkmcnt(1)
	v_dual_add_f32 v1, v3, v8 :: v_dual_add_f32 v2, v5, v10
	ds_bpermute_b32 v5, v11, v0
	s_waitcnt lgkmcnt(1)
	v_add_f32_e32 v3, v7, v6
	ds_bpermute_b32 v6, v11, v1
	ds_bpermute_b32 v7, v11, v2
	;; [unrolled: 1-line block ×3, first 2 shown]
	s_and_b32 exec_lo, exec_lo, vcc_lo
	s_cbranch_execz .LBB16_23
; %bb.19:
	s_load_b64 s[0:1], s[0:1], 0x38
	s_waitcnt lgkmcnt(0)
	v_dual_add_f32 v0, v0, v5 :: v_dual_add_f32 v1, v1, v6
	v_dual_add_f32 v2, v2, v7 :: v_dual_add_f32 v3, v3, v8
	v_cmp_eq_f32_e64 s3, s12, 0
	s_delay_alu instid0(VALU_DEP_3) | instskip(NEXT) | instid1(VALU_DEP_3)
	v_dual_mul_f32 v0, s16, v0 :: v_dual_mul_f32 v1, s16, v1
	v_dual_mul_f32 v2, s16, v2 :: v_dual_mul_f32 v3, s16, v3
	v_lshlrev_b32_e32 v4, 2, v4
	s_delay_alu instid0(VALU_DEP_4)
	s_and_b32 vcc_lo, exec_lo, s3
	s_cbranch_vccz .LBB16_21
; %bb.20:
	s_delay_alu instid0(VALU_DEP_1) | instskip(SKIP_1) | instid1(VALU_DEP_1)
	v_ashrrev_i32_e32 v5, 31, v4
	s_mov_b32 s2, 0
	v_lshlrev_b64 v[5:6], 2, v[4:5]
	s_delay_alu instid0(VALU_DEP_1) | instskip(NEXT) | instid1(VALU_DEP_2)
	v_add_co_u32 v5, vcc_lo, s0, v5
	v_add_co_ci_u32_e32 v6, vcc_lo, s1, v6, vcc_lo
	global_store_b128 v[5:6], v[0:3], off
.LBB16_21:
	s_and_not1_b32 vcc_lo, exec_lo, s2
	s_cbranch_vccnz .LBB16_23
; %bb.22:
	v_ashrrev_i32_e32 v5, 31, v4
	s_delay_alu instid0(VALU_DEP_1) | instskip(NEXT) | instid1(VALU_DEP_1)
	v_lshlrev_b64 v[4:5], 2, v[4:5]
	v_add_co_u32 v8, vcc_lo, s0, v4
	s_delay_alu instid0(VALU_DEP_2)
	v_add_co_ci_u32_e32 v9, vcc_lo, s1, v5, vcc_lo
	global_load_b128 v[4:7], v[8:9], off
	s_waitcnt vmcnt(0)
	v_dual_fmac_f32 v0, s12, v4 :: v_dual_fmac_f32 v1, s12, v5
	v_dual_fmac_f32 v2, s12, v6 :: v_dual_fmac_f32 v3, s12, v7
	global_store_b128 v[8:9], v[0:3], off
.LBB16_23:
	s_nop 0
	s_sendmsg sendmsg(MSG_DEALLOC_VGPRS)
	s_endpgm
	.section	.rodata,"a",@progbits
	.p2align	6, 0x0
	.amdhsa_kernel _ZN9rocsparseL19gebsrmvn_4xn_kernelILj128ELj5ELj8EfEEvi20rocsparse_direction_NS_24const_host_device_scalarIT2_EEPKiS6_PKS3_S8_S4_PS3_21rocsparse_index_base_b
		.amdhsa_group_segment_fixed_size 0
		.amdhsa_private_segment_fixed_size 0
		.amdhsa_kernarg_size 72
		.amdhsa_user_sgpr_count 15
		.amdhsa_user_sgpr_dispatch_ptr 0
		.amdhsa_user_sgpr_queue_ptr 0
		.amdhsa_user_sgpr_kernarg_segment_ptr 1
		.amdhsa_user_sgpr_dispatch_id 0
		.amdhsa_user_sgpr_private_segment_size 0
		.amdhsa_wavefront_size32 1
		.amdhsa_uses_dynamic_stack 0
		.amdhsa_enable_private_segment 0
		.amdhsa_system_sgpr_workgroup_id_x 1
		.amdhsa_system_sgpr_workgroup_id_y 0
		.amdhsa_system_sgpr_workgroup_id_z 0
		.amdhsa_system_sgpr_workgroup_info 0
		.amdhsa_system_vgpr_workitem_id 0
		.amdhsa_next_free_vgpr 41
		.amdhsa_next_free_sgpr 20
		.amdhsa_reserve_vcc 1
		.amdhsa_float_round_mode_32 0
		.amdhsa_float_round_mode_16_64 0
		.amdhsa_float_denorm_mode_32 3
		.amdhsa_float_denorm_mode_16_64 3
		.amdhsa_dx10_clamp 1
		.amdhsa_ieee_mode 1
		.amdhsa_fp16_overflow 0
		.amdhsa_workgroup_processor_mode 1
		.amdhsa_memory_ordered 1
		.amdhsa_forward_progress 0
		.amdhsa_shared_vgpr_count 0
		.amdhsa_exception_fp_ieee_invalid_op 0
		.amdhsa_exception_fp_denorm_src 0
		.amdhsa_exception_fp_ieee_div_zero 0
		.amdhsa_exception_fp_ieee_overflow 0
		.amdhsa_exception_fp_ieee_underflow 0
		.amdhsa_exception_fp_ieee_inexact 0
		.amdhsa_exception_int_div_zero 0
	.end_amdhsa_kernel
	.section	.text._ZN9rocsparseL19gebsrmvn_4xn_kernelILj128ELj5ELj8EfEEvi20rocsparse_direction_NS_24const_host_device_scalarIT2_EEPKiS6_PKS3_S8_S4_PS3_21rocsparse_index_base_b,"axG",@progbits,_ZN9rocsparseL19gebsrmvn_4xn_kernelILj128ELj5ELj8EfEEvi20rocsparse_direction_NS_24const_host_device_scalarIT2_EEPKiS6_PKS3_S8_S4_PS3_21rocsparse_index_base_b,comdat
.Lfunc_end16:
	.size	_ZN9rocsparseL19gebsrmvn_4xn_kernelILj128ELj5ELj8EfEEvi20rocsparse_direction_NS_24const_host_device_scalarIT2_EEPKiS6_PKS3_S8_S4_PS3_21rocsparse_index_base_b, .Lfunc_end16-_ZN9rocsparseL19gebsrmvn_4xn_kernelILj128ELj5ELj8EfEEvi20rocsparse_direction_NS_24const_host_device_scalarIT2_EEPKiS6_PKS3_S8_S4_PS3_21rocsparse_index_base_b
                                        ; -- End function
	.section	.AMDGPU.csdata,"",@progbits
; Kernel info:
; codeLenInByte = 2440
; NumSgprs: 22
; NumVgprs: 41
; ScratchSize: 0
; MemoryBound: 0
; FloatMode: 240
; IeeeMode: 1
; LDSByteSize: 0 bytes/workgroup (compile time only)
; SGPRBlocks: 2
; VGPRBlocks: 5
; NumSGPRsForWavesPerEU: 22
; NumVGPRsForWavesPerEU: 41
; Occupancy: 16
; WaveLimiterHint : 1
; COMPUTE_PGM_RSRC2:SCRATCH_EN: 0
; COMPUTE_PGM_RSRC2:USER_SGPR: 15
; COMPUTE_PGM_RSRC2:TRAP_HANDLER: 0
; COMPUTE_PGM_RSRC2:TGID_X_EN: 1
; COMPUTE_PGM_RSRC2:TGID_Y_EN: 0
; COMPUTE_PGM_RSRC2:TGID_Z_EN: 0
; COMPUTE_PGM_RSRC2:TIDIG_COMP_CNT: 0
	.section	.text._ZN9rocsparseL19gebsrmvn_4xn_kernelILj128ELj5ELj16EfEEvi20rocsparse_direction_NS_24const_host_device_scalarIT2_EEPKiS6_PKS3_S8_S4_PS3_21rocsparse_index_base_b,"axG",@progbits,_ZN9rocsparseL19gebsrmvn_4xn_kernelILj128ELj5ELj16EfEEvi20rocsparse_direction_NS_24const_host_device_scalarIT2_EEPKiS6_PKS3_S8_S4_PS3_21rocsparse_index_base_b,comdat
	.globl	_ZN9rocsparseL19gebsrmvn_4xn_kernelILj128ELj5ELj16EfEEvi20rocsparse_direction_NS_24const_host_device_scalarIT2_EEPKiS6_PKS3_S8_S4_PS3_21rocsparse_index_base_b ; -- Begin function _ZN9rocsparseL19gebsrmvn_4xn_kernelILj128ELj5ELj16EfEEvi20rocsparse_direction_NS_24const_host_device_scalarIT2_EEPKiS6_PKS3_S8_S4_PS3_21rocsparse_index_base_b
	.p2align	8
	.type	_ZN9rocsparseL19gebsrmvn_4xn_kernelILj128ELj5ELj16EfEEvi20rocsparse_direction_NS_24const_host_device_scalarIT2_EEPKiS6_PKS3_S8_S4_PS3_21rocsparse_index_base_b,@function
_ZN9rocsparseL19gebsrmvn_4xn_kernelILj128ELj5ELj16EfEEvi20rocsparse_direction_NS_24const_host_device_scalarIT2_EEPKiS6_PKS3_S8_S4_PS3_21rocsparse_index_base_b: ; @_ZN9rocsparseL19gebsrmvn_4xn_kernelILj128ELj5ELj16EfEEvi20rocsparse_direction_NS_24const_host_device_scalarIT2_EEPKiS6_PKS3_S8_S4_PS3_21rocsparse_index_base_b
; %bb.0:
	s_clause 0x2
	s_load_b64 s[18:19], s[0:1], 0x40
	s_load_b64 s[16:17], s[0:1], 0x8
	;; [unrolled: 1-line block ×3, first 2 shown]
	s_waitcnt lgkmcnt(0)
	s_bitcmp1_b32 s19, 0
	s_cselect_b32 s2, -1, 0
	s_delay_alu instid0(SALU_CYCLE_1)
	s_and_b32 vcc_lo, exec_lo, s2
	s_xor_b32 s2, s2, -1
	s_cbranch_vccnz .LBB17_2
; %bb.1:
	s_load_b32 s16, s[16:17], 0x0
.LBB17_2:
	s_and_not1_b32 vcc_lo, exec_lo, s2
	s_cbranch_vccnz .LBB17_4
; %bb.3:
	s_load_b32 s12, s[12:13], 0x0
.LBB17_4:
	s_waitcnt lgkmcnt(0)
	v_cmp_eq_f32_e64 s2, s16, 0
	v_cmp_eq_f32_e64 s3, s12, 1.0
	s_delay_alu instid0(VALU_DEP_1) | instskip(NEXT) | instid1(SALU_CYCLE_1)
	s_and_b32 s2, s2, s3
	s_and_b32 vcc_lo, exec_lo, s2
	s_cbranch_vccnz .LBB17_23
; %bb.5:
	s_load_b64 s[2:3], s[0:1], 0x0
	v_lshrrev_b32_e32 v1, 4, v0
	s_delay_alu instid0(VALU_DEP_1) | instskip(SKIP_1) | instid1(VALU_DEP_1)
	v_lshl_or_b32 v4, s15, 3, v1
	s_waitcnt lgkmcnt(0)
	v_cmp_gt_i32_e32 vcc_lo, s2, v4
	s_and_saveexec_b32 s2, vcc_lo
	s_cbranch_execz .LBB17_23
; %bb.6:
	s_load_b256 s[4:11], s[0:1], 0x10
	v_ashrrev_i32_e32 v5, 31, v4
	v_and_b32_e32 v9, 15, v0
	s_cmp_lg_u32 s3, 0
	s_delay_alu instid0(VALU_DEP_2) | instskip(SKIP_1) | instid1(VALU_DEP_1)
	v_lshlrev_b64 v[1:2], 2, v[4:5]
	s_waitcnt lgkmcnt(0)
	v_add_co_u32 v1, vcc_lo, s4, v1
	s_delay_alu instid0(VALU_DEP_2) | instskip(SKIP_4) | instid1(VALU_DEP_2)
	v_add_co_ci_u32_e32 v2, vcc_lo, s5, v2, vcc_lo
	global_load_b64 v[1:2], v[1:2], off
	s_waitcnt vmcnt(0)
	v_subrev_nc_u32_e32 v0, s18, v1
	v_subrev_nc_u32_e32 v14, s18, v2
	v_add_nc_u32_e32 v0, v0, v9
	s_delay_alu instid0(VALU_DEP_1)
	v_cmp_lt_i32_e64 s2, v0, v14
	s_cbranch_scc0 .LBB17_12
; %bb.7:
	v_dual_mov_b32 v10, 0 :: v_dual_mov_b32 v11, 0
	v_dual_mov_b32 v12, 0 :: v_dual_mov_b32 v13, 0
	s_mov_b32 s3, 0
	s_and_saveexec_b32 s4, s2
	s_cbranch_execz .LBB17_11
; %bb.8:
	v_mad_u64_u32 v[1:2], null, v0, 20, 16
	v_dual_mov_b32 v6, 0 :: v_dual_mov_b32 v7, v0
	v_dual_mov_b32 v10, 0 :: v_dual_mov_b32 v11, 0
	v_dual_mov_b32 v12, 0 :: v_dual_mov_b32 v13, 0
	s_mov_b32 s5, 0
.LBB17_9:                               ; =>This Inner Loop Header: Depth=1
	s_delay_alu instid0(VALU_DEP_3) | instskip(SKIP_1) | instid1(VALU_DEP_2)
	v_ashrrev_i32_e32 v8, 31, v7
	v_add_nc_u32_e32 v5, -16, v1
	v_lshlrev_b64 v[2:3], 2, v[7:8]
	v_add_nc_u32_e32 v7, 16, v7
	s_delay_alu instid0(VALU_DEP_2) | instskip(NEXT) | instid1(VALU_DEP_3)
	v_add_co_u32 v2, vcc_lo, s6, v2
	v_add_co_ci_u32_e32 v3, vcc_lo, s7, v3, vcc_lo
	global_load_b32 v8, v[2:3], off
	v_mov_b32_e32 v2, v6
	v_lshlrev_b64 v[15:16], 2, v[5:6]
	v_add_nc_u32_e32 v5, -12, v1
	s_delay_alu instid0(VALU_DEP_3) | instskip(NEXT) | instid1(VALU_DEP_2)
	v_lshlrev_b64 v[17:18], 2, v[1:2]
	v_lshlrev_b64 v[19:20], 2, v[5:6]
	s_delay_alu instid0(VALU_DEP_4) | instskip(SKIP_1) | instid1(VALU_DEP_4)
	v_add_co_u32 v15, vcc_lo, s8, v15
	v_add_co_ci_u32_e32 v16, vcc_lo, s9, v16, vcc_lo
	v_add_co_u32 v31, vcc_lo, s8, v17
	v_add_co_ci_u32_e32 v32, vcc_lo, s9, v18, vcc_lo
	;; [unrolled: 2-line block ×3, first 2 shown]
	s_clause 0x1
	global_load_b128 v[15:18], v[15:16], off
	global_load_b128 v[19:22], v[19:20], off
	v_mov_b32_e32 v3, v6
	s_waitcnt vmcnt(2)
	v_subrev_nc_u32_e32 v2, s18, v8
	s_delay_alu instid0(VALU_DEP_1) | instskip(NEXT) | instid1(VALU_DEP_1)
	v_lshl_add_u32 v2, v2, 2, v2
	v_add_nc_u32_e32 v5, 1, v2
	v_lshlrev_b64 v[23:24], 2, v[2:3]
	s_delay_alu instid0(VALU_DEP_2) | instskip(NEXT) | instid1(VALU_DEP_2)
	v_lshlrev_b64 v[25:26], 2, v[5:6]
	v_add_co_u32 v23, vcc_lo, s10, v23
	s_delay_alu instid0(VALU_DEP_3) | instskip(NEXT) | instid1(VALU_DEP_3)
	v_add_co_ci_u32_e32 v24, vcc_lo, s11, v24, vcc_lo
	v_add_co_u32 v25, vcc_lo, s10, v25
	s_delay_alu instid0(VALU_DEP_4)
	v_add_co_ci_u32_e32 v26, vcc_lo, s11, v26, vcc_lo
	s_clause 0x1
	global_load_b32 v8, v[23:24], off
	global_load_b32 v37, v[25:26], off
	s_waitcnt vmcnt(1)
	v_fmac_f32_e32 v10, v15, v8
	v_fmac_f32_e32 v12, v17, v8
	s_waitcnt vmcnt(0)
	s_delay_alu instid0(VALU_DEP_2) | instskip(SKIP_1) | instid1(VALU_DEP_3)
	v_fmac_f32_e32 v10, v19, v37
	v_add_nc_u32_e32 v5, -8, v1
	v_fmac_f32_e32 v12, v21, v37
	s_delay_alu instid0(VALU_DEP_2) | instskip(SKIP_1) | instid1(VALU_DEP_1)
	v_lshlrev_b64 v[27:28], 2, v[5:6]
	v_add_nc_u32_e32 v5, 2, v2
	v_lshlrev_b64 v[23:24], 2, v[5:6]
	s_delay_alu instid0(VALU_DEP_3) | instskip(NEXT) | instid1(VALU_DEP_4)
	v_add_co_u32 v25, vcc_lo, s8, v27
	v_add_co_ci_u32_e32 v26, vcc_lo, s9, v28, vcc_lo
	s_delay_alu instid0(VALU_DEP_3) | instskip(NEXT) | instid1(VALU_DEP_4)
	v_add_co_u32 v29, vcc_lo, s10, v23
	v_add_co_ci_u32_e32 v30, vcc_lo, s11, v24, vcc_lo
	global_load_b128 v[23:26], v[25:26], off
	global_load_b32 v38, v[29:30], off
	v_add_nc_u32_e32 v5, -4, v1
	s_waitcnt vmcnt(0)
	v_dual_fmac_f32 v12, v25, v38 :: v_dual_add_nc_u32 v1, 0x140, v1
	s_delay_alu instid0(VALU_DEP_2) | instskip(SKIP_2) | instid1(VALU_DEP_2)
	v_lshlrev_b64 v[27:28], 2, v[5:6]
	v_add_nc_u32_e32 v5, 3, v2
	v_fmac_f32_e32 v10, v23, v38
	v_lshlrev_b64 v[33:34], 2, v[5:6]
	v_add_nc_u32_e32 v5, 4, v2
	v_add_co_u32 v2, vcc_lo, s8, v27
	v_add_co_ci_u32_e32 v3, vcc_lo, s9, v28, vcc_lo
	s_delay_alu instid0(VALU_DEP_3)
	v_lshlrev_b64 v[35:36], 2, v[5:6]
	v_add_co_u32 v33, vcc_lo, s10, v33
	v_add_co_ci_u32_e32 v34, vcc_lo, s11, v34, vcc_lo
	global_load_b128 v[27:30], v[2:3], off
	global_load_b32 v5, v[33:34], off
	v_add_co_u32 v2, vcc_lo, s10, v35
	v_add_co_ci_u32_e32 v3, vcc_lo, s11, v36, vcc_lo
	global_load_b128 v[31:34], v[31:32], off
	global_load_b32 v2, v[2:3], off
	v_fmac_f32_e32 v13, v16, v8
	v_fmac_f32_e32 v11, v18, v8
	v_cmp_ge_i32_e32 vcc_lo, v7, v14
	s_or_b32 s5, vcc_lo, s5
	s_waitcnt vmcnt(2)
	v_fmac_f32_e32 v12, v29, v5
	v_fmac_f32_e32 v11, v22, v37
	;; [unrolled: 1-line block ×3, first 2 shown]
	s_waitcnt vmcnt(0)
	s_delay_alu instid0(VALU_DEP_1) | instskip(NEXT) | instid1(VALU_DEP_1)
	v_dual_fmac_f32 v13, v20, v37 :: v_dual_fmac_f32 v10, v31, v2
	v_fmac_f32_e32 v13, v24, v38
	v_fmac_f32_e32 v12, v33, v2
	;; [unrolled: 1-line block ×3, first 2 shown]
	s_delay_alu instid0(VALU_DEP_3) | instskip(NEXT) | instid1(VALU_DEP_2)
	v_fmac_f32_e32 v13, v28, v5
	v_fmac_f32_e32 v11, v30, v5
	s_delay_alu instid0(VALU_DEP_2) | instskip(NEXT) | instid1(VALU_DEP_2)
	v_fmac_f32_e32 v13, v32, v2
	v_fmac_f32_e32 v11, v34, v2
	s_and_not1_b32 exec_lo, exec_lo, s5
	s_cbranch_execnz .LBB17_9
; %bb.10:
	s_or_b32 exec_lo, exec_lo, s5
.LBB17_11:
	s_delay_alu instid0(SALU_CYCLE_1) | instskip(NEXT) | instid1(SALU_CYCLE_1)
	s_or_b32 exec_lo, exec_lo, s4
	s_and_not1_b32 vcc_lo, exec_lo, s3
	s_cbranch_vccz .LBB17_13
	s_branch .LBB17_18
.LBB17_12:
                                        ; implicit-def: $vgpr10
                                        ; implicit-def: $vgpr11
                                        ; implicit-def: $vgpr12
                                        ; implicit-def: $vgpr13
.LBB17_13:
	v_dual_mov_b32 v10, 0 :: v_dual_mov_b32 v11, 0
	v_dual_mov_b32 v12, 0 :: v_dual_mov_b32 v13, 0
	s_delay_alu instid0(VALU_DEP_3)
	s_and_saveexec_b32 s3, s2
	s_cbranch_execz .LBB17_17
; %bb.14:
	v_mad_u64_u32 v[2:3], null, v0, 20, 19
	v_dual_mov_b32 v6, 0 :: v_dual_mov_b32 v11, 0
	v_dual_mov_b32 v10, 0 :: v_dual_mov_b32 v13, 0
	v_mov_b32_e32 v12, 0
	s_mov_b32 s2, 0
.LBB17_15:                              ; =>This Inner Loop Header: Depth=1
	v_ashrrev_i32_e32 v1, 31, v0
	v_subrev_nc_u32_e32 v5, 19, v2
	v_add_nc_u32_e32 v15, -9, v2
	v_dual_mov_b32 v16, v6 :: v_dual_add_nc_u32 v17, -4, v2
	s_delay_alu instid0(VALU_DEP_4) | instskip(NEXT) | instid1(VALU_DEP_4)
	v_lshlrev_b64 v[7:8], 2, v[0:1]
	v_lshlrev_b64 v[21:22], 2, v[5:6]
	v_mov_b32_e32 v3, v6
	v_mov_b32_e32 v20, v6
	v_add_nc_u32_e32 v0, 16, v0
	v_add_co_u32 v7, vcc_lo, s6, v7
	v_add_co_ci_u32_e32 v8, vcc_lo, s7, v8, vcc_lo
	v_add_co_u32 v21, vcc_lo, s8, v21
	v_add_co_ci_u32_e32 v22, vcc_lo, s9, v22, vcc_lo
	global_load_b32 v1, v[7:8], off
	v_dual_mov_b32 v8, v6 :: v_dual_add_nc_u32 v7, -14, v2
	v_lshlrev_b64 v[15:16], 2, v[15:16]
	v_lshlrev_b64 v[23:24], 2, v[2:3]
	s_delay_alu instid0(VALU_DEP_3) | instskip(NEXT) | instid1(VALU_DEP_1)
	v_lshlrev_b64 v[7:8], 2, v[7:8]
	v_add_co_u32 v7, vcc_lo, s8, v7
	s_delay_alu instid0(VALU_DEP_2) | instskip(SKIP_4) | instid1(VALU_DEP_1)
	v_add_co_ci_u32_e32 v8, vcc_lo, s9, v8, vcc_lo
	v_add_co_u32 v25, vcc_lo, s8, v15
	v_add_co_ci_u32_e32 v26, vcc_lo, s9, v16, vcc_lo
	s_waitcnt vmcnt(0)
	v_subrev_nc_u32_e32 v1, s18, v1
	v_lshl_add_u32 v19, v1, 2, v1
	s_delay_alu instid0(VALU_DEP_1) | instskip(NEXT) | instid1(VALU_DEP_1)
	v_dual_mov_b32 v18, v6 :: v_dual_add_nc_u32 v5, 1, v19
	v_lshlrev_b64 v[17:18], 2, v[17:18]
	s_delay_alu instid0(VALU_DEP_1) | instskip(NEXT) | instid1(VALU_DEP_2)
	v_add_co_u32 v27, vcc_lo, s8, v17
	v_add_co_ci_u32_e32 v28, vcc_lo, s9, v18, vcc_lo
	s_clause 0x3
	global_load_b128 v[15:18], v[21:22], off
	global_load_b32 v3, v[7:8], off
	global_load_b32 v29, v[25:26], off
	;; [unrolled: 1-line block ×3, first 2 shown]
	v_lshlrev_b64 v[7:8], 2, v[19:20]
	v_add_co_u32 v23, vcc_lo, s8, v23
	v_add_co_ci_u32_e32 v24, vcc_lo, s9, v24, vcc_lo
	v_lshlrev_b64 v[20:21], 2, v[5:6]
	s_delay_alu instid0(VALU_DEP_4)
	v_add_co_u32 v7, vcc_lo, s10, v7
	v_add_co_ci_u32_e32 v8, vcc_lo, s11, v8, vcc_lo
	global_load_b32 v1, v[7:8], off
	v_add_co_u32 v7, vcc_lo, s10, v20
	v_add_co_ci_u32_e32 v8, vcc_lo, s11, v21, vcc_lo
	v_add_nc_u32_e32 v5, -13, v2
	global_load_b32 v28, v[7:8], off
	s_waitcnt vmcnt(1)
	v_fmac_f32_e32 v12, v29, v1
	v_lshlrev_b64 v[25:26], 2, v[5:6]
	v_dual_fmac_f32 v10, v15, v1 :: v_dual_add_nc_u32 v5, -8, v2
	v_fmac_f32_e32 v13, v3, v1
	v_fmac_f32_e32 v11, v27, v1
	s_delay_alu instid0(VALU_DEP_4) | instskip(SKIP_4) | instid1(VALU_DEP_2)
	v_add_co_u32 v25, vcc_lo, s8, v25
	s_waitcnt vmcnt(0)
	v_fmac_f32_e32 v10, v16, v28
	v_lshlrev_b64 v[20:21], 2, v[5:6]
	v_add_co_ci_u32_e32 v26, vcc_lo, s9, v26, vcc_lo
	v_add_co_u32 v20, vcc_lo, s8, v20
	s_delay_alu instid0(VALU_DEP_3) | instskip(SKIP_4) | instid1(VALU_DEP_1)
	v_add_co_ci_u32_e32 v21, vcc_lo, s9, v21, vcc_lo
	s_clause 0x1
	global_load_b32 v30, v[25:26], off
	global_load_b32 v31, v[20:21], off
	v_add_nc_u32_e32 v5, -3, v2
	v_lshlrev_b64 v[7:8], 2, v[5:6]
	v_add_nc_u32_e32 v5, 2, v19
	s_delay_alu instid0(VALU_DEP_2) | instskip(NEXT) | instid1(VALU_DEP_2)
	v_add_co_u32 v7, vcc_lo, s8, v7
	v_lshlrev_b64 v[25:26], 2, v[5:6]
	s_delay_alu instid0(VALU_DEP_4)
	v_add_co_ci_u32_e32 v8, vcc_lo, s9, v8, vcc_lo
	global_load_b32 v32, v[7:8], off
	v_add_co_u32 v7, vcc_lo, s10, v25
	v_add_co_ci_u32_e32 v8, vcc_lo, s11, v26, vcc_lo
	global_load_b32 v33, v[7:8], off
	s_waitcnt vmcnt(2)
	v_dual_fmac_f32 v12, v31, v28 :: v_dual_add_nc_u32 v5, -12, v2
	s_delay_alu instid0(VALU_DEP_1) | instskip(NEXT) | instid1(VALU_DEP_1)
	v_lshlrev_b64 v[20:21], 2, v[5:6]
	v_add_co_u32 v20, vcc_lo, s8, v20
	s_delay_alu instid0(VALU_DEP_2) | instskip(SKIP_3) | instid1(VALU_DEP_1)
	v_add_co_ci_u32_e32 v21, vcc_lo, s9, v21, vcc_lo
	global_load_b32 v34, v[20:21], off
	s_waitcnt vmcnt(1)
	v_dual_fmac_f32 v10, v17, v33 :: v_dual_add_nc_u32 v5, -7, v2
	v_lshlrev_b64 v[25:26], 2, v[5:6]
	v_add_nc_u32_e32 v5, -2, v2
	s_delay_alu instid0(VALU_DEP_1) | instskip(SKIP_1) | instid1(VALU_DEP_4)
	v_lshlrev_b64 v[7:8], 2, v[5:6]
	v_add_nc_u32_e32 v5, 3, v19
	v_add_co_u32 v20, vcc_lo, s8, v25
	v_add_co_ci_u32_e32 v21, vcc_lo, s9, v26, vcc_lo
	s_delay_alu instid0(VALU_DEP_4) | instskip(NEXT) | instid1(VALU_DEP_4)
	v_add_co_u32 v7, vcc_lo, s8, v7
	v_lshlrev_b64 v[25:26], 2, v[5:6]
	v_add_nc_u32_e32 v5, -11, v2
	v_add_co_ci_u32_e32 v8, vcc_lo, s9, v8, vcc_lo
	s_clause 0x1
	global_load_b32 v35, v[20:21], off
	global_load_b32 v36, v[7:8], off
	v_lshlrev_b64 v[20:21], 2, v[5:6]
	v_add_nc_u32_e32 v5, -6, v2
	v_add_co_u32 v7, vcc_lo, s10, v25
	v_add_co_ci_u32_e32 v8, vcc_lo, s11, v26, vcc_lo
	s_delay_alu instid0(VALU_DEP_3)
	v_lshlrev_b64 v[25:26], 2, v[5:6]
	v_add_nc_u32_e32 v5, -1, v2
	v_add_co_u32 v20, vcc_lo, s8, v20
	v_add_co_ci_u32_e32 v21, vcc_lo, s9, v21, vcc_lo
	global_load_b32 v37, v[7:8], off
	v_lshlrev_b64 v[7:8], 2, v[5:6]
	v_add_nc_u32_e32 v5, -15, v2
	global_load_b32 v38, v[20:21], off
	v_add_co_u32 v20, vcc_lo, s8, v25
	v_add_co_ci_u32_e32 v21, vcc_lo, s9, v26, vcc_lo
	v_add_co_u32 v7, vcc_lo, s8, v7
	v_lshlrev_b64 v[25:26], 2, v[5:6]
	v_add_nc_u32_e32 v5, 4, v19
	v_add_co_ci_u32_e32 v8, vcc_lo, s9, v8, vcc_lo
	s_clause 0x1
	global_load_b32 v39, v[20:21], off
	global_load_b32 v40, v[7:8], off
	v_lshlrev_b64 v[19:20], 2, v[5:6]
	v_add_nc_u32_e32 v5, -10, v2
	v_add_co_u32 v7, vcc_lo, s8, v25
	v_add_co_ci_u32_e32 v8, vcc_lo, s9, v26, vcc_lo
	s_delay_alu instid0(VALU_DEP_3) | instskip(SKIP_3) | instid1(VALU_DEP_3)
	v_lshlrev_b64 v[21:22], 2, v[5:6]
	v_add_nc_u32_e32 v5, -5, v2
	v_add_co_u32 v19, vcc_lo, s10, v19
	v_add_co_ci_u32_e32 v20, vcc_lo, s11, v20, vcc_lo
	v_lshlrev_b64 v[25:26], 2, v[5:6]
	v_add_co_u32 v21, vcc_lo, s8, v21
	v_add_co_ci_u32_e32 v22, vcc_lo, s9, v22, vcc_lo
	v_add_nc_u32_e32 v2, 0x140, v2
	s_delay_alu instid0(VALU_DEP_4)
	v_add_co_u32 v25, vcc_lo, s8, v25
	v_add_co_ci_u32_e32 v26, vcc_lo, s9, v26, vcc_lo
	global_load_b32 v5, v[7:8], off
	global_load_b32 v7, v[19:20], off
	s_clause 0x2
	global_load_b32 v8, v[21:22], off
	global_load_b32 v19, v[25:26], off
	;; [unrolled: 1-line block ×3, first 2 shown]
	v_fmac_f32_e32 v11, v32, v28
	v_cmp_ge_i32_e32 vcc_lo, v0, v14
	s_or_b32 s2, vcc_lo, s2
	s_waitcnt vmcnt(10)
	v_fmac_f32_e32 v12, v35, v33
	s_waitcnt vmcnt(9)
	v_fmac_f32_e32 v11, v36, v33
	;; [unrolled: 2-line block ×3, first 2 shown]
	s_waitcnt vmcnt(6)
	v_dual_fmac_f32 v13, v30, v28 :: v_dual_fmac_f32 v12, v39, v37
	s_waitcnt vmcnt(3)
	s_delay_alu instid0(VALU_DEP_2) | instskip(SKIP_1) | instid1(VALU_DEP_2)
	v_dual_fmac_f32 v11, v40, v37 :: v_dual_fmac_f32 v10, v5, v7
	s_waitcnt vmcnt(1)
	v_dual_fmac_f32 v13, v34, v33 :: v_dual_fmac_f32 v12, v19, v7
	s_waitcnt vmcnt(0)
	s_delay_alu instid0(VALU_DEP_2) | instskip(NEXT) | instid1(VALU_DEP_2)
	v_fmac_f32_e32 v11, v20, v7
	v_fmac_f32_e32 v13, v38, v37
	s_delay_alu instid0(VALU_DEP_1)
	v_fmac_f32_e32 v13, v8, v7
	s_and_not1_b32 exec_lo, exec_lo, s2
	s_cbranch_execnz .LBB17_15
; %bb.16:
	s_or_b32 exec_lo, exec_lo, s2
.LBB17_17:
	s_delay_alu instid0(SALU_CYCLE_1)
	s_or_b32 exec_lo, exec_lo, s3
.LBB17_18:
	v_mbcnt_lo_u32_b32 v0, -1, 0
	s_mov_b32 s2, -1
	s_delay_alu instid0(VALU_DEP_1) | instskip(SKIP_1) | instid1(VALU_DEP_2)
	v_xor_b32_e32 v1, 8, v0
	v_xor_b32_e32 v6, 4, v0
	v_cmp_gt_i32_e32 vcc_lo, 32, v1
	v_cndmask_b32_e32 v1, v0, v1, vcc_lo
	s_delay_alu instid0(VALU_DEP_3) | instskip(SKIP_1) | instid1(VALU_DEP_1)
	v_cmp_gt_i32_e32 vcc_lo, 32, v6
	v_cndmask_b32_e32 v6, v0, v6, vcc_lo
	v_lshlrev_b32_e32 v6, 2, v6
	s_delay_alu instid0(VALU_DEP_4)
	v_lshlrev_b32_e32 v1, 2, v1
	ds_bpermute_b32 v2, v1, v10
	s_waitcnt lgkmcnt(0)
	v_add_f32_e32 v2, v10, v2
	ds_bpermute_b32 v3, v1, v13
	ds_bpermute_b32 v5, v1, v12
	;; [unrolled: 1-line block ×4, first 2 shown]
	s_waitcnt lgkmcnt(3)
	v_add_f32_e32 v3, v13, v3
	s_waitcnt lgkmcnt(2)
	v_add_f32_e32 v5, v12, v5
	;; [unrolled: 2-line block ×3, first 2 shown]
	v_xor_b32_e32 v11, 2, v0
	s_waitcnt lgkmcnt(0)
	v_add_f32_e32 v2, v2, v7
	ds_bpermute_b32 v8, v6, v3
	ds_bpermute_b32 v10, v6, v5
	;; [unrolled: 1-line block ×3, first 2 shown]
	v_cmp_gt_i32_e32 vcc_lo, 32, v11
	v_cndmask_b32_e32 v11, v0, v11, vcc_lo
	s_waitcnt lgkmcnt(2)
	v_add_f32_e32 v3, v3, v8
	s_waitcnt lgkmcnt(1)
	v_add_f32_e32 v5, v5, v10
	s_waitcnt lgkmcnt(0)
	v_dual_add_f32 v6, v1, v6 :: v_dual_lshlrev_b32 v11, 2, v11
	ds_bpermute_b32 v1, v11, v2
	ds_bpermute_b32 v7, v11, v3
	ds_bpermute_b32 v8, v11, v5
	ds_bpermute_b32 v10, v11, v6
	v_xor_b32_e32 v11, 1, v0
	s_delay_alu instid0(VALU_DEP_1) | instskip(SKIP_3) | instid1(VALU_DEP_2)
	v_cmp_gt_i32_e32 vcc_lo, 32, v11
	v_cndmask_b32_e32 v0, v0, v11, vcc_lo
	v_cmp_eq_u32_e32 vcc_lo, 15, v9
	s_waitcnt lgkmcnt(3)
	v_dual_add_f32 v0, v2, v1 :: v_dual_lshlrev_b32 v11, 2, v0
	s_waitcnt lgkmcnt(1)
	v_dual_add_f32 v1, v3, v7 :: v_dual_add_f32 v2, v5, v8
	s_waitcnt lgkmcnt(0)
	v_add_f32_e32 v3, v6, v10
	ds_bpermute_b32 v5, v11, v0
	ds_bpermute_b32 v6, v11, v1
	;; [unrolled: 1-line block ×4, first 2 shown]
	s_and_b32 exec_lo, exec_lo, vcc_lo
	s_cbranch_execz .LBB17_23
; %bb.19:
	s_load_b64 s[0:1], s[0:1], 0x38
	s_waitcnt lgkmcnt(0)
	v_dual_add_f32 v0, v0, v5 :: v_dual_add_f32 v1, v1, v6
	v_dual_add_f32 v2, v2, v7 :: v_dual_add_f32 v3, v3, v8
	v_cmp_eq_f32_e64 s3, s12, 0
	s_delay_alu instid0(VALU_DEP_3) | instskip(NEXT) | instid1(VALU_DEP_3)
	v_dual_mul_f32 v0, s16, v0 :: v_dual_mul_f32 v1, s16, v1
	v_dual_mul_f32 v2, s16, v2 :: v_dual_mul_f32 v3, s16, v3
	v_lshlrev_b32_e32 v4, 2, v4
	s_delay_alu instid0(VALU_DEP_4)
	s_and_b32 vcc_lo, exec_lo, s3
	s_cbranch_vccz .LBB17_21
; %bb.20:
	s_delay_alu instid0(VALU_DEP_1) | instskip(SKIP_1) | instid1(VALU_DEP_1)
	v_ashrrev_i32_e32 v5, 31, v4
	s_mov_b32 s2, 0
	v_lshlrev_b64 v[5:6], 2, v[4:5]
	s_delay_alu instid0(VALU_DEP_1) | instskip(NEXT) | instid1(VALU_DEP_2)
	v_add_co_u32 v5, vcc_lo, s0, v5
	v_add_co_ci_u32_e32 v6, vcc_lo, s1, v6, vcc_lo
	global_store_b128 v[5:6], v[0:3], off
.LBB17_21:
	s_and_not1_b32 vcc_lo, exec_lo, s2
	s_cbranch_vccnz .LBB17_23
; %bb.22:
	v_ashrrev_i32_e32 v5, 31, v4
	s_delay_alu instid0(VALU_DEP_1) | instskip(NEXT) | instid1(VALU_DEP_1)
	v_lshlrev_b64 v[4:5], 2, v[4:5]
	v_add_co_u32 v8, vcc_lo, s0, v4
	s_delay_alu instid0(VALU_DEP_2)
	v_add_co_ci_u32_e32 v9, vcc_lo, s1, v5, vcc_lo
	global_load_b128 v[4:7], v[8:9], off
	s_waitcnt vmcnt(0)
	v_dual_fmac_f32 v0, s12, v4 :: v_dual_fmac_f32 v1, s12, v5
	v_dual_fmac_f32 v2, s12, v6 :: v_dual_fmac_f32 v3, s12, v7
	global_store_b128 v[8:9], v[0:3], off
.LBB17_23:
	s_nop 0
	s_sendmsg sendmsg(MSG_DEALLOC_VGPRS)
	s_endpgm
	.section	.rodata,"a",@progbits
	.p2align	6, 0x0
	.amdhsa_kernel _ZN9rocsparseL19gebsrmvn_4xn_kernelILj128ELj5ELj16EfEEvi20rocsparse_direction_NS_24const_host_device_scalarIT2_EEPKiS6_PKS3_S8_S4_PS3_21rocsparse_index_base_b
		.amdhsa_group_segment_fixed_size 0
		.amdhsa_private_segment_fixed_size 0
		.amdhsa_kernarg_size 72
		.amdhsa_user_sgpr_count 15
		.amdhsa_user_sgpr_dispatch_ptr 0
		.amdhsa_user_sgpr_queue_ptr 0
		.amdhsa_user_sgpr_kernarg_segment_ptr 1
		.amdhsa_user_sgpr_dispatch_id 0
		.amdhsa_user_sgpr_private_segment_size 0
		.amdhsa_wavefront_size32 1
		.amdhsa_uses_dynamic_stack 0
		.amdhsa_enable_private_segment 0
		.amdhsa_system_sgpr_workgroup_id_x 1
		.amdhsa_system_sgpr_workgroup_id_y 0
		.amdhsa_system_sgpr_workgroup_id_z 0
		.amdhsa_system_sgpr_workgroup_info 0
		.amdhsa_system_vgpr_workitem_id 0
		.amdhsa_next_free_vgpr 41
		.amdhsa_next_free_sgpr 20
		.amdhsa_reserve_vcc 1
		.amdhsa_float_round_mode_32 0
		.amdhsa_float_round_mode_16_64 0
		.amdhsa_float_denorm_mode_32 3
		.amdhsa_float_denorm_mode_16_64 3
		.amdhsa_dx10_clamp 1
		.amdhsa_ieee_mode 1
		.amdhsa_fp16_overflow 0
		.amdhsa_workgroup_processor_mode 1
		.amdhsa_memory_ordered 1
		.amdhsa_forward_progress 0
		.amdhsa_shared_vgpr_count 0
		.amdhsa_exception_fp_ieee_invalid_op 0
		.amdhsa_exception_fp_denorm_src 0
		.amdhsa_exception_fp_ieee_div_zero 0
		.amdhsa_exception_fp_ieee_overflow 0
		.amdhsa_exception_fp_ieee_underflow 0
		.amdhsa_exception_fp_ieee_inexact 0
		.amdhsa_exception_int_div_zero 0
	.end_amdhsa_kernel
	.section	.text._ZN9rocsparseL19gebsrmvn_4xn_kernelILj128ELj5ELj16EfEEvi20rocsparse_direction_NS_24const_host_device_scalarIT2_EEPKiS6_PKS3_S8_S4_PS3_21rocsparse_index_base_b,"axG",@progbits,_ZN9rocsparseL19gebsrmvn_4xn_kernelILj128ELj5ELj16EfEEvi20rocsparse_direction_NS_24const_host_device_scalarIT2_EEPKiS6_PKS3_S8_S4_PS3_21rocsparse_index_base_b,comdat
.Lfunc_end17:
	.size	_ZN9rocsparseL19gebsrmvn_4xn_kernelILj128ELj5ELj16EfEEvi20rocsparse_direction_NS_24const_host_device_scalarIT2_EEPKiS6_PKS3_S8_S4_PS3_21rocsparse_index_base_b, .Lfunc_end17-_ZN9rocsparseL19gebsrmvn_4xn_kernelILj128ELj5ELj16EfEEvi20rocsparse_direction_NS_24const_host_device_scalarIT2_EEPKiS6_PKS3_S8_S4_PS3_21rocsparse_index_base_b
                                        ; -- End function
	.section	.AMDGPU.csdata,"",@progbits
; Kernel info:
; codeLenInByte = 2524
; NumSgprs: 22
; NumVgprs: 41
; ScratchSize: 0
; MemoryBound: 0
; FloatMode: 240
; IeeeMode: 1
; LDSByteSize: 0 bytes/workgroup (compile time only)
; SGPRBlocks: 2
; VGPRBlocks: 5
; NumSGPRsForWavesPerEU: 22
; NumVGPRsForWavesPerEU: 41
; Occupancy: 16
; WaveLimiterHint : 1
; COMPUTE_PGM_RSRC2:SCRATCH_EN: 0
; COMPUTE_PGM_RSRC2:USER_SGPR: 15
; COMPUTE_PGM_RSRC2:TRAP_HANDLER: 0
; COMPUTE_PGM_RSRC2:TGID_X_EN: 1
; COMPUTE_PGM_RSRC2:TGID_Y_EN: 0
; COMPUTE_PGM_RSRC2:TGID_Z_EN: 0
; COMPUTE_PGM_RSRC2:TIDIG_COMP_CNT: 0
	.section	.text._ZN9rocsparseL19gebsrmvn_4xn_kernelILj128ELj5ELj32EfEEvi20rocsparse_direction_NS_24const_host_device_scalarIT2_EEPKiS6_PKS3_S8_S4_PS3_21rocsparse_index_base_b,"axG",@progbits,_ZN9rocsparseL19gebsrmvn_4xn_kernelILj128ELj5ELj32EfEEvi20rocsparse_direction_NS_24const_host_device_scalarIT2_EEPKiS6_PKS3_S8_S4_PS3_21rocsparse_index_base_b,comdat
	.globl	_ZN9rocsparseL19gebsrmvn_4xn_kernelILj128ELj5ELj32EfEEvi20rocsparse_direction_NS_24const_host_device_scalarIT2_EEPKiS6_PKS3_S8_S4_PS3_21rocsparse_index_base_b ; -- Begin function _ZN9rocsparseL19gebsrmvn_4xn_kernelILj128ELj5ELj32EfEEvi20rocsparse_direction_NS_24const_host_device_scalarIT2_EEPKiS6_PKS3_S8_S4_PS3_21rocsparse_index_base_b
	.p2align	8
	.type	_ZN9rocsparseL19gebsrmvn_4xn_kernelILj128ELj5ELj32EfEEvi20rocsparse_direction_NS_24const_host_device_scalarIT2_EEPKiS6_PKS3_S8_S4_PS3_21rocsparse_index_base_b,@function
_ZN9rocsparseL19gebsrmvn_4xn_kernelILj128ELj5ELj32EfEEvi20rocsparse_direction_NS_24const_host_device_scalarIT2_EEPKiS6_PKS3_S8_S4_PS3_21rocsparse_index_base_b: ; @_ZN9rocsparseL19gebsrmvn_4xn_kernelILj128ELj5ELj32EfEEvi20rocsparse_direction_NS_24const_host_device_scalarIT2_EEPKiS6_PKS3_S8_S4_PS3_21rocsparse_index_base_b
; %bb.0:
	s_clause 0x2
	s_load_b64 s[18:19], s[0:1], 0x40
	s_load_b64 s[16:17], s[0:1], 0x8
	;; [unrolled: 1-line block ×3, first 2 shown]
	s_waitcnt lgkmcnt(0)
	s_bitcmp1_b32 s19, 0
	s_cselect_b32 s2, -1, 0
	s_delay_alu instid0(SALU_CYCLE_1)
	s_and_b32 vcc_lo, exec_lo, s2
	s_xor_b32 s2, s2, -1
	s_cbranch_vccnz .LBB18_2
; %bb.1:
	s_load_b32 s16, s[16:17], 0x0
.LBB18_2:
	s_and_not1_b32 vcc_lo, exec_lo, s2
	s_cbranch_vccnz .LBB18_4
; %bb.3:
	s_load_b32 s12, s[12:13], 0x0
.LBB18_4:
	s_waitcnt lgkmcnt(0)
	v_cmp_eq_f32_e64 s2, s16, 0
	v_cmp_eq_f32_e64 s3, s12, 1.0
	s_delay_alu instid0(VALU_DEP_1) | instskip(NEXT) | instid1(SALU_CYCLE_1)
	s_and_b32 s2, s2, s3
	s_and_b32 vcc_lo, exec_lo, s2
	s_cbranch_vccnz .LBB18_23
; %bb.5:
	s_load_b64 s[2:3], s[0:1], 0x0
	v_lshrrev_b32_e32 v1, 5, v0
	s_delay_alu instid0(VALU_DEP_1) | instskip(SKIP_1) | instid1(VALU_DEP_1)
	v_lshl_or_b32 v4, s15, 2, v1
	s_waitcnt lgkmcnt(0)
	v_cmp_gt_i32_e32 vcc_lo, s2, v4
	s_and_saveexec_b32 s2, vcc_lo
	s_cbranch_execz .LBB18_23
; %bb.6:
	s_load_b256 s[4:11], s[0:1], 0x10
	v_ashrrev_i32_e32 v5, 31, v4
	v_and_b32_e32 v9, 31, v0
	s_cmp_lg_u32 s3, 0
	s_delay_alu instid0(VALU_DEP_2) | instskip(SKIP_1) | instid1(VALU_DEP_1)
	v_lshlrev_b64 v[1:2], 2, v[4:5]
	s_waitcnt lgkmcnt(0)
	v_add_co_u32 v1, vcc_lo, s4, v1
	s_delay_alu instid0(VALU_DEP_2) | instskip(SKIP_4) | instid1(VALU_DEP_2)
	v_add_co_ci_u32_e32 v2, vcc_lo, s5, v2, vcc_lo
	global_load_b64 v[1:2], v[1:2], off
	s_waitcnt vmcnt(0)
	v_subrev_nc_u32_e32 v0, s18, v1
	v_subrev_nc_u32_e32 v14, s18, v2
	v_add_nc_u32_e32 v0, v0, v9
	s_delay_alu instid0(VALU_DEP_1)
	v_cmp_lt_i32_e64 s2, v0, v14
	s_cbranch_scc0 .LBB18_12
; %bb.7:
	v_dual_mov_b32 v10, 0 :: v_dual_mov_b32 v11, 0
	v_dual_mov_b32 v12, 0 :: v_dual_mov_b32 v13, 0
	s_mov_b32 s3, 0
	s_and_saveexec_b32 s4, s2
	s_cbranch_execz .LBB18_11
; %bb.8:
	v_mad_u64_u32 v[1:2], null, v0, 20, 16
	v_dual_mov_b32 v6, 0 :: v_dual_mov_b32 v7, v0
	v_dual_mov_b32 v10, 0 :: v_dual_mov_b32 v11, 0
	;; [unrolled: 1-line block ×3, first 2 shown]
	s_mov_b32 s5, 0
.LBB18_9:                               ; =>This Inner Loop Header: Depth=1
	s_delay_alu instid0(VALU_DEP_3) | instskip(SKIP_1) | instid1(VALU_DEP_2)
	v_ashrrev_i32_e32 v8, 31, v7
	v_add_nc_u32_e32 v5, -16, v1
	v_lshlrev_b64 v[2:3], 2, v[7:8]
	v_add_nc_u32_e32 v7, 32, v7
	s_delay_alu instid0(VALU_DEP_2) | instskip(NEXT) | instid1(VALU_DEP_3)
	v_add_co_u32 v2, vcc_lo, s6, v2
	v_add_co_ci_u32_e32 v3, vcc_lo, s7, v3, vcc_lo
	global_load_b32 v8, v[2:3], off
	v_mov_b32_e32 v2, v6
	v_lshlrev_b64 v[15:16], 2, v[5:6]
	v_add_nc_u32_e32 v5, -12, v1
	s_delay_alu instid0(VALU_DEP_3) | instskip(NEXT) | instid1(VALU_DEP_2)
	v_lshlrev_b64 v[17:18], 2, v[1:2]
	v_lshlrev_b64 v[19:20], 2, v[5:6]
	s_delay_alu instid0(VALU_DEP_4) | instskip(SKIP_1) | instid1(VALU_DEP_4)
	v_add_co_u32 v15, vcc_lo, s8, v15
	v_add_co_ci_u32_e32 v16, vcc_lo, s9, v16, vcc_lo
	v_add_co_u32 v31, vcc_lo, s8, v17
	v_add_co_ci_u32_e32 v32, vcc_lo, s9, v18, vcc_lo
	;; [unrolled: 2-line block ×3, first 2 shown]
	s_clause 0x1
	global_load_b128 v[15:18], v[15:16], off
	global_load_b128 v[19:22], v[19:20], off
	v_mov_b32_e32 v3, v6
	s_waitcnt vmcnt(2)
	v_subrev_nc_u32_e32 v2, s18, v8
	s_delay_alu instid0(VALU_DEP_1) | instskip(NEXT) | instid1(VALU_DEP_1)
	v_lshl_add_u32 v2, v2, 2, v2
	v_add_nc_u32_e32 v5, 1, v2
	v_lshlrev_b64 v[23:24], 2, v[2:3]
	s_delay_alu instid0(VALU_DEP_2) | instskip(NEXT) | instid1(VALU_DEP_2)
	v_lshlrev_b64 v[25:26], 2, v[5:6]
	v_add_co_u32 v23, vcc_lo, s10, v23
	s_delay_alu instid0(VALU_DEP_3) | instskip(NEXT) | instid1(VALU_DEP_3)
	v_add_co_ci_u32_e32 v24, vcc_lo, s11, v24, vcc_lo
	v_add_co_u32 v25, vcc_lo, s10, v25
	s_delay_alu instid0(VALU_DEP_4)
	v_add_co_ci_u32_e32 v26, vcc_lo, s11, v26, vcc_lo
	s_clause 0x1
	global_load_b32 v8, v[23:24], off
	global_load_b32 v37, v[25:26], off
	s_waitcnt vmcnt(1)
	v_fmac_f32_e32 v10, v15, v8
	v_fmac_f32_e32 v12, v17, v8
	s_waitcnt vmcnt(0)
	s_delay_alu instid0(VALU_DEP_2) | instskip(SKIP_1) | instid1(VALU_DEP_3)
	v_fmac_f32_e32 v10, v19, v37
	v_add_nc_u32_e32 v5, -8, v1
	v_fmac_f32_e32 v12, v21, v37
	s_delay_alu instid0(VALU_DEP_2) | instskip(SKIP_1) | instid1(VALU_DEP_1)
	v_lshlrev_b64 v[27:28], 2, v[5:6]
	v_add_nc_u32_e32 v5, 2, v2
	v_lshlrev_b64 v[23:24], 2, v[5:6]
	s_delay_alu instid0(VALU_DEP_3) | instskip(NEXT) | instid1(VALU_DEP_4)
	v_add_co_u32 v25, vcc_lo, s8, v27
	v_add_co_ci_u32_e32 v26, vcc_lo, s9, v28, vcc_lo
	s_delay_alu instid0(VALU_DEP_3) | instskip(NEXT) | instid1(VALU_DEP_4)
	v_add_co_u32 v29, vcc_lo, s10, v23
	v_add_co_ci_u32_e32 v30, vcc_lo, s11, v24, vcc_lo
	global_load_b128 v[23:26], v[25:26], off
	global_load_b32 v38, v[29:30], off
	v_add_nc_u32_e32 v5, -4, v1
	s_waitcnt vmcnt(0)
	v_dual_fmac_f32 v12, v25, v38 :: v_dual_add_nc_u32 v1, 0x280, v1
	s_delay_alu instid0(VALU_DEP_2) | instskip(SKIP_2) | instid1(VALU_DEP_2)
	v_lshlrev_b64 v[27:28], 2, v[5:6]
	v_add_nc_u32_e32 v5, 3, v2
	v_fmac_f32_e32 v10, v23, v38
	v_lshlrev_b64 v[33:34], 2, v[5:6]
	v_add_nc_u32_e32 v5, 4, v2
	v_add_co_u32 v2, vcc_lo, s8, v27
	v_add_co_ci_u32_e32 v3, vcc_lo, s9, v28, vcc_lo
	s_delay_alu instid0(VALU_DEP_3)
	v_lshlrev_b64 v[35:36], 2, v[5:6]
	v_add_co_u32 v33, vcc_lo, s10, v33
	v_add_co_ci_u32_e32 v34, vcc_lo, s11, v34, vcc_lo
	global_load_b128 v[27:30], v[2:3], off
	global_load_b32 v5, v[33:34], off
	v_add_co_u32 v2, vcc_lo, s10, v35
	v_add_co_ci_u32_e32 v3, vcc_lo, s11, v36, vcc_lo
	global_load_b128 v[31:34], v[31:32], off
	global_load_b32 v2, v[2:3], off
	v_fmac_f32_e32 v13, v16, v8
	v_fmac_f32_e32 v11, v18, v8
	v_cmp_ge_i32_e32 vcc_lo, v7, v14
	s_or_b32 s5, vcc_lo, s5
	s_waitcnt vmcnt(2)
	v_fmac_f32_e32 v12, v29, v5
	v_fmac_f32_e32 v11, v22, v37
	;; [unrolled: 1-line block ×3, first 2 shown]
	s_waitcnt vmcnt(0)
	s_delay_alu instid0(VALU_DEP_1) | instskip(NEXT) | instid1(VALU_DEP_1)
	v_dual_fmac_f32 v13, v20, v37 :: v_dual_fmac_f32 v10, v31, v2
	v_fmac_f32_e32 v13, v24, v38
	v_fmac_f32_e32 v12, v33, v2
	;; [unrolled: 1-line block ×3, first 2 shown]
	s_delay_alu instid0(VALU_DEP_3) | instskip(NEXT) | instid1(VALU_DEP_2)
	v_fmac_f32_e32 v13, v28, v5
	v_fmac_f32_e32 v11, v30, v5
	s_delay_alu instid0(VALU_DEP_2) | instskip(NEXT) | instid1(VALU_DEP_2)
	v_fmac_f32_e32 v13, v32, v2
	v_fmac_f32_e32 v11, v34, v2
	s_and_not1_b32 exec_lo, exec_lo, s5
	s_cbranch_execnz .LBB18_9
; %bb.10:
	s_or_b32 exec_lo, exec_lo, s5
.LBB18_11:
	s_delay_alu instid0(SALU_CYCLE_1) | instskip(NEXT) | instid1(SALU_CYCLE_1)
	s_or_b32 exec_lo, exec_lo, s4
	s_and_not1_b32 vcc_lo, exec_lo, s3
	s_cbranch_vccz .LBB18_13
	s_branch .LBB18_18
.LBB18_12:
                                        ; implicit-def: $vgpr10
                                        ; implicit-def: $vgpr11
                                        ; implicit-def: $vgpr12
                                        ; implicit-def: $vgpr13
.LBB18_13:
	v_dual_mov_b32 v10, 0 :: v_dual_mov_b32 v11, 0
	v_dual_mov_b32 v12, 0 :: v_dual_mov_b32 v13, 0
	s_delay_alu instid0(VALU_DEP_3)
	s_and_saveexec_b32 s3, s2
	s_cbranch_execz .LBB18_17
; %bb.14:
	v_mad_u64_u32 v[2:3], null, v0, 20, 19
	v_dual_mov_b32 v6, 0 :: v_dual_mov_b32 v11, 0
	v_dual_mov_b32 v10, 0 :: v_dual_mov_b32 v13, 0
	v_mov_b32_e32 v12, 0
	s_mov_b32 s2, 0
.LBB18_15:                              ; =>This Inner Loop Header: Depth=1
	v_ashrrev_i32_e32 v1, 31, v0
	v_subrev_nc_u32_e32 v5, 19, v2
	v_add_nc_u32_e32 v15, -9, v2
	v_dual_mov_b32 v16, v6 :: v_dual_add_nc_u32 v17, -4, v2
	s_delay_alu instid0(VALU_DEP_4) | instskip(NEXT) | instid1(VALU_DEP_4)
	v_lshlrev_b64 v[7:8], 2, v[0:1]
	v_lshlrev_b64 v[21:22], 2, v[5:6]
	v_mov_b32_e32 v3, v6
	v_mov_b32_e32 v20, v6
	v_add_nc_u32_e32 v0, 32, v0
	v_add_co_u32 v7, vcc_lo, s6, v7
	v_add_co_ci_u32_e32 v8, vcc_lo, s7, v8, vcc_lo
	v_add_co_u32 v21, vcc_lo, s8, v21
	v_add_co_ci_u32_e32 v22, vcc_lo, s9, v22, vcc_lo
	global_load_b32 v1, v[7:8], off
	v_dual_mov_b32 v8, v6 :: v_dual_add_nc_u32 v7, -14, v2
	v_lshlrev_b64 v[15:16], 2, v[15:16]
	v_lshlrev_b64 v[23:24], 2, v[2:3]
	s_delay_alu instid0(VALU_DEP_3) | instskip(NEXT) | instid1(VALU_DEP_1)
	v_lshlrev_b64 v[7:8], 2, v[7:8]
	v_add_co_u32 v7, vcc_lo, s8, v7
	s_delay_alu instid0(VALU_DEP_2) | instskip(SKIP_4) | instid1(VALU_DEP_1)
	v_add_co_ci_u32_e32 v8, vcc_lo, s9, v8, vcc_lo
	v_add_co_u32 v25, vcc_lo, s8, v15
	v_add_co_ci_u32_e32 v26, vcc_lo, s9, v16, vcc_lo
	s_waitcnt vmcnt(0)
	v_subrev_nc_u32_e32 v1, s18, v1
	v_lshl_add_u32 v19, v1, 2, v1
	s_delay_alu instid0(VALU_DEP_1) | instskip(NEXT) | instid1(VALU_DEP_1)
	v_dual_mov_b32 v18, v6 :: v_dual_add_nc_u32 v5, 1, v19
	v_lshlrev_b64 v[17:18], 2, v[17:18]
	s_delay_alu instid0(VALU_DEP_1) | instskip(NEXT) | instid1(VALU_DEP_2)
	v_add_co_u32 v27, vcc_lo, s8, v17
	v_add_co_ci_u32_e32 v28, vcc_lo, s9, v18, vcc_lo
	s_clause 0x3
	global_load_b128 v[15:18], v[21:22], off
	global_load_b32 v3, v[7:8], off
	global_load_b32 v29, v[25:26], off
	;; [unrolled: 1-line block ×3, first 2 shown]
	v_lshlrev_b64 v[7:8], 2, v[19:20]
	v_add_co_u32 v23, vcc_lo, s8, v23
	v_add_co_ci_u32_e32 v24, vcc_lo, s9, v24, vcc_lo
	v_lshlrev_b64 v[20:21], 2, v[5:6]
	s_delay_alu instid0(VALU_DEP_4)
	v_add_co_u32 v7, vcc_lo, s10, v7
	v_add_co_ci_u32_e32 v8, vcc_lo, s11, v8, vcc_lo
	global_load_b32 v1, v[7:8], off
	v_add_co_u32 v7, vcc_lo, s10, v20
	v_add_co_ci_u32_e32 v8, vcc_lo, s11, v21, vcc_lo
	v_add_nc_u32_e32 v5, -13, v2
	global_load_b32 v28, v[7:8], off
	s_waitcnt vmcnt(1)
	v_fmac_f32_e32 v12, v29, v1
	v_lshlrev_b64 v[25:26], 2, v[5:6]
	v_dual_fmac_f32 v10, v15, v1 :: v_dual_add_nc_u32 v5, -8, v2
	v_fmac_f32_e32 v13, v3, v1
	v_fmac_f32_e32 v11, v27, v1
	s_delay_alu instid0(VALU_DEP_4) | instskip(SKIP_4) | instid1(VALU_DEP_2)
	v_add_co_u32 v25, vcc_lo, s8, v25
	s_waitcnt vmcnt(0)
	v_fmac_f32_e32 v10, v16, v28
	v_lshlrev_b64 v[20:21], 2, v[5:6]
	v_add_co_ci_u32_e32 v26, vcc_lo, s9, v26, vcc_lo
	v_add_co_u32 v20, vcc_lo, s8, v20
	s_delay_alu instid0(VALU_DEP_3) | instskip(SKIP_4) | instid1(VALU_DEP_1)
	v_add_co_ci_u32_e32 v21, vcc_lo, s9, v21, vcc_lo
	s_clause 0x1
	global_load_b32 v30, v[25:26], off
	global_load_b32 v31, v[20:21], off
	v_add_nc_u32_e32 v5, -3, v2
	v_lshlrev_b64 v[7:8], 2, v[5:6]
	v_add_nc_u32_e32 v5, 2, v19
	s_delay_alu instid0(VALU_DEP_2) | instskip(NEXT) | instid1(VALU_DEP_2)
	v_add_co_u32 v7, vcc_lo, s8, v7
	v_lshlrev_b64 v[25:26], 2, v[5:6]
	s_delay_alu instid0(VALU_DEP_4)
	v_add_co_ci_u32_e32 v8, vcc_lo, s9, v8, vcc_lo
	global_load_b32 v32, v[7:8], off
	v_add_co_u32 v7, vcc_lo, s10, v25
	v_add_co_ci_u32_e32 v8, vcc_lo, s11, v26, vcc_lo
	global_load_b32 v33, v[7:8], off
	s_waitcnt vmcnt(2)
	v_dual_fmac_f32 v12, v31, v28 :: v_dual_add_nc_u32 v5, -12, v2
	s_delay_alu instid0(VALU_DEP_1) | instskip(NEXT) | instid1(VALU_DEP_1)
	v_lshlrev_b64 v[20:21], 2, v[5:6]
	v_add_co_u32 v20, vcc_lo, s8, v20
	s_delay_alu instid0(VALU_DEP_2) | instskip(SKIP_3) | instid1(VALU_DEP_1)
	v_add_co_ci_u32_e32 v21, vcc_lo, s9, v21, vcc_lo
	global_load_b32 v34, v[20:21], off
	s_waitcnt vmcnt(1)
	v_dual_fmac_f32 v10, v17, v33 :: v_dual_add_nc_u32 v5, -7, v2
	v_lshlrev_b64 v[25:26], 2, v[5:6]
	v_add_nc_u32_e32 v5, -2, v2
	s_delay_alu instid0(VALU_DEP_1) | instskip(SKIP_1) | instid1(VALU_DEP_4)
	v_lshlrev_b64 v[7:8], 2, v[5:6]
	v_add_nc_u32_e32 v5, 3, v19
	v_add_co_u32 v20, vcc_lo, s8, v25
	v_add_co_ci_u32_e32 v21, vcc_lo, s9, v26, vcc_lo
	s_delay_alu instid0(VALU_DEP_4) | instskip(NEXT) | instid1(VALU_DEP_4)
	v_add_co_u32 v7, vcc_lo, s8, v7
	v_lshlrev_b64 v[25:26], 2, v[5:6]
	v_add_nc_u32_e32 v5, -11, v2
	v_add_co_ci_u32_e32 v8, vcc_lo, s9, v8, vcc_lo
	s_clause 0x1
	global_load_b32 v35, v[20:21], off
	global_load_b32 v36, v[7:8], off
	v_lshlrev_b64 v[20:21], 2, v[5:6]
	v_add_nc_u32_e32 v5, -6, v2
	v_add_co_u32 v7, vcc_lo, s10, v25
	v_add_co_ci_u32_e32 v8, vcc_lo, s11, v26, vcc_lo
	s_delay_alu instid0(VALU_DEP_3)
	v_lshlrev_b64 v[25:26], 2, v[5:6]
	v_add_nc_u32_e32 v5, -1, v2
	v_add_co_u32 v20, vcc_lo, s8, v20
	v_add_co_ci_u32_e32 v21, vcc_lo, s9, v21, vcc_lo
	global_load_b32 v37, v[7:8], off
	v_lshlrev_b64 v[7:8], 2, v[5:6]
	v_add_nc_u32_e32 v5, -15, v2
	global_load_b32 v38, v[20:21], off
	v_add_co_u32 v20, vcc_lo, s8, v25
	v_add_co_ci_u32_e32 v21, vcc_lo, s9, v26, vcc_lo
	v_add_co_u32 v7, vcc_lo, s8, v7
	v_lshlrev_b64 v[25:26], 2, v[5:6]
	v_add_nc_u32_e32 v5, 4, v19
	v_add_co_ci_u32_e32 v8, vcc_lo, s9, v8, vcc_lo
	s_clause 0x1
	global_load_b32 v39, v[20:21], off
	global_load_b32 v40, v[7:8], off
	v_lshlrev_b64 v[19:20], 2, v[5:6]
	v_add_nc_u32_e32 v5, -10, v2
	v_add_co_u32 v7, vcc_lo, s8, v25
	v_add_co_ci_u32_e32 v8, vcc_lo, s9, v26, vcc_lo
	s_delay_alu instid0(VALU_DEP_3) | instskip(SKIP_3) | instid1(VALU_DEP_3)
	v_lshlrev_b64 v[21:22], 2, v[5:6]
	v_add_nc_u32_e32 v5, -5, v2
	v_add_co_u32 v19, vcc_lo, s10, v19
	v_add_co_ci_u32_e32 v20, vcc_lo, s11, v20, vcc_lo
	v_lshlrev_b64 v[25:26], 2, v[5:6]
	v_add_co_u32 v21, vcc_lo, s8, v21
	v_add_co_ci_u32_e32 v22, vcc_lo, s9, v22, vcc_lo
	v_add_nc_u32_e32 v2, 0x280, v2
	s_delay_alu instid0(VALU_DEP_4)
	v_add_co_u32 v25, vcc_lo, s8, v25
	v_add_co_ci_u32_e32 v26, vcc_lo, s9, v26, vcc_lo
	global_load_b32 v5, v[7:8], off
	global_load_b32 v7, v[19:20], off
	s_clause 0x2
	global_load_b32 v8, v[21:22], off
	global_load_b32 v19, v[25:26], off
	;; [unrolled: 1-line block ×3, first 2 shown]
	v_fmac_f32_e32 v11, v32, v28
	v_cmp_ge_i32_e32 vcc_lo, v0, v14
	s_or_b32 s2, vcc_lo, s2
	s_waitcnt vmcnt(10)
	v_fmac_f32_e32 v12, v35, v33
	s_waitcnt vmcnt(9)
	v_fmac_f32_e32 v11, v36, v33
	;; [unrolled: 2-line block ×3, first 2 shown]
	s_waitcnt vmcnt(6)
	v_dual_fmac_f32 v13, v30, v28 :: v_dual_fmac_f32 v12, v39, v37
	s_waitcnt vmcnt(3)
	s_delay_alu instid0(VALU_DEP_2) | instskip(SKIP_1) | instid1(VALU_DEP_2)
	v_dual_fmac_f32 v11, v40, v37 :: v_dual_fmac_f32 v10, v5, v7
	s_waitcnt vmcnt(1)
	v_dual_fmac_f32 v13, v34, v33 :: v_dual_fmac_f32 v12, v19, v7
	s_waitcnt vmcnt(0)
	s_delay_alu instid0(VALU_DEP_2) | instskip(NEXT) | instid1(VALU_DEP_2)
	v_fmac_f32_e32 v11, v20, v7
	v_fmac_f32_e32 v13, v38, v37
	s_delay_alu instid0(VALU_DEP_1)
	v_fmac_f32_e32 v13, v8, v7
	s_and_not1_b32 exec_lo, exec_lo, s2
	s_cbranch_execnz .LBB18_15
; %bb.16:
	s_or_b32 exec_lo, exec_lo, s2
.LBB18_17:
	s_delay_alu instid0(SALU_CYCLE_1)
	s_or_b32 exec_lo, exec_lo, s3
.LBB18_18:
	v_mbcnt_lo_u32_b32 v0, -1, 0
	s_mov_b32 s2, -1
	s_delay_alu instid0(VALU_DEP_1) | instskip(SKIP_1) | instid1(VALU_DEP_2)
	v_xor_b32_e32 v1, 16, v0
	v_xor_b32_e32 v6, 8, v0
	v_cmp_gt_i32_e32 vcc_lo, 32, v1
	v_cndmask_b32_e32 v1, v0, v1, vcc_lo
	s_delay_alu instid0(VALU_DEP_3) | instskip(SKIP_1) | instid1(VALU_DEP_1)
	v_cmp_gt_i32_e32 vcc_lo, 32, v6
	v_cndmask_b32_e32 v6, v0, v6, vcc_lo
	v_lshlrev_b32_e32 v6, 2, v6
	s_delay_alu instid0(VALU_DEP_4)
	v_lshlrev_b32_e32 v1, 2, v1
	ds_bpermute_b32 v2, v1, v10
	s_waitcnt lgkmcnt(0)
	v_add_f32_e32 v2, v10, v2
	ds_bpermute_b32 v3, v1, v13
	ds_bpermute_b32 v5, v1, v12
	;; [unrolled: 1-line block ×4, first 2 shown]
	s_waitcnt lgkmcnt(3)
	v_add_f32_e32 v3, v13, v3
	s_waitcnt lgkmcnt(0)
	v_dual_add_f32 v5, v12, v5 :: v_dual_add_f32 v2, v2, v7
	v_add_f32_e32 v1, v11, v1
	ds_bpermute_b32 v8, v6, v3
	ds_bpermute_b32 v10, v6, v5
	v_xor_b32_e32 v11, 4, v0
	ds_bpermute_b32 v6, v6, v1
	v_cmp_gt_i32_e32 vcc_lo, 32, v11
	s_waitcnt lgkmcnt(2)
	v_add_f32_e32 v3, v3, v8
	s_waitcnt lgkmcnt(1)
	v_add_f32_e32 v5, v5, v10
	;; [unrolled: 2-line block ×3, first 2 shown]
	v_cndmask_b32_e32 v11, v0, v11, vcc_lo
	s_delay_alu instid0(VALU_DEP_1)
	v_lshlrev_b32_e32 v11, 2, v11
	ds_bpermute_b32 v8, v11, v5
	ds_bpermute_b32 v6, v11, v2
	;; [unrolled: 1-line block ×4, first 2 shown]
	v_xor_b32_e32 v11, 2, v0
	s_delay_alu instid0(VALU_DEP_1)
	v_cmp_gt_i32_e32 vcc_lo, 32, v11
	s_waitcnt lgkmcnt(3)
	v_add_f32_e32 v5, v5, v8
	s_waitcnt lgkmcnt(2)
	v_dual_cndmask_b32 v11, v0, v11 :: v_dual_add_f32 v2, v2, v6
	s_waitcnt lgkmcnt(0)
	v_dual_add_f32 v3, v3, v7 :: v_dual_add_f32 v6, v1, v10
	s_delay_alu instid0(VALU_DEP_2)
	v_lshlrev_b32_e32 v11, 2, v11
	ds_bpermute_b32 v1, v11, v2
	ds_bpermute_b32 v7, v11, v3
	;; [unrolled: 1-line block ×4, first 2 shown]
	v_xor_b32_e32 v11, 1, v0
	s_delay_alu instid0(VALU_DEP_1) | instskip(SKIP_3) | instid1(VALU_DEP_2)
	v_cmp_gt_i32_e32 vcc_lo, 32, v11
	v_cndmask_b32_e32 v0, v0, v11, vcc_lo
	v_cmp_eq_u32_e32 vcc_lo, 31, v9
	s_waitcnt lgkmcnt(3)
	v_dual_add_f32 v0, v2, v1 :: v_dual_lshlrev_b32 v11, 2, v0
	s_waitcnt lgkmcnt(1)
	v_dual_add_f32 v1, v3, v7 :: v_dual_add_f32 v2, v5, v8
	s_waitcnt lgkmcnt(0)
	v_add_f32_e32 v3, v6, v10
	ds_bpermute_b32 v5, v11, v0
	ds_bpermute_b32 v6, v11, v1
	;; [unrolled: 1-line block ×4, first 2 shown]
	s_and_b32 exec_lo, exec_lo, vcc_lo
	s_cbranch_execz .LBB18_23
; %bb.19:
	s_load_b64 s[0:1], s[0:1], 0x38
	s_waitcnt lgkmcnt(0)
	v_dual_add_f32 v0, v0, v5 :: v_dual_add_f32 v1, v1, v6
	v_dual_add_f32 v2, v2, v7 :: v_dual_add_f32 v3, v3, v8
	v_cmp_eq_f32_e64 s3, s12, 0
	s_delay_alu instid0(VALU_DEP_3) | instskip(NEXT) | instid1(VALU_DEP_3)
	v_dual_mul_f32 v0, s16, v0 :: v_dual_mul_f32 v1, s16, v1
	v_dual_mul_f32 v2, s16, v2 :: v_dual_mul_f32 v3, s16, v3
	v_lshlrev_b32_e32 v4, 2, v4
	s_delay_alu instid0(VALU_DEP_4)
	s_and_b32 vcc_lo, exec_lo, s3
	s_cbranch_vccz .LBB18_21
; %bb.20:
	s_delay_alu instid0(VALU_DEP_1) | instskip(SKIP_1) | instid1(VALU_DEP_1)
	v_ashrrev_i32_e32 v5, 31, v4
	s_mov_b32 s2, 0
	v_lshlrev_b64 v[5:6], 2, v[4:5]
	s_delay_alu instid0(VALU_DEP_1) | instskip(NEXT) | instid1(VALU_DEP_2)
	v_add_co_u32 v5, vcc_lo, s0, v5
	v_add_co_ci_u32_e32 v6, vcc_lo, s1, v6, vcc_lo
	global_store_b128 v[5:6], v[0:3], off
.LBB18_21:
	s_and_not1_b32 vcc_lo, exec_lo, s2
	s_cbranch_vccnz .LBB18_23
; %bb.22:
	v_ashrrev_i32_e32 v5, 31, v4
	s_delay_alu instid0(VALU_DEP_1) | instskip(NEXT) | instid1(VALU_DEP_1)
	v_lshlrev_b64 v[4:5], 2, v[4:5]
	v_add_co_u32 v8, vcc_lo, s0, v4
	s_delay_alu instid0(VALU_DEP_2)
	v_add_co_ci_u32_e32 v9, vcc_lo, s1, v5, vcc_lo
	global_load_b128 v[4:7], v[8:9], off
	s_waitcnt vmcnt(0)
	v_dual_fmac_f32 v0, s12, v4 :: v_dual_fmac_f32 v1, s12, v5
	v_dual_fmac_f32 v2, s12, v6 :: v_dual_fmac_f32 v3, s12, v7
	global_store_b128 v[8:9], v[0:3], off
.LBB18_23:
	s_nop 0
	s_sendmsg sendmsg(MSG_DEALLOC_VGPRS)
	s_endpgm
	.section	.rodata,"a",@progbits
	.p2align	6, 0x0
	.amdhsa_kernel _ZN9rocsparseL19gebsrmvn_4xn_kernelILj128ELj5ELj32EfEEvi20rocsparse_direction_NS_24const_host_device_scalarIT2_EEPKiS6_PKS3_S8_S4_PS3_21rocsparse_index_base_b
		.amdhsa_group_segment_fixed_size 0
		.amdhsa_private_segment_fixed_size 0
		.amdhsa_kernarg_size 72
		.amdhsa_user_sgpr_count 15
		.amdhsa_user_sgpr_dispatch_ptr 0
		.amdhsa_user_sgpr_queue_ptr 0
		.amdhsa_user_sgpr_kernarg_segment_ptr 1
		.amdhsa_user_sgpr_dispatch_id 0
		.amdhsa_user_sgpr_private_segment_size 0
		.amdhsa_wavefront_size32 1
		.amdhsa_uses_dynamic_stack 0
		.amdhsa_enable_private_segment 0
		.amdhsa_system_sgpr_workgroup_id_x 1
		.amdhsa_system_sgpr_workgroup_id_y 0
		.amdhsa_system_sgpr_workgroup_id_z 0
		.amdhsa_system_sgpr_workgroup_info 0
		.amdhsa_system_vgpr_workitem_id 0
		.amdhsa_next_free_vgpr 41
		.amdhsa_next_free_sgpr 20
		.amdhsa_reserve_vcc 1
		.amdhsa_float_round_mode_32 0
		.amdhsa_float_round_mode_16_64 0
		.amdhsa_float_denorm_mode_32 3
		.amdhsa_float_denorm_mode_16_64 3
		.amdhsa_dx10_clamp 1
		.amdhsa_ieee_mode 1
		.amdhsa_fp16_overflow 0
		.amdhsa_workgroup_processor_mode 1
		.amdhsa_memory_ordered 1
		.amdhsa_forward_progress 0
		.amdhsa_shared_vgpr_count 0
		.amdhsa_exception_fp_ieee_invalid_op 0
		.amdhsa_exception_fp_denorm_src 0
		.amdhsa_exception_fp_ieee_div_zero 0
		.amdhsa_exception_fp_ieee_overflow 0
		.amdhsa_exception_fp_ieee_underflow 0
		.amdhsa_exception_fp_ieee_inexact 0
		.amdhsa_exception_int_div_zero 0
	.end_amdhsa_kernel
	.section	.text._ZN9rocsparseL19gebsrmvn_4xn_kernelILj128ELj5ELj32EfEEvi20rocsparse_direction_NS_24const_host_device_scalarIT2_EEPKiS6_PKS3_S8_S4_PS3_21rocsparse_index_base_b,"axG",@progbits,_ZN9rocsparseL19gebsrmvn_4xn_kernelILj128ELj5ELj32EfEEvi20rocsparse_direction_NS_24const_host_device_scalarIT2_EEPKiS6_PKS3_S8_S4_PS3_21rocsparse_index_base_b,comdat
.Lfunc_end18:
	.size	_ZN9rocsparseL19gebsrmvn_4xn_kernelILj128ELj5ELj32EfEEvi20rocsparse_direction_NS_24const_host_device_scalarIT2_EEPKiS6_PKS3_S8_S4_PS3_21rocsparse_index_base_b, .Lfunc_end18-_ZN9rocsparseL19gebsrmvn_4xn_kernelILj128ELj5ELj32EfEEvi20rocsparse_direction_NS_24const_host_device_scalarIT2_EEPKiS6_PKS3_S8_S4_PS3_21rocsparse_index_base_b
                                        ; -- End function
	.section	.AMDGPU.csdata,"",@progbits
; Kernel info:
; codeLenInByte = 2604
; NumSgprs: 22
; NumVgprs: 41
; ScratchSize: 0
; MemoryBound: 0
; FloatMode: 240
; IeeeMode: 1
; LDSByteSize: 0 bytes/workgroup (compile time only)
; SGPRBlocks: 2
; VGPRBlocks: 5
; NumSGPRsForWavesPerEU: 22
; NumVGPRsForWavesPerEU: 41
; Occupancy: 16
; WaveLimiterHint : 1
; COMPUTE_PGM_RSRC2:SCRATCH_EN: 0
; COMPUTE_PGM_RSRC2:USER_SGPR: 15
; COMPUTE_PGM_RSRC2:TRAP_HANDLER: 0
; COMPUTE_PGM_RSRC2:TGID_X_EN: 1
; COMPUTE_PGM_RSRC2:TGID_Y_EN: 0
; COMPUTE_PGM_RSRC2:TGID_Z_EN: 0
; COMPUTE_PGM_RSRC2:TIDIG_COMP_CNT: 0
	.section	.text._ZN9rocsparseL19gebsrmvn_4xn_kernelILj128ELj5ELj64EfEEvi20rocsparse_direction_NS_24const_host_device_scalarIT2_EEPKiS6_PKS3_S8_S4_PS3_21rocsparse_index_base_b,"axG",@progbits,_ZN9rocsparseL19gebsrmvn_4xn_kernelILj128ELj5ELj64EfEEvi20rocsparse_direction_NS_24const_host_device_scalarIT2_EEPKiS6_PKS3_S8_S4_PS3_21rocsparse_index_base_b,comdat
	.globl	_ZN9rocsparseL19gebsrmvn_4xn_kernelILj128ELj5ELj64EfEEvi20rocsparse_direction_NS_24const_host_device_scalarIT2_EEPKiS6_PKS3_S8_S4_PS3_21rocsparse_index_base_b ; -- Begin function _ZN9rocsparseL19gebsrmvn_4xn_kernelILj128ELj5ELj64EfEEvi20rocsparse_direction_NS_24const_host_device_scalarIT2_EEPKiS6_PKS3_S8_S4_PS3_21rocsparse_index_base_b
	.p2align	8
	.type	_ZN9rocsparseL19gebsrmvn_4xn_kernelILj128ELj5ELj64EfEEvi20rocsparse_direction_NS_24const_host_device_scalarIT2_EEPKiS6_PKS3_S8_S4_PS3_21rocsparse_index_base_b,@function
_ZN9rocsparseL19gebsrmvn_4xn_kernelILj128ELj5ELj64EfEEvi20rocsparse_direction_NS_24const_host_device_scalarIT2_EEPKiS6_PKS3_S8_S4_PS3_21rocsparse_index_base_b: ; @_ZN9rocsparseL19gebsrmvn_4xn_kernelILj128ELj5ELj64EfEEvi20rocsparse_direction_NS_24const_host_device_scalarIT2_EEPKiS6_PKS3_S8_S4_PS3_21rocsparse_index_base_b
; %bb.0:
	s_clause 0x2
	s_load_b64 s[18:19], s[0:1], 0x40
	s_load_b64 s[16:17], s[0:1], 0x8
	;; [unrolled: 1-line block ×3, first 2 shown]
	s_waitcnt lgkmcnt(0)
	s_bitcmp1_b32 s19, 0
	s_cselect_b32 s2, -1, 0
	s_delay_alu instid0(SALU_CYCLE_1)
	s_and_b32 vcc_lo, exec_lo, s2
	s_xor_b32 s2, s2, -1
	s_cbranch_vccnz .LBB19_2
; %bb.1:
	s_load_b32 s16, s[16:17], 0x0
.LBB19_2:
	s_and_not1_b32 vcc_lo, exec_lo, s2
	s_cbranch_vccnz .LBB19_4
; %bb.3:
	s_load_b32 s12, s[12:13], 0x0
.LBB19_4:
	s_waitcnt lgkmcnt(0)
	v_cmp_eq_f32_e64 s2, s16, 0
	v_cmp_eq_f32_e64 s3, s12, 1.0
	s_delay_alu instid0(VALU_DEP_1) | instskip(NEXT) | instid1(SALU_CYCLE_1)
	s_and_b32 s2, s2, s3
	s_and_b32 vcc_lo, exec_lo, s2
	s_cbranch_vccnz .LBB19_23
; %bb.5:
	s_load_b64 s[2:3], s[0:1], 0x0
	v_lshrrev_b32_e32 v1, 6, v0
	s_delay_alu instid0(VALU_DEP_1) | instskip(SKIP_1) | instid1(VALU_DEP_1)
	v_lshl_or_b32 v4, s15, 1, v1
	s_waitcnt lgkmcnt(0)
	v_cmp_gt_i32_e32 vcc_lo, s2, v4
	s_and_saveexec_b32 s2, vcc_lo
	s_cbranch_execz .LBB19_23
; %bb.6:
	s_load_b256 s[4:11], s[0:1], 0x10
	v_ashrrev_i32_e32 v5, 31, v4
	v_and_b32_e32 v9, 63, v0
	s_cmp_lg_u32 s3, 0
	s_delay_alu instid0(VALU_DEP_2) | instskip(SKIP_1) | instid1(VALU_DEP_1)
	v_lshlrev_b64 v[1:2], 2, v[4:5]
	s_waitcnt lgkmcnt(0)
	v_add_co_u32 v1, vcc_lo, s4, v1
	s_delay_alu instid0(VALU_DEP_2) | instskip(SKIP_4) | instid1(VALU_DEP_2)
	v_add_co_ci_u32_e32 v2, vcc_lo, s5, v2, vcc_lo
	global_load_b64 v[1:2], v[1:2], off
	s_waitcnt vmcnt(0)
	v_subrev_nc_u32_e32 v0, s18, v1
	v_subrev_nc_u32_e32 v14, s18, v2
	v_add_nc_u32_e32 v0, v0, v9
	s_delay_alu instid0(VALU_DEP_1)
	v_cmp_lt_i32_e64 s2, v0, v14
	s_cbranch_scc0 .LBB19_12
; %bb.7:
	v_dual_mov_b32 v10, 0 :: v_dual_mov_b32 v11, 0
	v_dual_mov_b32 v12, 0 :: v_dual_mov_b32 v13, 0
	s_mov_b32 s3, 0
	s_and_saveexec_b32 s4, s2
	s_cbranch_execz .LBB19_11
; %bb.8:
	v_mad_u64_u32 v[1:2], null, v0, 20, 16
	v_dual_mov_b32 v6, 0 :: v_dual_mov_b32 v7, v0
	v_dual_mov_b32 v10, 0 :: v_dual_mov_b32 v11, 0
	;; [unrolled: 1-line block ×3, first 2 shown]
	s_mov_b32 s5, 0
.LBB19_9:                               ; =>This Inner Loop Header: Depth=1
	s_delay_alu instid0(VALU_DEP_3) | instskip(SKIP_1) | instid1(VALU_DEP_2)
	v_ashrrev_i32_e32 v8, 31, v7
	v_add_nc_u32_e32 v5, -16, v1
	v_lshlrev_b64 v[2:3], 2, v[7:8]
	v_add_nc_u32_e32 v7, 64, v7
	s_delay_alu instid0(VALU_DEP_2) | instskip(NEXT) | instid1(VALU_DEP_3)
	v_add_co_u32 v2, vcc_lo, s6, v2
	v_add_co_ci_u32_e32 v3, vcc_lo, s7, v3, vcc_lo
	global_load_b32 v8, v[2:3], off
	v_mov_b32_e32 v2, v6
	v_lshlrev_b64 v[15:16], 2, v[5:6]
	v_add_nc_u32_e32 v5, -12, v1
	s_delay_alu instid0(VALU_DEP_3) | instskip(NEXT) | instid1(VALU_DEP_2)
	v_lshlrev_b64 v[17:18], 2, v[1:2]
	v_lshlrev_b64 v[19:20], 2, v[5:6]
	s_delay_alu instid0(VALU_DEP_4) | instskip(SKIP_1) | instid1(VALU_DEP_4)
	v_add_co_u32 v15, vcc_lo, s8, v15
	v_add_co_ci_u32_e32 v16, vcc_lo, s9, v16, vcc_lo
	v_add_co_u32 v31, vcc_lo, s8, v17
	v_add_co_ci_u32_e32 v32, vcc_lo, s9, v18, vcc_lo
	;; [unrolled: 2-line block ×3, first 2 shown]
	s_clause 0x1
	global_load_b128 v[15:18], v[15:16], off
	global_load_b128 v[19:22], v[19:20], off
	v_mov_b32_e32 v3, v6
	s_waitcnt vmcnt(2)
	v_subrev_nc_u32_e32 v2, s18, v8
	s_delay_alu instid0(VALU_DEP_1) | instskip(NEXT) | instid1(VALU_DEP_1)
	v_lshl_add_u32 v2, v2, 2, v2
	v_add_nc_u32_e32 v5, 1, v2
	v_lshlrev_b64 v[23:24], 2, v[2:3]
	s_delay_alu instid0(VALU_DEP_2) | instskip(NEXT) | instid1(VALU_DEP_2)
	v_lshlrev_b64 v[25:26], 2, v[5:6]
	v_add_co_u32 v23, vcc_lo, s10, v23
	s_delay_alu instid0(VALU_DEP_3) | instskip(NEXT) | instid1(VALU_DEP_3)
	v_add_co_ci_u32_e32 v24, vcc_lo, s11, v24, vcc_lo
	v_add_co_u32 v25, vcc_lo, s10, v25
	s_delay_alu instid0(VALU_DEP_4)
	v_add_co_ci_u32_e32 v26, vcc_lo, s11, v26, vcc_lo
	s_clause 0x1
	global_load_b32 v8, v[23:24], off
	global_load_b32 v37, v[25:26], off
	s_waitcnt vmcnt(1)
	v_fmac_f32_e32 v10, v15, v8
	v_fmac_f32_e32 v12, v17, v8
	s_waitcnt vmcnt(0)
	s_delay_alu instid0(VALU_DEP_2) | instskip(SKIP_1) | instid1(VALU_DEP_3)
	v_fmac_f32_e32 v10, v19, v37
	v_add_nc_u32_e32 v5, -8, v1
	v_fmac_f32_e32 v12, v21, v37
	s_delay_alu instid0(VALU_DEP_2) | instskip(SKIP_1) | instid1(VALU_DEP_1)
	v_lshlrev_b64 v[27:28], 2, v[5:6]
	v_add_nc_u32_e32 v5, 2, v2
	v_lshlrev_b64 v[23:24], 2, v[5:6]
	s_delay_alu instid0(VALU_DEP_3) | instskip(NEXT) | instid1(VALU_DEP_4)
	v_add_co_u32 v25, vcc_lo, s8, v27
	v_add_co_ci_u32_e32 v26, vcc_lo, s9, v28, vcc_lo
	s_delay_alu instid0(VALU_DEP_3) | instskip(NEXT) | instid1(VALU_DEP_4)
	v_add_co_u32 v29, vcc_lo, s10, v23
	v_add_co_ci_u32_e32 v30, vcc_lo, s11, v24, vcc_lo
	global_load_b128 v[23:26], v[25:26], off
	global_load_b32 v38, v[29:30], off
	v_add_nc_u32_e32 v5, -4, v1
	s_waitcnt vmcnt(0)
	v_dual_fmac_f32 v12, v25, v38 :: v_dual_add_nc_u32 v1, 0x500, v1
	s_delay_alu instid0(VALU_DEP_2) | instskip(SKIP_2) | instid1(VALU_DEP_2)
	v_lshlrev_b64 v[27:28], 2, v[5:6]
	v_add_nc_u32_e32 v5, 3, v2
	v_fmac_f32_e32 v10, v23, v38
	v_lshlrev_b64 v[33:34], 2, v[5:6]
	v_add_nc_u32_e32 v5, 4, v2
	v_add_co_u32 v2, vcc_lo, s8, v27
	v_add_co_ci_u32_e32 v3, vcc_lo, s9, v28, vcc_lo
	s_delay_alu instid0(VALU_DEP_3)
	v_lshlrev_b64 v[35:36], 2, v[5:6]
	v_add_co_u32 v33, vcc_lo, s10, v33
	v_add_co_ci_u32_e32 v34, vcc_lo, s11, v34, vcc_lo
	global_load_b128 v[27:30], v[2:3], off
	global_load_b32 v5, v[33:34], off
	v_add_co_u32 v2, vcc_lo, s10, v35
	v_add_co_ci_u32_e32 v3, vcc_lo, s11, v36, vcc_lo
	global_load_b128 v[31:34], v[31:32], off
	global_load_b32 v2, v[2:3], off
	v_fmac_f32_e32 v13, v16, v8
	v_fmac_f32_e32 v11, v18, v8
	v_cmp_ge_i32_e32 vcc_lo, v7, v14
	s_or_b32 s5, vcc_lo, s5
	s_waitcnt vmcnt(2)
	v_fmac_f32_e32 v12, v29, v5
	v_fmac_f32_e32 v11, v22, v37
	;; [unrolled: 1-line block ×3, first 2 shown]
	s_waitcnt vmcnt(0)
	s_delay_alu instid0(VALU_DEP_1) | instskip(NEXT) | instid1(VALU_DEP_1)
	v_dual_fmac_f32 v13, v20, v37 :: v_dual_fmac_f32 v10, v31, v2
	v_fmac_f32_e32 v13, v24, v38
	v_fmac_f32_e32 v12, v33, v2
	;; [unrolled: 1-line block ×3, first 2 shown]
	s_delay_alu instid0(VALU_DEP_3) | instskip(NEXT) | instid1(VALU_DEP_2)
	v_fmac_f32_e32 v13, v28, v5
	v_fmac_f32_e32 v11, v30, v5
	s_delay_alu instid0(VALU_DEP_2) | instskip(NEXT) | instid1(VALU_DEP_2)
	v_fmac_f32_e32 v13, v32, v2
	v_fmac_f32_e32 v11, v34, v2
	s_and_not1_b32 exec_lo, exec_lo, s5
	s_cbranch_execnz .LBB19_9
; %bb.10:
	s_or_b32 exec_lo, exec_lo, s5
.LBB19_11:
	s_delay_alu instid0(SALU_CYCLE_1) | instskip(NEXT) | instid1(SALU_CYCLE_1)
	s_or_b32 exec_lo, exec_lo, s4
	s_and_not1_b32 vcc_lo, exec_lo, s3
	s_cbranch_vccz .LBB19_13
	s_branch .LBB19_18
.LBB19_12:
                                        ; implicit-def: $vgpr10
                                        ; implicit-def: $vgpr11
                                        ; implicit-def: $vgpr12
                                        ; implicit-def: $vgpr13
.LBB19_13:
	v_dual_mov_b32 v10, 0 :: v_dual_mov_b32 v11, 0
	v_dual_mov_b32 v12, 0 :: v_dual_mov_b32 v13, 0
	s_delay_alu instid0(VALU_DEP_3)
	s_and_saveexec_b32 s3, s2
	s_cbranch_execz .LBB19_17
; %bb.14:
	v_mad_u64_u32 v[2:3], null, v0, 20, 19
	v_dual_mov_b32 v6, 0 :: v_dual_mov_b32 v11, 0
	v_dual_mov_b32 v10, 0 :: v_dual_mov_b32 v13, 0
	v_mov_b32_e32 v12, 0
	s_mov_b32 s2, 0
.LBB19_15:                              ; =>This Inner Loop Header: Depth=1
	v_ashrrev_i32_e32 v1, 31, v0
	v_subrev_nc_u32_e32 v5, 19, v2
	v_add_nc_u32_e32 v15, -9, v2
	v_dual_mov_b32 v16, v6 :: v_dual_add_nc_u32 v17, -4, v2
	s_delay_alu instid0(VALU_DEP_4) | instskip(NEXT) | instid1(VALU_DEP_4)
	v_lshlrev_b64 v[7:8], 2, v[0:1]
	v_lshlrev_b64 v[21:22], 2, v[5:6]
	v_mov_b32_e32 v3, v6
	v_mov_b32_e32 v20, v6
	v_add_nc_u32_e32 v0, 64, v0
	v_add_co_u32 v7, vcc_lo, s6, v7
	v_add_co_ci_u32_e32 v8, vcc_lo, s7, v8, vcc_lo
	v_add_co_u32 v21, vcc_lo, s8, v21
	v_add_co_ci_u32_e32 v22, vcc_lo, s9, v22, vcc_lo
	global_load_b32 v1, v[7:8], off
	v_dual_mov_b32 v8, v6 :: v_dual_add_nc_u32 v7, -14, v2
	v_lshlrev_b64 v[15:16], 2, v[15:16]
	v_lshlrev_b64 v[23:24], 2, v[2:3]
	s_delay_alu instid0(VALU_DEP_3) | instskip(NEXT) | instid1(VALU_DEP_1)
	v_lshlrev_b64 v[7:8], 2, v[7:8]
	v_add_co_u32 v7, vcc_lo, s8, v7
	s_delay_alu instid0(VALU_DEP_2) | instskip(SKIP_4) | instid1(VALU_DEP_1)
	v_add_co_ci_u32_e32 v8, vcc_lo, s9, v8, vcc_lo
	v_add_co_u32 v25, vcc_lo, s8, v15
	v_add_co_ci_u32_e32 v26, vcc_lo, s9, v16, vcc_lo
	s_waitcnt vmcnt(0)
	v_subrev_nc_u32_e32 v1, s18, v1
	v_lshl_add_u32 v19, v1, 2, v1
	s_delay_alu instid0(VALU_DEP_1) | instskip(NEXT) | instid1(VALU_DEP_1)
	v_dual_mov_b32 v18, v6 :: v_dual_add_nc_u32 v5, 1, v19
	v_lshlrev_b64 v[17:18], 2, v[17:18]
	s_delay_alu instid0(VALU_DEP_1) | instskip(NEXT) | instid1(VALU_DEP_2)
	v_add_co_u32 v27, vcc_lo, s8, v17
	v_add_co_ci_u32_e32 v28, vcc_lo, s9, v18, vcc_lo
	s_clause 0x3
	global_load_b128 v[15:18], v[21:22], off
	global_load_b32 v3, v[7:8], off
	global_load_b32 v29, v[25:26], off
	;; [unrolled: 1-line block ×3, first 2 shown]
	v_lshlrev_b64 v[7:8], 2, v[19:20]
	v_add_co_u32 v23, vcc_lo, s8, v23
	v_add_co_ci_u32_e32 v24, vcc_lo, s9, v24, vcc_lo
	v_lshlrev_b64 v[20:21], 2, v[5:6]
	s_delay_alu instid0(VALU_DEP_4)
	v_add_co_u32 v7, vcc_lo, s10, v7
	v_add_co_ci_u32_e32 v8, vcc_lo, s11, v8, vcc_lo
	global_load_b32 v1, v[7:8], off
	v_add_co_u32 v7, vcc_lo, s10, v20
	v_add_co_ci_u32_e32 v8, vcc_lo, s11, v21, vcc_lo
	v_add_nc_u32_e32 v5, -13, v2
	global_load_b32 v28, v[7:8], off
	s_waitcnt vmcnt(1)
	v_fmac_f32_e32 v12, v29, v1
	v_lshlrev_b64 v[25:26], 2, v[5:6]
	v_dual_fmac_f32 v10, v15, v1 :: v_dual_add_nc_u32 v5, -8, v2
	v_fmac_f32_e32 v13, v3, v1
	v_fmac_f32_e32 v11, v27, v1
	s_delay_alu instid0(VALU_DEP_4) | instskip(SKIP_4) | instid1(VALU_DEP_2)
	v_add_co_u32 v25, vcc_lo, s8, v25
	s_waitcnt vmcnt(0)
	v_fmac_f32_e32 v10, v16, v28
	v_lshlrev_b64 v[20:21], 2, v[5:6]
	v_add_co_ci_u32_e32 v26, vcc_lo, s9, v26, vcc_lo
	v_add_co_u32 v20, vcc_lo, s8, v20
	s_delay_alu instid0(VALU_DEP_3) | instskip(SKIP_4) | instid1(VALU_DEP_1)
	v_add_co_ci_u32_e32 v21, vcc_lo, s9, v21, vcc_lo
	s_clause 0x1
	global_load_b32 v30, v[25:26], off
	global_load_b32 v31, v[20:21], off
	v_add_nc_u32_e32 v5, -3, v2
	v_lshlrev_b64 v[7:8], 2, v[5:6]
	v_add_nc_u32_e32 v5, 2, v19
	s_delay_alu instid0(VALU_DEP_2) | instskip(NEXT) | instid1(VALU_DEP_2)
	v_add_co_u32 v7, vcc_lo, s8, v7
	v_lshlrev_b64 v[25:26], 2, v[5:6]
	s_delay_alu instid0(VALU_DEP_4)
	v_add_co_ci_u32_e32 v8, vcc_lo, s9, v8, vcc_lo
	global_load_b32 v32, v[7:8], off
	v_add_co_u32 v7, vcc_lo, s10, v25
	v_add_co_ci_u32_e32 v8, vcc_lo, s11, v26, vcc_lo
	global_load_b32 v33, v[7:8], off
	s_waitcnt vmcnt(2)
	v_dual_fmac_f32 v12, v31, v28 :: v_dual_add_nc_u32 v5, -12, v2
	s_delay_alu instid0(VALU_DEP_1) | instskip(NEXT) | instid1(VALU_DEP_1)
	v_lshlrev_b64 v[20:21], 2, v[5:6]
	v_add_co_u32 v20, vcc_lo, s8, v20
	s_delay_alu instid0(VALU_DEP_2) | instskip(SKIP_3) | instid1(VALU_DEP_1)
	v_add_co_ci_u32_e32 v21, vcc_lo, s9, v21, vcc_lo
	global_load_b32 v34, v[20:21], off
	s_waitcnt vmcnt(1)
	v_dual_fmac_f32 v10, v17, v33 :: v_dual_add_nc_u32 v5, -7, v2
	v_lshlrev_b64 v[25:26], 2, v[5:6]
	v_add_nc_u32_e32 v5, -2, v2
	s_delay_alu instid0(VALU_DEP_1) | instskip(SKIP_1) | instid1(VALU_DEP_4)
	v_lshlrev_b64 v[7:8], 2, v[5:6]
	v_add_nc_u32_e32 v5, 3, v19
	v_add_co_u32 v20, vcc_lo, s8, v25
	v_add_co_ci_u32_e32 v21, vcc_lo, s9, v26, vcc_lo
	s_delay_alu instid0(VALU_DEP_4) | instskip(NEXT) | instid1(VALU_DEP_4)
	v_add_co_u32 v7, vcc_lo, s8, v7
	v_lshlrev_b64 v[25:26], 2, v[5:6]
	v_add_nc_u32_e32 v5, -11, v2
	v_add_co_ci_u32_e32 v8, vcc_lo, s9, v8, vcc_lo
	s_clause 0x1
	global_load_b32 v35, v[20:21], off
	global_load_b32 v36, v[7:8], off
	v_lshlrev_b64 v[20:21], 2, v[5:6]
	v_add_nc_u32_e32 v5, -6, v2
	v_add_co_u32 v7, vcc_lo, s10, v25
	v_add_co_ci_u32_e32 v8, vcc_lo, s11, v26, vcc_lo
	s_delay_alu instid0(VALU_DEP_3)
	v_lshlrev_b64 v[25:26], 2, v[5:6]
	v_add_nc_u32_e32 v5, -1, v2
	v_add_co_u32 v20, vcc_lo, s8, v20
	v_add_co_ci_u32_e32 v21, vcc_lo, s9, v21, vcc_lo
	global_load_b32 v37, v[7:8], off
	v_lshlrev_b64 v[7:8], 2, v[5:6]
	v_add_nc_u32_e32 v5, -15, v2
	global_load_b32 v38, v[20:21], off
	v_add_co_u32 v20, vcc_lo, s8, v25
	v_add_co_ci_u32_e32 v21, vcc_lo, s9, v26, vcc_lo
	v_add_co_u32 v7, vcc_lo, s8, v7
	v_lshlrev_b64 v[25:26], 2, v[5:6]
	v_add_nc_u32_e32 v5, 4, v19
	v_add_co_ci_u32_e32 v8, vcc_lo, s9, v8, vcc_lo
	s_clause 0x1
	global_load_b32 v39, v[20:21], off
	global_load_b32 v40, v[7:8], off
	v_lshlrev_b64 v[19:20], 2, v[5:6]
	v_add_nc_u32_e32 v5, -10, v2
	v_add_co_u32 v7, vcc_lo, s8, v25
	v_add_co_ci_u32_e32 v8, vcc_lo, s9, v26, vcc_lo
	s_delay_alu instid0(VALU_DEP_3) | instskip(SKIP_3) | instid1(VALU_DEP_3)
	v_lshlrev_b64 v[21:22], 2, v[5:6]
	v_add_nc_u32_e32 v5, -5, v2
	v_add_co_u32 v19, vcc_lo, s10, v19
	v_add_co_ci_u32_e32 v20, vcc_lo, s11, v20, vcc_lo
	v_lshlrev_b64 v[25:26], 2, v[5:6]
	v_add_co_u32 v21, vcc_lo, s8, v21
	v_add_co_ci_u32_e32 v22, vcc_lo, s9, v22, vcc_lo
	v_add_nc_u32_e32 v2, 0x500, v2
	s_delay_alu instid0(VALU_DEP_4)
	v_add_co_u32 v25, vcc_lo, s8, v25
	v_add_co_ci_u32_e32 v26, vcc_lo, s9, v26, vcc_lo
	global_load_b32 v5, v[7:8], off
	global_load_b32 v7, v[19:20], off
	s_clause 0x2
	global_load_b32 v8, v[21:22], off
	global_load_b32 v19, v[25:26], off
	;; [unrolled: 1-line block ×3, first 2 shown]
	v_fmac_f32_e32 v11, v32, v28
	v_cmp_ge_i32_e32 vcc_lo, v0, v14
	s_or_b32 s2, vcc_lo, s2
	s_waitcnt vmcnt(10)
	v_fmac_f32_e32 v12, v35, v33
	s_waitcnt vmcnt(9)
	v_fmac_f32_e32 v11, v36, v33
	;; [unrolled: 2-line block ×3, first 2 shown]
	s_waitcnt vmcnt(6)
	v_dual_fmac_f32 v13, v30, v28 :: v_dual_fmac_f32 v12, v39, v37
	s_waitcnt vmcnt(3)
	s_delay_alu instid0(VALU_DEP_2) | instskip(SKIP_1) | instid1(VALU_DEP_2)
	v_dual_fmac_f32 v11, v40, v37 :: v_dual_fmac_f32 v10, v5, v7
	s_waitcnt vmcnt(1)
	v_dual_fmac_f32 v13, v34, v33 :: v_dual_fmac_f32 v12, v19, v7
	s_waitcnt vmcnt(0)
	s_delay_alu instid0(VALU_DEP_2) | instskip(NEXT) | instid1(VALU_DEP_2)
	v_fmac_f32_e32 v11, v20, v7
	v_fmac_f32_e32 v13, v38, v37
	s_delay_alu instid0(VALU_DEP_1)
	v_fmac_f32_e32 v13, v8, v7
	s_and_not1_b32 exec_lo, exec_lo, s2
	s_cbranch_execnz .LBB19_15
; %bb.16:
	s_or_b32 exec_lo, exec_lo, s2
.LBB19_17:
	s_delay_alu instid0(SALU_CYCLE_1)
	s_or_b32 exec_lo, exec_lo, s3
.LBB19_18:
	v_mbcnt_lo_u32_b32 v0, -1, 0
	s_mov_b32 s2, -1
	s_delay_alu instid0(VALU_DEP_1) | instskip(SKIP_1) | instid1(VALU_DEP_2)
	v_or_b32_e32 v1, 32, v0
	v_xor_b32_e32 v6, 16, v0
	v_cmp_gt_i32_e32 vcc_lo, 32, v1
	v_cndmask_b32_e32 v1, v0, v1, vcc_lo
	s_delay_alu instid0(VALU_DEP_3) | instskip(SKIP_1) | instid1(VALU_DEP_1)
	v_cmp_gt_i32_e32 vcc_lo, 32, v6
	v_cndmask_b32_e32 v6, v0, v6, vcc_lo
	v_lshlrev_b32_e32 v6, 2, v6
	s_delay_alu instid0(VALU_DEP_4)
	v_lshlrev_b32_e32 v1, 2, v1
	ds_bpermute_b32 v2, v1, v10
	s_waitcnt lgkmcnt(0)
	v_add_f32_e32 v2, v10, v2
	ds_bpermute_b32 v3, v1, v13
	ds_bpermute_b32 v5, v1, v12
	;; [unrolled: 1-line block ×4, first 2 shown]
	s_waitcnt lgkmcnt(3)
	v_add_f32_e32 v3, v13, v3
	s_waitcnt lgkmcnt(0)
	v_dual_add_f32 v5, v12, v5 :: v_dual_add_f32 v2, v2, v7
	v_add_f32_e32 v1, v11, v1
	ds_bpermute_b32 v8, v6, v3
	ds_bpermute_b32 v10, v6, v5
	v_xor_b32_e32 v11, 8, v0
	ds_bpermute_b32 v6, v6, v1
	v_cmp_gt_i32_e32 vcc_lo, 32, v11
	v_cndmask_b32_e32 v11, v0, v11, vcc_lo
	s_delay_alu instid0(VALU_DEP_1)
	v_lshlrev_b32_e32 v11, 2, v11
	s_waitcnt lgkmcnt(2)
	v_add_f32_e32 v3, v3, v8
	s_waitcnt lgkmcnt(1)
	v_add_f32_e32 v5, v5, v10
	;; [unrolled: 2-line block ×3, first 2 shown]
	ds_bpermute_b32 v6, v11, v2
	ds_bpermute_b32 v7, v11, v3
	;; [unrolled: 1-line block ×4, first 2 shown]
	v_xor_b32_e32 v11, 4, v0
	s_delay_alu instid0(VALU_DEP_1) | instskip(SKIP_2) | instid1(VALU_DEP_1)
	v_cmp_gt_i32_e32 vcc_lo, 32, v11
	v_cndmask_b32_e32 v11, v0, v11, vcc_lo
	s_waitcnt lgkmcnt(3)
	v_dual_add_f32 v2, v2, v6 :: v_dual_lshlrev_b32 v11, 2, v11
	s_waitcnt lgkmcnt(2)
	v_add_f32_e32 v3, v3, v7
	s_waitcnt lgkmcnt(1)
	v_add_f32_e32 v5, v5, v8
	;; [unrolled: 2-line block ×3, first 2 shown]
	ds_bpermute_b32 v6, v11, v2
	ds_bpermute_b32 v7, v11, v3
	;; [unrolled: 1-line block ×4, first 2 shown]
	v_xor_b32_e32 v11, 2, v0
	s_delay_alu instid0(VALU_DEP_1) | instskip(SKIP_2) | instid1(VALU_DEP_1)
	v_cmp_gt_i32_e32 vcc_lo, 32, v11
	v_cndmask_b32_e32 v11, v0, v11, vcc_lo
	s_waitcnt lgkmcnt(3)
	v_dual_add_f32 v2, v2, v6 :: v_dual_lshlrev_b32 v11, 2, v11
	s_waitcnt lgkmcnt(2)
	v_add_f32_e32 v3, v3, v7
	s_waitcnt lgkmcnt(1)
	v_add_f32_e32 v5, v5, v8
	;; [unrolled: 2-line block ×3, first 2 shown]
	ds_bpermute_b32 v1, v11, v2
	ds_bpermute_b32 v7, v11, v3
	;; [unrolled: 1-line block ×4, first 2 shown]
	v_xor_b32_e32 v11, 1, v0
	s_delay_alu instid0(VALU_DEP_1) | instskip(SKIP_3) | instid1(VALU_DEP_2)
	v_cmp_gt_i32_e32 vcc_lo, 32, v11
	v_cndmask_b32_e32 v0, v0, v11, vcc_lo
	v_cmp_eq_u32_e32 vcc_lo, 63, v9
	s_waitcnt lgkmcnt(3)
	v_dual_add_f32 v0, v2, v1 :: v_dual_lshlrev_b32 v11, 2, v0
	s_waitcnt lgkmcnt(1)
	v_dual_add_f32 v1, v3, v7 :: v_dual_add_f32 v2, v5, v8
	s_waitcnt lgkmcnt(0)
	v_add_f32_e32 v3, v6, v10
	ds_bpermute_b32 v5, v11, v0
	ds_bpermute_b32 v6, v11, v1
	;; [unrolled: 1-line block ×4, first 2 shown]
	s_and_b32 exec_lo, exec_lo, vcc_lo
	s_cbranch_execz .LBB19_23
; %bb.19:
	s_load_b64 s[0:1], s[0:1], 0x38
	s_waitcnt lgkmcnt(0)
	v_dual_add_f32 v0, v0, v5 :: v_dual_add_f32 v1, v1, v6
	v_dual_add_f32 v2, v2, v7 :: v_dual_add_f32 v3, v3, v8
	v_cmp_eq_f32_e64 s3, s12, 0
	s_delay_alu instid0(VALU_DEP_3) | instskip(NEXT) | instid1(VALU_DEP_3)
	v_dual_mul_f32 v0, s16, v0 :: v_dual_mul_f32 v1, s16, v1
	v_dual_mul_f32 v2, s16, v2 :: v_dual_mul_f32 v3, s16, v3
	v_lshlrev_b32_e32 v4, 2, v4
	s_delay_alu instid0(VALU_DEP_4)
	s_and_b32 vcc_lo, exec_lo, s3
	s_cbranch_vccz .LBB19_21
; %bb.20:
	s_delay_alu instid0(VALU_DEP_1) | instskip(SKIP_1) | instid1(VALU_DEP_1)
	v_ashrrev_i32_e32 v5, 31, v4
	s_mov_b32 s2, 0
	v_lshlrev_b64 v[5:6], 2, v[4:5]
	s_delay_alu instid0(VALU_DEP_1) | instskip(NEXT) | instid1(VALU_DEP_2)
	v_add_co_u32 v5, vcc_lo, s0, v5
	v_add_co_ci_u32_e32 v6, vcc_lo, s1, v6, vcc_lo
	global_store_b128 v[5:6], v[0:3], off
.LBB19_21:
	s_and_not1_b32 vcc_lo, exec_lo, s2
	s_cbranch_vccnz .LBB19_23
; %bb.22:
	v_ashrrev_i32_e32 v5, 31, v4
	s_delay_alu instid0(VALU_DEP_1) | instskip(NEXT) | instid1(VALU_DEP_1)
	v_lshlrev_b64 v[4:5], 2, v[4:5]
	v_add_co_u32 v8, vcc_lo, s0, v4
	s_delay_alu instid0(VALU_DEP_2)
	v_add_co_ci_u32_e32 v9, vcc_lo, s1, v5, vcc_lo
	global_load_b128 v[4:7], v[8:9], off
	s_waitcnt vmcnt(0)
	v_dual_fmac_f32 v0, s12, v4 :: v_dual_fmac_f32 v1, s12, v5
	v_dual_fmac_f32 v2, s12, v6 :: v_dual_fmac_f32 v3, s12, v7
	global_store_b128 v[8:9], v[0:3], off
.LBB19_23:
	s_nop 0
	s_sendmsg sendmsg(MSG_DEALLOC_VGPRS)
	s_endpgm
	.section	.rodata,"a",@progbits
	.p2align	6, 0x0
	.amdhsa_kernel _ZN9rocsparseL19gebsrmvn_4xn_kernelILj128ELj5ELj64EfEEvi20rocsparse_direction_NS_24const_host_device_scalarIT2_EEPKiS6_PKS3_S8_S4_PS3_21rocsparse_index_base_b
		.amdhsa_group_segment_fixed_size 0
		.amdhsa_private_segment_fixed_size 0
		.amdhsa_kernarg_size 72
		.amdhsa_user_sgpr_count 15
		.amdhsa_user_sgpr_dispatch_ptr 0
		.amdhsa_user_sgpr_queue_ptr 0
		.amdhsa_user_sgpr_kernarg_segment_ptr 1
		.amdhsa_user_sgpr_dispatch_id 0
		.amdhsa_user_sgpr_private_segment_size 0
		.amdhsa_wavefront_size32 1
		.amdhsa_uses_dynamic_stack 0
		.amdhsa_enable_private_segment 0
		.amdhsa_system_sgpr_workgroup_id_x 1
		.amdhsa_system_sgpr_workgroup_id_y 0
		.amdhsa_system_sgpr_workgroup_id_z 0
		.amdhsa_system_sgpr_workgroup_info 0
		.amdhsa_system_vgpr_workitem_id 0
		.amdhsa_next_free_vgpr 41
		.amdhsa_next_free_sgpr 20
		.amdhsa_reserve_vcc 1
		.amdhsa_float_round_mode_32 0
		.amdhsa_float_round_mode_16_64 0
		.amdhsa_float_denorm_mode_32 3
		.amdhsa_float_denorm_mode_16_64 3
		.amdhsa_dx10_clamp 1
		.amdhsa_ieee_mode 1
		.amdhsa_fp16_overflow 0
		.amdhsa_workgroup_processor_mode 1
		.amdhsa_memory_ordered 1
		.amdhsa_forward_progress 0
		.amdhsa_shared_vgpr_count 0
		.amdhsa_exception_fp_ieee_invalid_op 0
		.amdhsa_exception_fp_denorm_src 0
		.amdhsa_exception_fp_ieee_div_zero 0
		.amdhsa_exception_fp_ieee_overflow 0
		.amdhsa_exception_fp_ieee_underflow 0
		.amdhsa_exception_fp_ieee_inexact 0
		.amdhsa_exception_int_div_zero 0
	.end_amdhsa_kernel
	.section	.text._ZN9rocsparseL19gebsrmvn_4xn_kernelILj128ELj5ELj64EfEEvi20rocsparse_direction_NS_24const_host_device_scalarIT2_EEPKiS6_PKS3_S8_S4_PS3_21rocsparse_index_base_b,"axG",@progbits,_ZN9rocsparseL19gebsrmvn_4xn_kernelILj128ELj5ELj64EfEEvi20rocsparse_direction_NS_24const_host_device_scalarIT2_EEPKiS6_PKS3_S8_S4_PS3_21rocsparse_index_base_b,comdat
.Lfunc_end19:
	.size	_ZN9rocsparseL19gebsrmvn_4xn_kernelILj128ELj5ELj64EfEEvi20rocsparse_direction_NS_24const_host_device_scalarIT2_EEPKiS6_PKS3_S8_S4_PS3_21rocsparse_index_base_b, .Lfunc_end19-_ZN9rocsparseL19gebsrmvn_4xn_kernelILj128ELj5ELj64EfEEvi20rocsparse_direction_NS_24const_host_device_scalarIT2_EEPKiS6_PKS3_S8_S4_PS3_21rocsparse_index_base_b
                                        ; -- End function
	.section	.AMDGPU.csdata,"",@progbits
; Kernel info:
; codeLenInByte = 2688
; NumSgprs: 22
; NumVgprs: 41
; ScratchSize: 0
; MemoryBound: 0
; FloatMode: 240
; IeeeMode: 1
; LDSByteSize: 0 bytes/workgroup (compile time only)
; SGPRBlocks: 2
; VGPRBlocks: 5
; NumSGPRsForWavesPerEU: 22
; NumVGPRsForWavesPerEU: 41
; Occupancy: 16
; WaveLimiterHint : 1
; COMPUTE_PGM_RSRC2:SCRATCH_EN: 0
; COMPUTE_PGM_RSRC2:USER_SGPR: 15
; COMPUTE_PGM_RSRC2:TRAP_HANDLER: 0
; COMPUTE_PGM_RSRC2:TGID_X_EN: 1
; COMPUTE_PGM_RSRC2:TGID_Y_EN: 0
; COMPUTE_PGM_RSRC2:TGID_Z_EN: 0
; COMPUTE_PGM_RSRC2:TIDIG_COMP_CNT: 0
	.section	.text._ZN9rocsparseL19gebsrmvn_4xn_kernelILj128ELj6ELj4EfEEvi20rocsparse_direction_NS_24const_host_device_scalarIT2_EEPKiS6_PKS3_S8_S4_PS3_21rocsparse_index_base_b,"axG",@progbits,_ZN9rocsparseL19gebsrmvn_4xn_kernelILj128ELj6ELj4EfEEvi20rocsparse_direction_NS_24const_host_device_scalarIT2_EEPKiS6_PKS3_S8_S4_PS3_21rocsparse_index_base_b,comdat
	.globl	_ZN9rocsparseL19gebsrmvn_4xn_kernelILj128ELj6ELj4EfEEvi20rocsparse_direction_NS_24const_host_device_scalarIT2_EEPKiS6_PKS3_S8_S4_PS3_21rocsparse_index_base_b ; -- Begin function _ZN9rocsparseL19gebsrmvn_4xn_kernelILj128ELj6ELj4EfEEvi20rocsparse_direction_NS_24const_host_device_scalarIT2_EEPKiS6_PKS3_S8_S4_PS3_21rocsparse_index_base_b
	.p2align	8
	.type	_ZN9rocsparseL19gebsrmvn_4xn_kernelILj128ELj6ELj4EfEEvi20rocsparse_direction_NS_24const_host_device_scalarIT2_EEPKiS6_PKS3_S8_S4_PS3_21rocsparse_index_base_b,@function
_ZN9rocsparseL19gebsrmvn_4xn_kernelILj128ELj6ELj4EfEEvi20rocsparse_direction_NS_24const_host_device_scalarIT2_EEPKiS6_PKS3_S8_S4_PS3_21rocsparse_index_base_b: ; @_ZN9rocsparseL19gebsrmvn_4xn_kernelILj128ELj6ELj4EfEEvi20rocsparse_direction_NS_24const_host_device_scalarIT2_EEPKiS6_PKS3_S8_S4_PS3_21rocsparse_index_base_b
; %bb.0:
	s_clause 0x2
	s_load_b64 s[18:19], s[0:1], 0x40
	s_load_b64 s[16:17], s[0:1], 0x8
	;; [unrolled: 1-line block ×3, first 2 shown]
	s_waitcnt lgkmcnt(0)
	s_bitcmp1_b32 s19, 0
	s_cselect_b32 s2, -1, 0
	s_delay_alu instid0(SALU_CYCLE_1)
	s_and_b32 vcc_lo, exec_lo, s2
	s_xor_b32 s2, s2, -1
	s_cbranch_vccnz .LBB20_2
; %bb.1:
	s_load_b32 s16, s[16:17], 0x0
.LBB20_2:
	s_and_not1_b32 vcc_lo, exec_lo, s2
	s_cbranch_vccnz .LBB20_4
; %bb.3:
	s_load_b32 s12, s[12:13], 0x0
.LBB20_4:
	s_waitcnt lgkmcnt(0)
	v_cmp_eq_f32_e64 s2, s16, 0
	v_cmp_eq_f32_e64 s3, s12, 1.0
	s_delay_alu instid0(VALU_DEP_1) | instskip(NEXT) | instid1(SALU_CYCLE_1)
	s_and_b32 s2, s2, s3
	s_and_b32 vcc_lo, exec_lo, s2
	s_cbranch_vccnz .LBB20_23
; %bb.5:
	s_load_b64 s[2:3], s[0:1], 0x0
	v_lshrrev_b32_e32 v1, 2, v0
	s_delay_alu instid0(VALU_DEP_1) | instskip(SKIP_1) | instid1(VALU_DEP_1)
	v_lshl_or_b32 v4, s15, 5, v1
	s_waitcnt lgkmcnt(0)
	v_cmp_gt_i32_e32 vcc_lo, s2, v4
	s_and_saveexec_b32 s2, vcc_lo
	s_cbranch_execz .LBB20_23
; %bb.6:
	s_load_b256 s[4:11], s[0:1], 0x10
	v_ashrrev_i32_e32 v5, 31, v4
	v_and_b32_e32 v9, 3, v0
	s_cmp_lg_u32 s3, 0
	s_delay_alu instid0(VALU_DEP_2) | instskip(SKIP_1) | instid1(VALU_DEP_1)
	v_lshlrev_b64 v[1:2], 2, v[4:5]
	s_waitcnt lgkmcnt(0)
	v_add_co_u32 v1, vcc_lo, s4, v1
	s_delay_alu instid0(VALU_DEP_2) | instskip(SKIP_4) | instid1(VALU_DEP_2)
	v_add_co_ci_u32_e32 v2, vcc_lo, s5, v2, vcc_lo
	global_load_b64 v[1:2], v[1:2], off
	s_waitcnt vmcnt(0)
	v_subrev_nc_u32_e32 v0, s18, v1
	v_subrev_nc_u32_e32 v14, s18, v2
	v_add_nc_u32_e32 v0, v0, v9
	s_delay_alu instid0(VALU_DEP_1)
	v_cmp_lt_i32_e64 s2, v0, v14
	s_cbranch_scc0 .LBB20_12
; %bb.7:
	v_dual_mov_b32 v10, 0 :: v_dual_mov_b32 v11, 0
	v_dual_mov_b32 v12, 0 :: v_dual_mov_b32 v13, 0
	s_mov_b32 s3, 0
	s_and_saveexec_b32 s4, s2
	s_cbranch_execz .LBB20_11
; %bb.8:
	v_mad_u64_u32 v[1:2], null, v0, 24, 20
	v_dual_mov_b32 v6, 0 :: v_dual_mov_b32 v7, v0
	v_dual_mov_b32 v10, 0 :: v_dual_mov_b32 v11, 0
	;; [unrolled: 1-line block ×3, first 2 shown]
	s_mov_b32 s5, 0
.LBB20_9:                               ; =>This Inner Loop Header: Depth=1
	s_delay_alu instid0(VALU_DEP_3) | instskip(SKIP_1) | instid1(VALU_DEP_2)
	v_ashrrev_i32_e32 v8, 31, v7
	v_subrev_nc_u32_e32 v5, 20, v1
	v_lshlrev_b64 v[2:3], 2, v[7:8]
	s_delay_alu instid0(VALU_DEP_2) | instskip(SKIP_2) | instid1(VALU_DEP_4)
	v_lshlrev_b64 v[15:16], 2, v[5:6]
	v_add_nc_u32_e32 v7, 4, v7
	v_add_nc_u32_e32 v5, -12, v1
	v_add_co_u32 v2, vcc_lo, s6, v2
	v_add_co_ci_u32_e32 v3, vcc_lo, s7, v3, vcc_lo
	v_add_co_u32 v21, vcc_lo, s8, v15
	v_add_co_ci_u32_e32 v22, vcc_lo, s9, v16, vcc_lo
	global_load_b32 v8, v[2:3], off
	v_mov_b32_e32 v2, v6
	v_lshlrev_b64 v[19:20], 2, v[5:6]
	s_delay_alu instid0(VALU_DEP_2) | instskip(NEXT) | instid1(VALU_DEP_1)
	v_lshlrev_b64 v[17:18], 2, v[1:2]
	v_add_co_u32 v35, vcc_lo, s8, v17
	s_delay_alu instid0(VALU_DEP_2) | instskip(NEXT) | instid1(VALU_DEP_4)
	v_add_co_ci_u32_e32 v36, vcc_lo, s9, v18, vcc_lo
	v_add_co_u32 v23, vcc_lo, s8, v19
	v_add_co_ci_u32_e32 v24, vcc_lo, s9, v20, vcc_lo
	s_clause 0x2
	global_load_b128 v[15:18], v[21:22], off offset:16
	global_load_b128 v[19:22], v[21:22], off
	global_load_b128 v[23:26], v[23:24], off
	v_mov_b32_e32 v3, v6
	s_waitcnt vmcnt(3)
	v_subrev_nc_u32_e32 v2, s18, v8
	s_delay_alu instid0(VALU_DEP_1) | instskip(NEXT) | instid1(VALU_DEP_1)
	v_mul_lo_u32 v2, v2, 6
	v_lshlrev_b64 v[27:28], 2, v[2:3]
	s_delay_alu instid0(VALU_DEP_1) | instskip(NEXT) | instid1(VALU_DEP_2)
	v_add_co_u32 v27, vcc_lo, s10, v27
	v_add_co_ci_u32_e32 v28, vcc_lo, s11, v28, vcc_lo
	global_load_b64 v[39:40], v[27:28], off
	s_waitcnt vmcnt(0)
	v_dual_fmac_f32 v12, v21, v39 :: v_dual_add_nc_u32 v5, 2, v2
	s_delay_alu instid0(VALU_DEP_1) | instskip(SKIP_1) | instid1(VALU_DEP_3)
	v_lshlrev_b64 v[29:30], 2, v[5:6]
	v_dual_fmac_f32 v10, v19, v39 :: v_dual_add_nc_u32 v5, -8, v1
	v_fmac_f32_e32 v12, v17, v40
	s_delay_alu instid0(VALU_DEP_2) | instskip(NEXT) | instid1(VALU_DEP_4)
	v_fmac_f32_e32 v10, v15, v40
	v_add_co_u32 v27, vcc_lo, s10, v29
	v_add_co_ci_u32_e32 v28, vcc_lo, s11, v30, vcc_lo
	v_lshlrev_b64 v[31:32], 2, v[5:6]
	v_add_nc_u32_e32 v5, -4, v1
	v_add_nc_u32_e32 v1, 0x60, v1
	global_load_b64 v[41:42], v[27:28], off
	v_fmac_f32_e32 v13, v20, v39
	v_lshlrev_b64 v[33:34], 2, v[5:6]
	v_add_nc_u32_e32 v5, 4, v2
	v_add_co_u32 v2, vcc_lo, s8, v31
	v_add_co_ci_u32_e32 v3, vcc_lo, s9, v32, vcc_lo
	global_load_b128 v[27:30], v[2:3], off
	v_add_co_u32 v2, vcc_lo, s8, v33
	v_add_co_ci_u32_e32 v3, vcc_lo, s9, v34, vcc_lo
	s_waitcnt vmcnt(1)
	v_fmac_f32_e32 v10, v23, v41
	v_lshlrev_b64 v[31:32], 2, v[5:6]
	v_dual_fmac_f32 v11, v22, v39 :: v_dual_fmac_f32 v12, v25, v41
	v_fmac_f32_e32 v13, v16, v40
	s_delay_alu instid0(VALU_DEP_3) | instskip(NEXT) | instid1(VALU_DEP_4)
	v_add_co_u32 v37, vcc_lo, s10, v31
	v_add_co_ci_u32_e32 v38, vcc_lo, s11, v32, vcc_lo
	global_load_b128 v[31:34], v[2:3], off
	global_load_b64 v[2:3], v[37:38], off
	global_load_b128 v[35:38], v[35:36], off
	s_waitcnt vmcnt(3)
	v_fmac_f32_e32 v12, v29, v42
	v_dual_fmac_f32 v10, v27, v42 :: v_dual_fmac_f32 v11, v18, v40
	v_fmac_f32_e32 v13, v24, v41
	v_cmp_ge_i32_e32 vcc_lo, v7, v14
	s_or_b32 s5, vcc_lo, s5
	s_waitcnt vmcnt(1)
	v_fmac_f32_e32 v12, v33, v2
	v_dual_fmac_f32 v10, v31, v2 :: v_dual_fmac_f32 v11, v26, v41
	s_waitcnt vmcnt(0)
	s_delay_alu instid0(VALU_DEP_2) | instskip(NEXT) | instid1(VALU_DEP_2)
	v_dual_fmac_f32 v13, v28, v42 :: v_dual_fmac_f32 v12, v37, v3
	v_dual_fmac_f32 v10, v35, v3 :: v_dual_fmac_f32 v11, v30, v42
	s_delay_alu instid0(VALU_DEP_2) | instskip(NEXT) | instid1(VALU_DEP_2)
	v_fmac_f32_e32 v13, v32, v2
	v_fmac_f32_e32 v11, v34, v2
	s_delay_alu instid0(VALU_DEP_2) | instskip(NEXT) | instid1(VALU_DEP_2)
	v_fmac_f32_e32 v13, v36, v3
	v_fmac_f32_e32 v11, v38, v3
	s_and_not1_b32 exec_lo, exec_lo, s5
	s_cbranch_execnz .LBB20_9
; %bb.10:
	s_or_b32 exec_lo, exec_lo, s5
.LBB20_11:
	s_delay_alu instid0(SALU_CYCLE_1) | instskip(NEXT) | instid1(SALU_CYCLE_1)
	s_or_b32 exec_lo, exec_lo, s4
	s_and_not1_b32 vcc_lo, exec_lo, s3
	s_cbranch_vccz .LBB20_13
	s_branch .LBB20_18
.LBB20_12:
                                        ; implicit-def: $vgpr10
                                        ; implicit-def: $vgpr11
                                        ; implicit-def: $vgpr12
                                        ; implicit-def: $vgpr13
.LBB20_13:
	v_dual_mov_b32 v10, 0 :: v_dual_mov_b32 v11, 0
	v_dual_mov_b32 v12, 0 :: v_dual_mov_b32 v13, 0
	s_delay_alu instid0(VALU_DEP_3)
	s_and_saveexec_b32 s3, s2
	s_cbranch_execz .LBB20_17
; %bb.14:
	v_mad_u64_u32 v[2:3], null, v0, 24, 23
	v_dual_mov_b32 v6, 0 :: v_dual_mov_b32 v11, 0
	v_dual_mov_b32 v10, 0 :: v_dual_mov_b32 v13, 0
	v_mov_b32_e32 v12, 0
	s_mov_b32 s2, 0
.LBB20_15:                              ; =>This Inner Loop Header: Depth=1
	v_ashrrev_i32_e32 v1, 31, v0
	v_subrev_nc_u32_e32 v5, 23, v2
	v_dual_mov_b32 v16, v6 :: v_dual_add_nc_u32 v15, -5, v2
	v_mov_b32_e32 v3, v6
	s_delay_alu instid0(VALU_DEP_4) | instskip(NEXT) | instid1(VALU_DEP_4)
	v_lshlrev_b64 v[7:8], 2, v[0:1]
	v_lshlrev_b64 v[17:18], 2, v[5:6]
	v_dual_mov_b32 v24, v6 :: v_dual_add_nc_u32 v5, -10, v2
	s_delay_alu instid0(VALU_DEP_4)
	v_lshlrev_b64 v[19:20], 2, v[2:3]
	v_add_nc_u32_e32 v0, 4, v0
	v_add_co_u32 v7, vcc_lo, s6, v7
	v_add_co_ci_u32_e32 v8, vcc_lo, s7, v8, vcc_lo
	v_add_co_u32 v21, vcc_lo, s8, v17
	v_add_co_ci_u32_e32 v22, vcc_lo, s9, v18, vcc_lo
	global_load_b32 v1, v[7:8], off
	v_dual_mov_b32 v8, v6 :: v_dual_add_nc_u32 v7, -11, v2
	v_lshlrev_b64 v[15:16], 2, v[15:16]
	v_lshlrev_b64 v[25:26], 2, v[5:6]
	s_delay_alu instid0(VALU_DEP_3) | instskip(NEXT) | instid1(VALU_DEP_1)
	v_lshlrev_b64 v[7:8], 2, v[7:8]
	v_add_co_u32 v7, vcc_lo, s8, v7
	s_delay_alu instid0(VALU_DEP_2)
	v_add_co_ci_u32_e32 v8, vcc_lo, s9, v8, vcc_lo
	v_add_co_u32 v27, vcc_lo, s8, v15
	v_add_co_ci_u32_e32 v28, vcc_lo, s9, v16, vcc_lo
	v_add_co_u32 v29, vcc_lo, s8, v19
	v_add_co_ci_u32_e32 v30, vcc_lo, s9, v20, vcc_lo
	s_clause 0x3
	global_load_b128 v[15:18], v[21:22], off offset:16
	global_load_b128 v[19:22], v[21:22], off
	global_load_b32 v3, v[7:8], off
	global_load_b32 v28, v[27:28], off
	v_add_nc_u32_e32 v5, -4, v2
	v_add_co_u32 v7, vcc_lo, s8, v25
	v_add_co_ci_u32_e32 v8, vcc_lo, s9, v26, vcc_lo
	s_delay_alu instid0(VALU_DEP_3) | instskip(NEXT) | instid1(VALU_DEP_1)
	v_lshlrev_b64 v[31:32], 2, v[5:6]
	v_add_co_u32 v25, vcc_lo, s8, v31
	s_delay_alu instid0(VALU_DEP_2)
	v_add_co_ci_u32_e32 v26, vcc_lo, s9, v32, vcc_lo
	s_clause 0x1
	global_load_b32 v37, v[7:8], off
	global_load_b32 v38, v[25:26], off
	s_waitcnt vmcnt(6)
	v_subrev_nc_u32_e32 v1, s18, v1
	s_delay_alu instid0(VALU_DEP_1) | instskip(NEXT) | instid1(VALU_DEP_1)
	v_mul_lo_u32 v23, v1, 6
	v_lshlrev_b64 v[7:8], 2, v[23:24]
	s_delay_alu instid0(VALU_DEP_1) | instskip(NEXT) | instid1(VALU_DEP_2)
	v_add_co_u32 v7, vcc_lo, s10, v7
	v_add_co_ci_u32_e32 v8, vcc_lo, s11, v8, vcc_lo
	global_load_b64 v[7:8], v[7:8], off
	v_add_nc_u32_e32 v5, 2, v23
	s_delay_alu instid0(VALU_DEP_1) | instskip(NEXT) | instid1(VALU_DEP_1)
	v_lshlrev_b64 v[24:25], 2, v[5:6]
	v_add_co_u32 v24, vcc_lo, s10, v24
	s_delay_alu instid0(VALU_DEP_2)
	v_add_co_ci_u32_e32 v25, vcc_lo, s11, v25, vcc_lo
	global_load_b64 v[24:25], v[24:25], off
	s_waitcnt vmcnt(1)
	v_fmac_f32_e32 v10, v19, v7
	v_dual_fmac_f32 v12, v3, v7 :: v_dual_add_nc_u32 v5, -15, v2
	v_fmac_f32_e32 v13, v17, v7
	v_fmac_f32_e32 v11, v28, v7
	s_delay_alu instid0(VALU_DEP_4) | instskip(NEXT) | instid1(VALU_DEP_4)
	v_fmac_f32_e32 v10, v20, v8
	v_fmac_f32_e32 v12, v37, v8
	v_lshlrev_b64 v[26:27], 2, v[5:6]
	v_add_nc_u32_e32 v5, -9, v2
	v_fmac_f32_e32 v13, v18, v8
	s_delay_alu instid0(VALU_DEP_3) | instskip(NEXT) | instid1(VALU_DEP_4)
	v_add_co_u32 v26, vcc_lo, s8, v26
	v_add_co_ci_u32_e32 v27, vcc_lo, s9, v27, vcc_lo
	s_waitcnt vmcnt(0)
	v_fmac_f32_e32 v10, v21, v24
	v_lshlrev_b64 v[31:32], 2, v[5:6]
	global_load_b32 v1, v[26:27], off
	v_fmac_f32_e32 v10, v22, v25
	v_add_co_u32 v31, vcc_lo, s8, v31
	v_add_co_ci_u32_e32 v32, vcc_lo, s9, v32, vcc_lo
	global_load_b32 v39, v[31:32], off
	v_add_nc_u32_e32 v5, -3, v2
	s_waitcnt vmcnt(1)
	v_fmac_f32_e32 v13, v1, v24
	s_waitcnt vmcnt(0)
	v_fmac_f32_e32 v12, v39, v24
	v_lshlrev_b64 v[33:34], 2, v[5:6]
	v_add_nc_u32_e32 v5, -14, v2
	s_delay_alu instid0(VALU_DEP_1) | instskip(SKIP_1) | instid1(VALU_DEP_4)
	v_lshlrev_b64 v[26:27], 2, v[5:6]
	v_add_nc_u32_e32 v5, -8, v2
	v_add_co_u32 v31, vcc_lo, s8, v33
	v_add_co_ci_u32_e32 v32, vcc_lo, s9, v34, vcc_lo
	s_delay_alu instid0(VALU_DEP_4) | instskip(NEXT) | instid1(VALU_DEP_4)
	v_add_co_u32 v26, vcc_lo, s8, v26
	v_lshlrev_b64 v[33:34], 2, v[5:6]
	v_add_nc_u32_e32 v5, -2, v2
	v_add_co_ci_u32_e32 v27, vcc_lo, s9, v27, vcc_lo
	global_load_b32 v40, v[31:32], off
	v_lshlrev_b64 v[31:32], 2, v[5:6]
	v_add_nc_u32_e32 v5, 4, v23
	global_load_b32 v23, v[26:27], off
	v_add_co_u32 v26, vcc_lo, s8, v33
	v_add_co_ci_u32_e32 v27, vcc_lo, s9, v34, vcc_lo
	v_add_co_u32 v31, vcc_lo, s8, v31
	v_lshlrev_b64 v[33:34], 2, v[5:6]
	global_load_b32 v41, v[26:27], off
	v_add_co_ci_u32_e32 v32, vcc_lo, s9, v32, vcc_lo
	global_load_b32 v42, v[31:32], off
	v_add_co_u32 v31, vcc_lo, s10, v33
	v_add_co_ci_u32_e32 v32, vcc_lo, s11, v34, vcc_lo
	global_load_b64 v[31:32], v[31:32], off
	s_waitcnt vmcnt(3)
	v_fmac_f32_e32 v13, v23, v25
	s_waitcnt vmcnt(2)
	v_dual_fmac_f32 v12, v41, v25 :: v_dual_add_nc_u32 v5, -13, v2
	s_delay_alu instid0(VALU_DEP_1) | instskip(SKIP_1) | instid1(VALU_DEP_1)
	v_lshlrev_b64 v[26:27], 2, v[5:6]
	v_add_nc_u32_e32 v5, -7, v2
	v_lshlrev_b64 v[33:34], 2, v[5:6]
	v_add_nc_u32_e32 v5, -1, v2
	s_delay_alu instid0(VALU_DEP_4) | instskip(SKIP_1) | instid1(VALU_DEP_3)
	v_add_co_u32 v26, vcc_lo, s8, v26
	v_add_co_ci_u32_e32 v27, vcc_lo, s9, v27, vcc_lo
	v_lshlrev_b64 v[35:36], 2, v[5:6]
	s_waitcnt vmcnt(0)
	v_dual_fmac_f32 v10, v15, v31 :: v_dual_add_nc_u32 v5, -12, v2
	global_load_b32 v43, v[26:27], off
	v_add_co_u32 v26, vcc_lo, s8, v33
	v_add_co_ci_u32_e32 v27, vcc_lo, s9, v34, vcc_lo
	v_lshlrev_b64 v[33:34], 2, v[5:6]
	v_add_nc_u32_e32 v5, -6, v2
	v_add_co_u32 v35, vcc_lo, s8, v35
	global_load_b32 v44, v[26:27], off
	v_add_co_ci_u32_e32 v36, vcc_lo, s9, v36, vcc_lo
	v_lshlrev_b64 v[26:27], 2, v[5:6]
	v_add_co_u32 v33, vcc_lo, s8, v33
	v_add_co_ci_u32_e32 v34, vcc_lo, s9, v34, vcc_lo
	global_load_b32 v5, v[35:36], off
	v_add_co_u32 v26, vcc_lo, s8, v26
	v_add_co_ci_u32_e32 v27, vcc_lo, s9, v27, vcc_lo
	s_clause 0x2
	global_load_b32 v33, v[33:34], off
	global_load_b32 v26, v[26:27], off
	;; [unrolled: 1-line block ×3, first 2 shown]
	v_dual_fmac_f32 v11, v38, v8 :: v_dual_add_nc_u32 v2, 0x60, v2
	v_cmp_ge_i32_e32 vcc_lo, v0, v14
	v_fmac_f32_e32 v10, v16, v32
	s_delay_alu instid0(VALU_DEP_3) | instskip(SKIP_1) | instid1(VALU_DEP_1)
	v_fmac_f32_e32 v11, v40, v24
	s_or_b32 s2, vcc_lo, s2
	v_fmac_f32_e32 v11, v42, v25
	s_waitcnt vmcnt(5)
	v_fmac_f32_e32 v13, v43, v31
	s_waitcnt vmcnt(4)
	v_fmac_f32_e32 v12, v44, v31
	s_waitcnt vmcnt(3)
	v_fmac_f32_e32 v11, v5, v31
	s_waitcnt vmcnt(2)
	v_fmac_f32_e32 v13, v33, v32
	s_waitcnt vmcnt(1)
	v_fmac_f32_e32 v12, v26, v32
	s_waitcnt vmcnt(0)
	v_fmac_f32_e32 v11, v27, v32
	s_and_not1_b32 exec_lo, exec_lo, s2
	s_cbranch_execnz .LBB20_15
; %bb.16:
	s_or_b32 exec_lo, exec_lo, s2
.LBB20_17:
	s_delay_alu instid0(SALU_CYCLE_1)
	s_or_b32 exec_lo, exec_lo, s3
.LBB20_18:
	v_mbcnt_lo_u32_b32 v0, -1, 0
	s_mov_b32 s2, -1
	s_delay_alu instid0(VALU_DEP_1) | instskip(NEXT) | instid1(VALU_DEP_1)
	v_xor_b32_e32 v1, 2, v0
	v_cmp_gt_i32_e32 vcc_lo, 32, v1
	v_cndmask_b32_e32 v1, v0, v1, vcc_lo
	s_delay_alu instid0(VALU_DEP_1)
	v_lshlrev_b32_e32 v1, 2, v1
	ds_bpermute_b32 v2, v1, v10
	ds_bpermute_b32 v3, v1, v13
	;; [unrolled: 1-line block ×4, first 2 shown]
	v_xor_b32_e32 v1, 1, v0
	s_delay_alu instid0(VALU_DEP_1) | instskip(SKIP_3) | instid1(VALU_DEP_2)
	v_cmp_gt_i32_e32 vcc_lo, 32, v1
	v_cndmask_b32_e32 v0, v0, v1, vcc_lo
	v_cmp_eq_u32_e32 vcc_lo, 3, v9
	s_waitcnt lgkmcnt(2)
	v_dual_add_f32 v1, v13, v3 :: v_dual_lshlrev_b32 v8, 2, v0
	v_add_f32_e32 v0, v10, v2
	s_waitcnt lgkmcnt(0)
	v_dual_add_f32 v2, v12, v5 :: v_dual_add_f32 v3, v11, v6
	ds_bpermute_b32 v6, v8, v1
	ds_bpermute_b32 v5, v8, v0
	ds_bpermute_b32 v7, v8, v2
	ds_bpermute_b32 v8, v8, v3
	s_and_b32 exec_lo, exec_lo, vcc_lo
	s_cbranch_execz .LBB20_23
; %bb.19:
	s_load_b64 s[0:1], s[0:1], 0x38
	s_waitcnt lgkmcnt(0)
	v_dual_add_f32 v0, v0, v5 :: v_dual_add_f32 v1, v1, v6
	v_dual_add_f32 v2, v2, v7 :: v_dual_add_f32 v3, v3, v8
	v_cmp_eq_f32_e64 s3, s12, 0
	s_delay_alu instid0(VALU_DEP_3) | instskip(NEXT) | instid1(VALU_DEP_3)
	v_dual_mul_f32 v0, s16, v0 :: v_dual_mul_f32 v1, s16, v1
	v_dual_mul_f32 v2, s16, v2 :: v_dual_mul_f32 v3, s16, v3
	v_lshlrev_b32_e32 v4, 2, v4
	s_delay_alu instid0(VALU_DEP_4)
	s_and_b32 vcc_lo, exec_lo, s3
	s_cbranch_vccz .LBB20_21
; %bb.20:
	s_delay_alu instid0(VALU_DEP_1) | instskip(SKIP_1) | instid1(VALU_DEP_1)
	v_ashrrev_i32_e32 v5, 31, v4
	s_mov_b32 s2, 0
	v_lshlrev_b64 v[5:6], 2, v[4:5]
	s_delay_alu instid0(VALU_DEP_1) | instskip(NEXT) | instid1(VALU_DEP_2)
	v_add_co_u32 v5, vcc_lo, s0, v5
	v_add_co_ci_u32_e32 v6, vcc_lo, s1, v6, vcc_lo
	global_store_b128 v[5:6], v[0:3], off
.LBB20_21:
	s_and_not1_b32 vcc_lo, exec_lo, s2
	s_cbranch_vccnz .LBB20_23
; %bb.22:
	v_ashrrev_i32_e32 v5, 31, v4
	s_delay_alu instid0(VALU_DEP_1) | instskip(NEXT) | instid1(VALU_DEP_1)
	v_lshlrev_b64 v[4:5], 2, v[4:5]
	v_add_co_u32 v8, vcc_lo, s0, v4
	s_delay_alu instid0(VALU_DEP_2)
	v_add_co_ci_u32_e32 v9, vcc_lo, s1, v5, vcc_lo
	global_load_b128 v[4:7], v[8:9], off
	s_waitcnt vmcnt(0)
	v_dual_fmac_f32 v0, s12, v4 :: v_dual_fmac_f32 v1, s12, v5
	v_dual_fmac_f32 v2, s12, v6 :: v_dual_fmac_f32 v3, s12, v7
	global_store_b128 v[8:9], v[0:3], off
.LBB20_23:
	s_nop 0
	s_sendmsg sendmsg(MSG_DEALLOC_VGPRS)
	s_endpgm
	.section	.rodata,"a",@progbits
	.p2align	6, 0x0
	.amdhsa_kernel _ZN9rocsparseL19gebsrmvn_4xn_kernelILj128ELj6ELj4EfEEvi20rocsparse_direction_NS_24const_host_device_scalarIT2_EEPKiS6_PKS3_S8_S4_PS3_21rocsparse_index_base_b
		.amdhsa_group_segment_fixed_size 0
		.amdhsa_private_segment_fixed_size 0
		.amdhsa_kernarg_size 72
		.amdhsa_user_sgpr_count 15
		.amdhsa_user_sgpr_dispatch_ptr 0
		.amdhsa_user_sgpr_queue_ptr 0
		.amdhsa_user_sgpr_kernarg_segment_ptr 1
		.amdhsa_user_sgpr_dispatch_id 0
		.amdhsa_user_sgpr_private_segment_size 0
		.amdhsa_wavefront_size32 1
		.amdhsa_uses_dynamic_stack 0
		.amdhsa_enable_private_segment 0
		.amdhsa_system_sgpr_workgroup_id_x 1
		.amdhsa_system_sgpr_workgroup_id_y 0
		.amdhsa_system_sgpr_workgroup_id_z 0
		.amdhsa_system_sgpr_workgroup_info 0
		.amdhsa_system_vgpr_workitem_id 0
		.amdhsa_next_free_vgpr 45
		.amdhsa_next_free_sgpr 20
		.amdhsa_reserve_vcc 1
		.amdhsa_float_round_mode_32 0
		.amdhsa_float_round_mode_16_64 0
		.amdhsa_float_denorm_mode_32 3
		.amdhsa_float_denorm_mode_16_64 3
		.amdhsa_dx10_clamp 1
		.amdhsa_ieee_mode 1
		.amdhsa_fp16_overflow 0
		.amdhsa_workgroup_processor_mode 1
		.amdhsa_memory_ordered 1
		.amdhsa_forward_progress 0
		.amdhsa_shared_vgpr_count 0
		.amdhsa_exception_fp_ieee_invalid_op 0
		.amdhsa_exception_fp_denorm_src 0
		.amdhsa_exception_fp_ieee_div_zero 0
		.amdhsa_exception_fp_ieee_overflow 0
		.amdhsa_exception_fp_ieee_underflow 0
		.amdhsa_exception_fp_ieee_inexact 0
		.amdhsa_exception_int_div_zero 0
	.end_amdhsa_kernel
	.section	.text._ZN9rocsparseL19gebsrmvn_4xn_kernelILj128ELj6ELj4EfEEvi20rocsparse_direction_NS_24const_host_device_scalarIT2_EEPKiS6_PKS3_S8_S4_PS3_21rocsparse_index_base_b,"axG",@progbits,_ZN9rocsparseL19gebsrmvn_4xn_kernelILj128ELj6ELj4EfEEvi20rocsparse_direction_NS_24const_host_device_scalarIT2_EEPKiS6_PKS3_S8_S4_PS3_21rocsparse_index_base_b,comdat
.Lfunc_end20:
	.size	_ZN9rocsparseL19gebsrmvn_4xn_kernelILj128ELj6ELj4EfEEvi20rocsparse_direction_NS_24const_host_device_scalarIT2_EEPKiS6_PKS3_S8_S4_PS3_21rocsparse_index_base_b, .Lfunc_end20-_ZN9rocsparseL19gebsrmvn_4xn_kernelILj128ELj6ELj4EfEEvi20rocsparse_direction_NS_24const_host_device_scalarIT2_EEPKiS6_PKS3_S8_S4_PS3_21rocsparse_index_base_b
                                        ; -- End function
	.section	.AMDGPU.csdata,"",@progbits
; Kernel info:
; codeLenInByte = 2236
; NumSgprs: 22
; NumVgprs: 45
; ScratchSize: 0
; MemoryBound: 0
; FloatMode: 240
; IeeeMode: 1
; LDSByteSize: 0 bytes/workgroup (compile time only)
; SGPRBlocks: 2
; VGPRBlocks: 5
; NumSGPRsForWavesPerEU: 22
; NumVGPRsForWavesPerEU: 45
; Occupancy: 16
; WaveLimiterHint : 1
; COMPUTE_PGM_RSRC2:SCRATCH_EN: 0
; COMPUTE_PGM_RSRC2:USER_SGPR: 15
; COMPUTE_PGM_RSRC2:TRAP_HANDLER: 0
; COMPUTE_PGM_RSRC2:TGID_X_EN: 1
; COMPUTE_PGM_RSRC2:TGID_Y_EN: 0
; COMPUTE_PGM_RSRC2:TGID_Z_EN: 0
; COMPUTE_PGM_RSRC2:TIDIG_COMP_CNT: 0
	.section	.text._ZN9rocsparseL19gebsrmvn_4xn_kernelILj128ELj6ELj8EfEEvi20rocsparse_direction_NS_24const_host_device_scalarIT2_EEPKiS6_PKS3_S8_S4_PS3_21rocsparse_index_base_b,"axG",@progbits,_ZN9rocsparseL19gebsrmvn_4xn_kernelILj128ELj6ELj8EfEEvi20rocsparse_direction_NS_24const_host_device_scalarIT2_EEPKiS6_PKS3_S8_S4_PS3_21rocsparse_index_base_b,comdat
	.globl	_ZN9rocsparseL19gebsrmvn_4xn_kernelILj128ELj6ELj8EfEEvi20rocsparse_direction_NS_24const_host_device_scalarIT2_EEPKiS6_PKS3_S8_S4_PS3_21rocsparse_index_base_b ; -- Begin function _ZN9rocsparseL19gebsrmvn_4xn_kernelILj128ELj6ELj8EfEEvi20rocsparse_direction_NS_24const_host_device_scalarIT2_EEPKiS6_PKS3_S8_S4_PS3_21rocsparse_index_base_b
	.p2align	8
	.type	_ZN9rocsparseL19gebsrmvn_4xn_kernelILj128ELj6ELj8EfEEvi20rocsparse_direction_NS_24const_host_device_scalarIT2_EEPKiS6_PKS3_S8_S4_PS3_21rocsparse_index_base_b,@function
_ZN9rocsparseL19gebsrmvn_4xn_kernelILj128ELj6ELj8EfEEvi20rocsparse_direction_NS_24const_host_device_scalarIT2_EEPKiS6_PKS3_S8_S4_PS3_21rocsparse_index_base_b: ; @_ZN9rocsparseL19gebsrmvn_4xn_kernelILj128ELj6ELj8EfEEvi20rocsparse_direction_NS_24const_host_device_scalarIT2_EEPKiS6_PKS3_S8_S4_PS3_21rocsparse_index_base_b
; %bb.0:
	s_clause 0x2
	s_load_b64 s[18:19], s[0:1], 0x40
	s_load_b64 s[16:17], s[0:1], 0x8
	;; [unrolled: 1-line block ×3, first 2 shown]
	s_waitcnt lgkmcnt(0)
	s_bitcmp1_b32 s19, 0
	s_cselect_b32 s2, -1, 0
	s_delay_alu instid0(SALU_CYCLE_1)
	s_and_b32 vcc_lo, exec_lo, s2
	s_xor_b32 s2, s2, -1
	s_cbranch_vccnz .LBB21_2
; %bb.1:
	s_load_b32 s16, s[16:17], 0x0
.LBB21_2:
	s_and_not1_b32 vcc_lo, exec_lo, s2
	s_cbranch_vccnz .LBB21_4
; %bb.3:
	s_load_b32 s12, s[12:13], 0x0
.LBB21_4:
	s_waitcnt lgkmcnt(0)
	v_cmp_eq_f32_e64 s2, s16, 0
	v_cmp_eq_f32_e64 s3, s12, 1.0
	s_delay_alu instid0(VALU_DEP_1) | instskip(NEXT) | instid1(SALU_CYCLE_1)
	s_and_b32 s2, s2, s3
	s_and_b32 vcc_lo, exec_lo, s2
	s_cbranch_vccnz .LBB21_23
; %bb.5:
	s_load_b64 s[2:3], s[0:1], 0x0
	v_lshrrev_b32_e32 v1, 3, v0
	s_delay_alu instid0(VALU_DEP_1) | instskip(SKIP_1) | instid1(VALU_DEP_1)
	v_lshl_or_b32 v4, s15, 4, v1
	s_waitcnt lgkmcnt(0)
	v_cmp_gt_i32_e32 vcc_lo, s2, v4
	s_and_saveexec_b32 s2, vcc_lo
	s_cbranch_execz .LBB21_23
; %bb.6:
	s_load_b256 s[4:11], s[0:1], 0x10
	v_ashrrev_i32_e32 v5, 31, v4
	v_and_b32_e32 v9, 7, v0
	s_cmp_lg_u32 s3, 0
	s_delay_alu instid0(VALU_DEP_2) | instskip(SKIP_1) | instid1(VALU_DEP_1)
	v_lshlrev_b64 v[1:2], 2, v[4:5]
	s_waitcnt lgkmcnt(0)
	v_add_co_u32 v1, vcc_lo, s4, v1
	s_delay_alu instid0(VALU_DEP_2) | instskip(SKIP_4) | instid1(VALU_DEP_2)
	v_add_co_ci_u32_e32 v2, vcc_lo, s5, v2, vcc_lo
	global_load_b64 v[1:2], v[1:2], off
	s_waitcnt vmcnt(0)
	v_subrev_nc_u32_e32 v0, s18, v1
	v_subrev_nc_u32_e32 v14, s18, v2
	v_add_nc_u32_e32 v0, v0, v9
	s_delay_alu instid0(VALU_DEP_1)
	v_cmp_lt_i32_e64 s2, v0, v14
	s_cbranch_scc0 .LBB21_12
; %bb.7:
	v_dual_mov_b32 v10, 0 :: v_dual_mov_b32 v11, 0
	v_dual_mov_b32 v12, 0 :: v_dual_mov_b32 v13, 0
	s_mov_b32 s3, 0
	s_and_saveexec_b32 s4, s2
	s_cbranch_execz .LBB21_11
; %bb.8:
	v_mad_u64_u32 v[1:2], null, v0, 24, 20
	v_dual_mov_b32 v6, 0 :: v_dual_mov_b32 v7, v0
	v_dual_mov_b32 v10, 0 :: v_dual_mov_b32 v11, 0
	;; [unrolled: 1-line block ×3, first 2 shown]
	s_mov_b32 s5, 0
.LBB21_9:                               ; =>This Inner Loop Header: Depth=1
	s_delay_alu instid0(VALU_DEP_3) | instskip(SKIP_1) | instid1(VALU_DEP_2)
	v_ashrrev_i32_e32 v8, 31, v7
	v_subrev_nc_u32_e32 v5, 20, v1
	v_lshlrev_b64 v[2:3], 2, v[7:8]
	s_delay_alu instid0(VALU_DEP_2) | instskip(SKIP_2) | instid1(VALU_DEP_4)
	v_lshlrev_b64 v[15:16], 2, v[5:6]
	v_add_nc_u32_e32 v7, 8, v7
	v_add_nc_u32_e32 v5, -12, v1
	v_add_co_u32 v2, vcc_lo, s6, v2
	v_add_co_ci_u32_e32 v3, vcc_lo, s7, v3, vcc_lo
	v_add_co_u32 v21, vcc_lo, s8, v15
	v_add_co_ci_u32_e32 v22, vcc_lo, s9, v16, vcc_lo
	global_load_b32 v8, v[2:3], off
	v_mov_b32_e32 v2, v6
	v_lshlrev_b64 v[19:20], 2, v[5:6]
	s_delay_alu instid0(VALU_DEP_2) | instskip(NEXT) | instid1(VALU_DEP_1)
	v_lshlrev_b64 v[17:18], 2, v[1:2]
	v_add_co_u32 v35, vcc_lo, s8, v17
	s_delay_alu instid0(VALU_DEP_2) | instskip(NEXT) | instid1(VALU_DEP_4)
	v_add_co_ci_u32_e32 v36, vcc_lo, s9, v18, vcc_lo
	v_add_co_u32 v23, vcc_lo, s8, v19
	v_add_co_ci_u32_e32 v24, vcc_lo, s9, v20, vcc_lo
	s_clause 0x2
	global_load_b128 v[15:18], v[21:22], off offset:16
	global_load_b128 v[19:22], v[21:22], off
	global_load_b128 v[23:26], v[23:24], off
	v_mov_b32_e32 v3, v6
	s_waitcnt vmcnt(3)
	v_subrev_nc_u32_e32 v2, s18, v8
	s_delay_alu instid0(VALU_DEP_1) | instskip(NEXT) | instid1(VALU_DEP_1)
	v_mul_lo_u32 v2, v2, 6
	v_lshlrev_b64 v[27:28], 2, v[2:3]
	s_delay_alu instid0(VALU_DEP_1) | instskip(NEXT) | instid1(VALU_DEP_2)
	v_add_co_u32 v27, vcc_lo, s10, v27
	v_add_co_ci_u32_e32 v28, vcc_lo, s11, v28, vcc_lo
	global_load_b64 v[39:40], v[27:28], off
	s_waitcnt vmcnt(0)
	v_dual_fmac_f32 v12, v21, v39 :: v_dual_add_nc_u32 v5, 2, v2
	s_delay_alu instid0(VALU_DEP_1) | instskip(SKIP_1) | instid1(VALU_DEP_3)
	v_lshlrev_b64 v[29:30], 2, v[5:6]
	v_dual_fmac_f32 v10, v19, v39 :: v_dual_add_nc_u32 v5, -8, v1
	v_fmac_f32_e32 v12, v17, v40
	s_delay_alu instid0(VALU_DEP_2) | instskip(NEXT) | instid1(VALU_DEP_4)
	v_fmac_f32_e32 v10, v15, v40
	v_add_co_u32 v27, vcc_lo, s10, v29
	v_add_co_ci_u32_e32 v28, vcc_lo, s11, v30, vcc_lo
	v_lshlrev_b64 v[31:32], 2, v[5:6]
	v_add_nc_u32_e32 v5, -4, v1
	v_add_nc_u32_e32 v1, 0xc0, v1
	global_load_b64 v[41:42], v[27:28], off
	v_fmac_f32_e32 v13, v20, v39
	v_lshlrev_b64 v[33:34], 2, v[5:6]
	v_add_nc_u32_e32 v5, 4, v2
	v_add_co_u32 v2, vcc_lo, s8, v31
	v_add_co_ci_u32_e32 v3, vcc_lo, s9, v32, vcc_lo
	global_load_b128 v[27:30], v[2:3], off
	v_add_co_u32 v2, vcc_lo, s8, v33
	v_add_co_ci_u32_e32 v3, vcc_lo, s9, v34, vcc_lo
	s_waitcnt vmcnt(1)
	v_fmac_f32_e32 v10, v23, v41
	v_lshlrev_b64 v[31:32], 2, v[5:6]
	v_dual_fmac_f32 v11, v22, v39 :: v_dual_fmac_f32 v12, v25, v41
	v_fmac_f32_e32 v13, v16, v40
	s_delay_alu instid0(VALU_DEP_3) | instskip(NEXT) | instid1(VALU_DEP_4)
	v_add_co_u32 v37, vcc_lo, s10, v31
	v_add_co_ci_u32_e32 v38, vcc_lo, s11, v32, vcc_lo
	global_load_b128 v[31:34], v[2:3], off
	global_load_b64 v[2:3], v[37:38], off
	global_load_b128 v[35:38], v[35:36], off
	s_waitcnt vmcnt(3)
	v_fmac_f32_e32 v12, v29, v42
	v_dual_fmac_f32 v10, v27, v42 :: v_dual_fmac_f32 v11, v18, v40
	v_fmac_f32_e32 v13, v24, v41
	v_cmp_ge_i32_e32 vcc_lo, v7, v14
	s_or_b32 s5, vcc_lo, s5
	s_waitcnt vmcnt(1)
	v_fmac_f32_e32 v12, v33, v2
	v_dual_fmac_f32 v10, v31, v2 :: v_dual_fmac_f32 v11, v26, v41
	s_waitcnt vmcnt(0)
	s_delay_alu instid0(VALU_DEP_2) | instskip(NEXT) | instid1(VALU_DEP_2)
	v_dual_fmac_f32 v13, v28, v42 :: v_dual_fmac_f32 v12, v37, v3
	v_dual_fmac_f32 v10, v35, v3 :: v_dual_fmac_f32 v11, v30, v42
	s_delay_alu instid0(VALU_DEP_2) | instskip(NEXT) | instid1(VALU_DEP_2)
	v_fmac_f32_e32 v13, v32, v2
	v_fmac_f32_e32 v11, v34, v2
	s_delay_alu instid0(VALU_DEP_2) | instskip(NEXT) | instid1(VALU_DEP_2)
	v_fmac_f32_e32 v13, v36, v3
	v_fmac_f32_e32 v11, v38, v3
	s_and_not1_b32 exec_lo, exec_lo, s5
	s_cbranch_execnz .LBB21_9
; %bb.10:
	s_or_b32 exec_lo, exec_lo, s5
.LBB21_11:
	s_delay_alu instid0(SALU_CYCLE_1) | instskip(NEXT) | instid1(SALU_CYCLE_1)
	s_or_b32 exec_lo, exec_lo, s4
	s_and_not1_b32 vcc_lo, exec_lo, s3
	s_cbranch_vccz .LBB21_13
	s_branch .LBB21_18
.LBB21_12:
                                        ; implicit-def: $vgpr10
                                        ; implicit-def: $vgpr11
                                        ; implicit-def: $vgpr12
                                        ; implicit-def: $vgpr13
.LBB21_13:
	v_dual_mov_b32 v10, 0 :: v_dual_mov_b32 v11, 0
	v_dual_mov_b32 v12, 0 :: v_dual_mov_b32 v13, 0
	s_delay_alu instid0(VALU_DEP_3)
	s_and_saveexec_b32 s3, s2
	s_cbranch_execz .LBB21_17
; %bb.14:
	v_mad_u64_u32 v[2:3], null, v0, 24, 23
	v_dual_mov_b32 v6, 0 :: v_dual_mov_b32 v11, 0
	v_dual_mov_b32 v10, 0 :: v_dual_mov_b32 v13, 0
	v_mov_b32_e32 v12, 0
	s_mov_b32 s2, 0
.LBB21_15:                              ; =>This Inner Loop Header: Depth=1
	v_ashrrev_i32_e32 v1, 31, v0
	v_subrev_nc_u32_e32 v5, 23, v2
	v_dual_mov_b32 v16, v6 :: v_dual_add_nc_u32 v15, -5, v2
	v_mov_b32_e32 v3, v6
	s_delay_alu instid0(VALU_DEP_4) | instskip(NEXT) | instid1(VALU_DEP_4)
	v_lshlrev_b64 v[7:8], 2, v[0:1]
	v_lshlrev_b64 v[17:18], 2, v[5:6]
	v_dual_mov_b32 v24, v6 :: v_dual_add_nc_u32 v5, -10, v2
	s_delay_alu instid0(VALU_DEP_4)
	v_lshlrev_b64 v[19:20], 2, v[2:3]
	v_add_nc_u32_e32 v0, 8, v0
	v_add_co_u32 v7, vcc_lo, s6, v7
	v_add_co_ci_u32_e32 v8, vcc_lo, s7, v8, vcc_lo
	v_add_co_u32 v21, vcc_lo, s8, v17
	v_add_co_ci_u32_e32 v22, vcc_lo, s9, v18, vcc_lo
	global_load_b32 v1, v[7:8], off
	v_dual_mov_b32 v8, v6 :: v_dual_add_nc_u32 v7, -11, v2
	v_lshlrev_b64 v[15:16], 2, v[15:16]
	v_lshlrev_b64 v[25:26], 2, v[5:6]
	s_delay_alu instid0(VALU_DEP_3) | instskip(NEXT) | instid1(VALU_DEP_1)
	v_lshlrev_b64 v[7:8], 2, v[7:8]
	v_add_co_u32 v7, vcc_lo, s8, v7
	s_delay_alu instid0(VALU_DEP_2)
	v_add_co_ci_u32_e32 v8, vcc_lo, s9, v8, vcc_lo
	v_add_co_u32 v27, vcc_lo, s8, v15
	v_add_co_ci_u32_e32 v28, vcc_lo, s9, v16, vcc_lo
	v_add_co_u32 v29, vcc_lo, s8, v19
	v_add_co_ci_u32_e32 v30, vcc_lo, s9, v20, vcc_lo
	s_clause 0x3
	global_load_b128 v[15:18], v[21:22], off offset:16
	global_load_b128 v[19:22], v[21:22], off
	global_load_b32 v3, v[7:8], off
	global_load_b32 v28, v[27:28], off
	v_add_nc_u32_e32 v5, -4, v2
	v_add_co_u32 v7, vcc_lo, s8, v25
	v_add_co_ci_u32_e32 v8, vcc_lo, s9, v26, vcc_lo
	s_delay_alu instid0(VALU_DEP_3) | instskip(NEXT) | instid1(VALU_DEP_1)
	v_lshlrev_b64 v[31:32], 2, v[5:6]
	v_add_co_u32 v25, vcc_lo, s8, v31
	s_delay_alu instid0(VALU_DEP_2)
	v_add_co_ci_u32_e32 v26, vcc_lo, s9, v32, vcc_lo
	s_clause 0x1
	global_load_b32 v37, v[7:8], off
	global_load_b32 v38, v[25:26], off
	s_waitcnt vmcnt(6)
	v_subrev_nc_u32_e32 v1, s18, v1
	s_delay_alu instid0(VALU_DEP_1) | instskip(NEXT) | instid1(VALU_DEP_1)
	v_mul_lo_u32 v23, v1, 6
	v_lshlrev_b64 v[7:8], 2, v[23:24]
	s_delay_alu instid0(VALU_DEP_1) | instskip(NEXT) | instid1(VALU_DEP_2)
	v_add_co_u32 v7, vcc_lo, s10, v7
	v_add_co_ci_u32_e32 v8, vcc_lo, s11, v8, vcc_lo
	global_load_b64 v[7:8], v[7:8], off
	v_add_nc_u32_e32 v5, 2, v23
	s_delay_alu instid0(VALU_DEP_1) | instskip(NEXT) | instid1(VALU_DEP_1)
	v_lshlrev_b64 v[24:25], 2, v[5:6]
	v_add_co_u32 v24, vcc_lo, s10, v24
	s_delay_alu instid0(VALU_DEP_2)
	v_add_co_ci_u32_e32 v25, vcc_lo, s11, v25, vcc_lo
	global_load_b64 v[24:25], v[24:25], off
	s_waitcnt vmcnt(1)
	v_fmac_f32_e32 v10, v19, v7
	v_dual_fmac_f32 v12, v3, v7 :: v_dual_add_nc_u32 v5, -15, v2
	v_fmac_f32_e32 v13, v17, v7
	v_fmac_f32_e32 v11, v28, v7
	s_delay_alu instid0(VALU_DEP_4) | instskip(NEXT) | instid1(VALU_DEP_4)
	v_fmac_f32_e32 v10, v20, v8
	v_fmac_f32_e32 v12, v37, v8
	v_lshlrev_b64 v[26:27], 2, v[5:6]
	v_add_nc_u32_e32 v5, -9, v2
	v_fmac_f32_e32 v13, v18, v8
	s_delay_alu instid0(VALU_DEP_3) | instskip(NEXT) | instid1(VALU_DEP_4)
	v_add_co_u32 v26, vcc_lo, s8, v26
	v_add_co_ci_u32_e32 v27, vcc_lo, s9, v27, vcc_lo
	s_waitcnt vmcnt(0)
	v_fmac_f32_e32 v10, v21, v24
	v_lshlrev_b64 v[31:32], 2, v[5:6]
	global_load_b32 v1, v[26:27], off
	v_fmac_f32_e32 v10, v22, v25
	v_add_co_u32 v31, vcc_lo, s8, v31
	v_add_co_ci_u32_e32 v32, vcc_lo, s9, v32, vcc_lo
	global_load_b32 v39, v[31:32], off
	v_add_nc_u32_e32 v5, -3, v2
	s_waitcnt vmcnt(1)
	v_fmac_f32_e32 v13, v1, v24
	s_waitcnt vmcnt(0)
	v_fmac_f32_e32 v12, v39, v24
	v_lshlrev_b64 v[33:34], 2, v[5:6]
	v_add_nc_u32_e32 v5, -14, v2
	s_delay_alu instid0(VALU_DEP_1) | instskip(SKIP_1) | instid1(VALU_DEP_4)
	v_lshlrev_b64 v[26:27], 2, v[5:6]
	v_add_nc_u32_e32 v5, -8, v2
	v_add_co_u32 v31, vcc_lo, s8, v33
	v_add_co_ci_u32_e32 v32, vcc_lo, s9, v34, vcc_lo
	s_delay_alu instid0(VALU_DEP_4) | instskip(NEXT) | instid1(VALU_DEP_4)
	v_add_co_u32 v26, vcc_lo, s8, v26
	v_lshlrev_b64 v[33:34], 2, v[5:6]
	v_add_nc_u32_e32 v5, -2, v2
	v_add_co_ci_u32_e32 v27, vcc_lo, s9, v27, vcc_lo
	global_load_b32 v40, v[31:32], off
	v_lshlrev_b64 v[31:32], 2, v[5:6]
	v_add_nc_u32_e32 v5, 4, v23
	global_load_b32 v23, v[26:27], off
	v_add_co_u32 v26, vcc_lo, s8, v33
	v_add_co_ci_u32_e32 v27, vcc_lo, s9, v34, vcc_lo
	v_add_co_u32 v31, vcc_lo, s8, v31
	v_lshlrev_b64 v[33:34], 2, v[5:6]
	global_load_b32 v41, v[26:27], off
	v_add_co_ci_u32_e32 v32, vcc_lo, s9, v32, vcc_lo
	global_load_b32 v42, v[31:32], off
	v_add_co_u32 v31, vcc_lo, s10, v33
	v_add_co_ci_u32_e32 v32, vcc_lo, s11, v34, vcc_lo
	global_load_b64 v[31:32], v[31:32], off
	s_waitcnt vmcnt(3)
	v_fmac_f32_e32 v13, v23, v25
	s_waitcnt vmcnt(2)
	v_dual_fmac_f32 v12, v41, v25 :: v_dual_add_nc_u32 v5, -13, v2
	s_delay_alu instid0(VALU_DEP_1) | instskip(SKIP_1) | instid1(VALU_DEP_1)
	v_lshlrev_b64 v[26:27], 2, v[5:6]
	v_add_nc_u32_e32 v5, -7, v2
	v_lshlrev_b64 v[33:34], 2, v[5:6]
	v_add_nc_u32_e32 v5, -1, v2
	s_delay_alu instid0(VALU_DEP_4) | instskip(SKIP_1) | instid1(VALU_DEP_3)
	v_add_co_u32 v26, vcc_lo, s8, v26
	v_add_co_ci_u32_e32 v27, vcc_lo, s9, v27, vcc_lo
	v_lshlrev_b64 v[35:36], 2, v[5:6]
	s_waitcnt vmcnt(0)
	v_dual_fmac_f32 v10, v15, v31 :: v_dual_add_nc_u32 v5, -12, v2
	global_load_b32 v43, v[26:27], off
	v_add_co_u32 v26, vcc_lo, s8, v33
	v_add_co_ci_u32_e32 v27, vcc_lo, s9, v34, vcc_lo
	v_lshlrev_b64 v[33:34], 2, v[5:6]
	v_add_nc_u32_e32 v5, -6, v2
	v_add_co_u32 v35, vcc_lo, s8, v35
	global_load_b32 v44, v[26:27], off
	v_add_co_ci_u32_e32 v36, vcc_lo, s9, v36, vcc_lo
	v_lshlrev_b64 v[26:27], 2, v[5:6]
	v_add_co_u32 v33, vcc_lo, s8, v33
	v_add_co_ci_u32_e32 v34, vcc_lo, s9, v34, vcc_lo
	global_load_b32 v5, v[35:36], off
	v_add_co_u32 v26, vcc_lo, s8, v26
	v_add_co_ci_u32_e32 v27, vcc_lo, s9, v27, vcc_lo
	s_clause 0x2
	global_load_b32 v33, v[33:34], off
	global_load_b32 v26, v[26:27], off
	;; [unrolled: 1-line block ×3, first 2 shown]
	v_dual_fmac_f32 v11, v38, v8 :: v_dual_add_nc_u32 v2, 0xc0, v2
	v_cmp_ge_i32_e32 vcc_lo, v0, v14
	v_fmac_f32_e32 v10, v16, v32
	s_delay_alu instid0(VALU_DEP_3) | instskip(SKIP_1) | instid1(VALU_DEP_1)
	v_fmac_f32_e32 v11, v40, v24
	s_or_b32 s2, vcc_lo, s2
	v_fmac_f32_e32 v11, v42, v25
	s_waitcnt vmcnt(5)
	v_fmac_f32_e32 v13, v43, v31
	s_waitcnt vmcnt(4)
	;; [unrolled: 2-line block ×6, first 2 shown]
	v_fmac_f32_e32 v11, v27, v32
	s_and_not1_b32 exec_lo, exec_lo, s2
	s_cbranch_execnz .LBB21_15
; %bb.16:
	s_or_b32 exec_lo, exec_lo, s2
.LBB21_17:
	s_delay_alu instid0(SALU_CYCLE_1)
	s_or_b32 exec_lo, exec_lo, s3
.LBB21_18:
	v_mbcnt_lo_u32_b32 v0, -1, 0
	s_mov_b32 s2, -1
	s_delay_alu instid0(VALU_DEP_1) | instskip(SKIP_1) | instid1(VALU_DEP_2)
	v_xor_b32_e32 v1, 4, v0
	v_xor_b32_e32 v6, 2, v0
	v_cmp_gt_i32_e32 vcc_lo, 32, v1
	v_cndmask_b32_e32 v1, v0, v1, vcc_lo
	s_delay_alu instid0(VALU_DEP_3) | instskip(SKIP_1) | instid1(VALU_DEP_1)
	v_cmp_gt_i32_e32 vcc_lo, 32, v6
	v_cndmask_b32_e32 v6, v0, v6, vcc_lo
	v_lshlrev_b32_e32 v6, 2, v6
	s_delay_alu instid0(VALU_DEP_4)
	v_lshlrev_b32_e32 v1, 2, v1
	ds_bpermute_b32 v2, v1, v10
	s_waitcnt lgkmcnt(0)
	v_add_f32_e32 v2, v10, v2
	ds_bpermute_b32 v3, v1, v13
	ds_bpermute_b32 v5, v1, v12
	;; [unrolled: 1-line block ×3, first 2 shown]
	s_waitcnt lgkmcnt(2)
	v_add_f32_e32 v3, v13, v3
	s_waitcnt lgkmcnt(1)
	v_add_f32_e32 v5, v12, v5
	;; [unrolled: 2-line block ×3, first 2 shown]
	v_xor_b32_e32 v11, 1, v0
	ds_bpermute_b32 v1, v6, v2
	ds_bpermute_b32 v8, v6, v3
	;; [unrolled: 1-line block ×3, first 2 shown]
	v_cmp_gt_i32_e32 vcc_lo, 32, v11
	v_cndmask_b32_e32 v0, v0, v11, vcc_lo
	ds_bpermute_b32 v6, v6, v7
	v_cmp_eq_u32_e32 vcc_lo, 7, v9
	s_waitcnt lgkmcnt(3)
	v_dual_add_f32 v0, v2, v1 :: v_dual_lshlrev_b32 v11, 2, v0
	s_waitcnt lgkmcnt(1)
	v_dual_add_f32 v1, v3, v8 :: v_dual_add_f32 v2, v5, v10
	ds_bpermute_b32 v5, v11, v0
	s_waitcnt lgkmcnt(1)
	v_add_f32_e32 v3, v7, v6
	ds_bpermute_b32 v6, v11, v1
	ds_bpermute_b32 v7, v11, v2
	;; [unrolled: 1-line block ×3, first 2 shown]
	s_and_b32 exec_lo, exec_lo, vcc_lo
	s_cbranch_execz .LBB21_23
; %bb.19:
	s_load_b64 s[0:1], s[0:1], 0x38
	s_waitcnt lgkmcnt(0)
	v_dual_add_f32 v0, v0, v5 :: v_dual_add_f32 v1, v1, v6
	v_dual_add_f32 v2, v2, v7 :: v_dual_add_f32 v3, v3, v8
	v_cmp_eq_f32_e64 s3, s12, 0
	s_delay_alu instid0(VALU_DEP_3) | instskip(NEXT) | instid1(VALU_DEP_3)
	v_dual_mul_f32 v0, s16, v0 :: v_dual_mul_f32 v1, s16, v1
	v_dual_mul_f32 v2, s16, v2 :: v_dual_mul_f32 v3, s16, v3
	v_lshlrev_b32_e32 v4, 2, v4
	s_delay_alu instid0(VALU_DEP_4)
	s_and_b32 vcc_lo, exec_lo, s3
	s_cbranch_vccz .LBB21_21
; %bb.20:
	s_delay_alu instid0(VALU_DEP_1) | instskip(SKIP_1) | instid1(VALU_DEP_1)
	v_ashrrev_i32_e32 v5, 31, v4
	s_mov_b32 s2, 0
	v_lshlrev_b64 v[5:6], 2, v[4:5]
	s_delay_alu instid0(VALU_DEP_1) | instskip(NEXT) | instid1(VALU_DEP_2)
	v_add_co_u32 v5, vcc_lo, s0, v5
	v_add_co_ci_u32_e32 v6, vcc_lo, s1, v6, vcc_lo
	global_store_b128 v[5:6], v[0:3], off
.LBB21_21:
	s_and_not1_b32 vcc_lo, exec_lo, s2
	s_cbranch_vccnz .LBB21_23
; %bb.22:
	v_ashrrev_i32_e32 v5, 31, v4
	s_delay_alu instid0(VALU_DEP_1) | instskip(NEXT) | instid1(VALU_DEP_1)
	v_lshlrev_b64 v[4:5], 2, v[4:5]
	v_add_co_u32 v8, vcc_lo, s0, v4
	s_delay_alu instid0(VALU_DEP_2)
	v_add_co_ci_u32_e32 v9, vcc_lo, s1, v5, vcc_lo
	global_load_b128 v[4:7], v[8:9], off
	s_waitcnt vmcnt(0)
	v_dual_fmac_f32 v0, s12, v4 :: v_dual_fmac_f32 v1, s12, v5
	v_dual_fmac_f32 v2, s12, v6 :: v_dual_fmac_f32 v3, s12, v7
	global_store_b128 v[8:9], v[0:3], off
.LBB21_23:
	s_nop 0
	s_sendmsg sendmsg(MSG_DEALLOC_VGPRS)
	s_endpgm
	.section	.rodata,"a",@progbits
	.p2align	6, 0x0
	.amdhsa_kernel _ZN9rocsparseL19gebsrmvn_4xn_kernelILj128ELj6ELj8EfEEvi20rocsparse_direction_NS_24const_host_device_scalarIT2_EEPKiS6_PKS3_S8_S4_PS3_21rocsparse_index_base_b
		.amdhsa_group_segment_fixed_size 0
		.amdhsa_private_segment_fixed_size 0
		.amdhsa_kernarg_size 72
		.amdhsa_user_sgpr_count 15
		.amdhsa_user_sgpr_dispatch_ptr 0
		.amdhsa_user_sgpr_queue_ptr 0
		.amdhsa_user_sgpr_kernarg_segment_ptr 1
		.amdhsa_user_sgpr_dispatch_id 0
		.amdhsa_user_sgpr_private_segment_size 0
		.amdhsa_wavefront_size32 1
		.amdhsa_uses_dynamic_stack 0
		.amdhsa_enable_private_segment 0
		.amdhsa_system_sgpr_workgroup_id_x 1
		.amdhsa_system_sgpr_workgroup_id_y 0
		.amdhsa_system_sgpr_workgroup_id_z 0
		.amdhsa_system_sgpr_workgroup_info 0
		.amdhsa_system_vgpr_workitem_id 0
		.amdhsa_next_free_vgpr 45
		.amdhsa_next_free_sgpr 20
		.amdhsa_reserve_vcc 1
		.amdhsa_float_round_mode_32 0
		.amdhsa_float_round_mode_16_64 0
		.amdhsa_float_denorm_mode_32 3
		.amdhsa_float_denorm_mode_16_64 3
		.amdhsa_dx10_clamp 1
		.amdhsa_ieee_mode 1
		.amdhsa_fp16_overflow 0
		.amdhsa_workgroup_processor_mode 1
		.amdhsa_memory_ordered 1
		.amdhsa_forward_progress 0
		.amdhsa_shared_vgpr_count 0
		.amdhsa_exception_fp_ieee_invalid_op 0
		.amdhsa_exception_fp_denorm_src 0
		.amdhsa_exception_fp_ieee_div_zero 0
		.amdhsa_exception_fp_ieee_overflow 0
		.amdhsa_exception_fp_ieee_underflow 0
		.amdhsa_exception_fp_ieee_inexact 0
		.amdhsa_exception_int_div_zero 0
	.end_amdhsa_kernel
	.section	.text._ZN9rocsparseL19gebsrmvn_4xn_kernelILj128ELj6ELj8EfEEvi20rocsparse_direction_NS_24const_host_device_scalarIT2_EEPKiS6_PKS3_S8_S4_PS3_21rocsparse_index_base_b,"axG",@progbits,_ZN9rocsparseL19gebsrmvn_4xn_kernelILj128ELj6ELj8EfEEvi20rocsparse_direction_NS_24const_host_device_scalarIT2_EEPKiS6_PKS3_S8_S4_PS3_21rocsparse_index_base_b,comdat
.Lfunc_end21:
	.size	_ZN9rocsparseL19gebsrmvn_4xn_kernelILj128ELj6ELj8EfEEvi20rocsparse_direction_NS_24const_host_device_scalarIT2_EEPKiS6_PKS3_S8_S4_PS3_21rocsparse_index_base_b, .Lfunc_end21-_ZN9rocsparseL19gebsrmvn_4xn_kernelILj128ELj6ELj8EfEEvi20rocsparse_direction_NS_24const_host_device_scalarIT2_EEPKiS6_PKS3_S8_S4_PS3_21rocsparse_index_base_b
                                        ; -- End function
	.section	.AMDGPU.csdata,"",@progbits
; Kernel info:
; codeLenInByte = 2320
; NumSgprs: 22
; NumVgprs: 45
; ScratchSize: 0
; MemoryBound: 0
; FloatMode: 240
; IeeeMode: 1
; LDSByteSize: 0 bytes/workgroup (compile time only)
; SGPRBlocks: 2
; VGPRBlocks: 5
; NumSGPRsForWavesPerEU: 22
; NumVGPRsForWavesPerEU: 45
; Occupancy: 16
; WaveLimiterHint : 1
; COMPUTE_PGM_RSRC2:SCRATCH_EN: 0
; COMPUTE_PGM_RSRC2:USER_SGPR: 15
; COMPUTE_PGM_RSRC2:TRAP_HANDLER: 0
; COMPUTE_PGM_RSRC2:TGID_X_EN: 1
; COMPUTE_PGM_RSRC2:TGID_Y_EN: 0
; COMPUTE_PGM_RSRC2:TGID_Z_EN: 0
; COMPUTE_PGM_RSRC2:TIDIG_COMP_CNT: 0
	.section	.text._ZN9rocsparseL19gebsrmvn_4xn_kernelILj128ELj6ELj16EfEEvi20rocsparse_direction_NS_24const_host_device_scalarIT2_EEPKiS6_PKS3_S8_S4_PS3_21rocsparse_index_base_b,"axG",@progbits,_ZN9rocsparseL19gebsrmvn_4xn_kernelILj128ELj6ELj16EfEEvi20rocsparse_direction_NS_24const_host_device_scalarIT2_EEPKiS6_PKS3_S8_S4_PS3_21rocsparse_index_base_b,comdat
	.globl	_ZN9rocsparseL19gebsrmvn_4xn_kernelILj128ELj6ELj16EfEEvi20rocsparse_direction_NS_24const_host_device_scalarIT2_EEPKiS6_PKS3_S8_S4_PS3_21rocsparse_index_base_b ; -- Begin function _ZN9rocsparseL19gebsrmvn_4xn_kernelILj128ELj6ELj16EfEEvi20rocsparse_direction_NS_24const_host_device_scalarIT2_EEPKiS6_PKS3_S8_S4_PS3_21rocsparse_index_base_b
	.p2align	8
	.type	_ZN9rocsparseL19gebsrmvn_4xn_kernelILj128ELj6ELj16EfEEvi20rocsparse_direction_NS_24const_host_device_scalarIT2_EEPKiS6_PKS3_S8_S4_PS3_21rocsparse_index_base_b,@function
_ZN9rocsparseL19gebsrmvn_4xn_kernelILj128ELj6ELj16EfEEvi20rocsparse_direction_NS_24const_host_device_scalarIT2_EEPKiS6_PKS3_S8_S4_PS3_21rocsparse_index_base_b: ; @_ZN9rocsparseL19gebsrmvn_4xn_kernelILj128ELj6ELj16EfEEvi20rocsparse_direction_NS_24const_host_device_scalarIT2_EEPKiS6_PKS3_S8_S4_PS3_21rocsparse_index_base_b
; %bb.0:
	s_clause 0x2
	s_load_b64 s[18:19], s[0:1], 0x40
	s_load_b64 s[16:17], s[0:1], 0x8
	;; [unrolled: 1-line block ×3, first 2 shown]
	s_waitcnt lgkmcnt(0)
	s_bitcmp1_b32 s19, 0
	s_cselect_b32 s2, -1, 0
	s_delay_alu instid0(SALU_CYCLE_1)
	s_and_b32 vcc_lo, exec_lo, s2
	s_xor_b32 s2, s2, -1
	s_cbranch_vccnz .LBB22_2
; %bb.1:
	s_load_b32 s16, s[16:17], 0x0
.LBB22_2:
	s_and_not1_b32 vcc_lo, exec_lo, s2
	s_cbranch_vccnz .LBB22_4
; %bb.3:
	s_load_b32 s12, s[12:13], 0x0
.LBB22_4:
	s_waitcnt lgkmcnt(0)
	v_cmp_eq_f32_e64 s2, s16, 0
	v_cmp_eq_f32_e64 s3, s12, 1.0
	s_delay_alu instid0(VALU_DEP_1) | instskip(NEXT) | instid1(SALU_CYCLE_1)
	s_and_b32 s2, s2, s3
	s_and_b32 vcc_lo, exec_lo, s2
	s_cbranch_vccnz .LBB22_23
; %bb.5:
	s_load_b64 s[2:3], s[0:1], 0x0
	v_lshrrev_b32_e32 v1, 4, v0
	s_delay_alu instid0(VALU_DEP_1) | instskip(SKIP_1) | instid1(VALU_DEP_1)
	v_lshl_or_b32 v4, s15, 3, v1
	s_waitcnt lgkmcnt(0)
	v_cmp_gt_i32_e32 vcc_lo, s2, v4
	s_and_saveexec_b32 s2, vcc_lo
	s_cbranch_execz .LBB22_23
; %bb.6:
	s_load_b256 s[4:11], s[0:1], 0x10
	v_ashrrev_i32_e32 v5, 31, v4
	v_and_b32_e32 v9, 15, v0
	s_cmp_lg_u32 s3, 0
	s_delay_alu instid0(VALU_DEP_2) | instskip(SKIP_1) | instid1(VALU_DEP_1)
	v_lshlrev_b64 v[1:2], 2, v[4:5]
	s_waitcnt lgkmcnt(0)
	v_add_co_u32 v1, vcc_lo, s4, v1
	s_delay_alu instid0(VALU_DEP_2) | instskip(SKIP_4) | instid1(VALU_DEP_2)
	v_add_co_ci_u32_e32 v2, vcc_lo, s5, v2, vcc_lo
	global_load_b64 v[1:2], v[1:2], off
	s_waitcnt vmcnt(0)
	v_subrev_nc_u32_e32 v0, s18, v1
	v_subrev_nc_u32_e32 v14, s18, v2
	v_add_nc_u32_e32 v0, v0, v9
	s_delay_alu instid0(VALU_DEP_1)
	v_cmp_lt_i32_e64 s2, v0, v14
	s_cbranch_scc0 .LBB22_12
; %bb.7:
	v_dual_mov_b32 v10, 0 :: v_dual_mov_b32 v11, 0
	v_dual_mov_b32 v12, 0 :: v_dual_mov_b32 v13, 0
	s_mov_b32 s3, 0
	s_and_saveexec_b32 s4, s2
	s_cbranch_execz .LBB22_11
; %bb.8:
	v_mad_u64_u32 v[1:2], null, v0, 24, 20
	v_dual_mov_b32 v6, 0 :: v_dual_mov_b32 v7, v0
	v_dual_mov_b32 v10, 0 :: v_dual_mov_b32 v11, 0
	;; [unrolled: 1-line block ×3, first 2 shown]
	s_mov_b32 s5, 0
.LBB22_9:                               ; =>This Inner Loop Header: Depth=1
	s_delay_alu instid0(VALU_DEP_3) | instskip(SKIP_1) | instid1(VALU_DEP_2)
	v_ashrrev_i32_e32 v8, 31, v7
	v_subrev_nc_u32_e32 v5, 20, v1
	v_lshlrev_b64 v[2:3], 2, v[7:8]
	s_delay_alu instid0(VALU_DEP_2) | instskip(SKIP_2) | instid1(VALU_DEP_4)
	v_lshlrev_b64 v[15:16], 2, v[5:6]
	v_add_nc_u32_e32 v7, 16, v7
	v_add_nc_u32_e32 v5, -12, v1
	v_add_co_u32 v2, vcc_lo, s6, v2
	v_add_co_ci_u32_e32 v3, vcc_lo, s7, v3, vcc_lo
	v_add_co_u32 v21, vcc_lo, s8, v15
	v_add_co_ci_u32_e32 v22, vcc_lo, s9, v16, vcc_lo
	global_load_b32 v8, v[2:3], off
	v_mov_b32_e32 v2, v6
	v_lshlrev_b64 v[19:20], 2, v[5:6]
	s_delay_alu instid0(VALU_DEP_2) | instskip(NEXT) | instid1(VALU_DEP_1)
	v_lshlrev_b64 v[17:18], 2, v[1:2]
	v_add_co_u32 v35, vcc_lo, s8, v17
	s_delay_alu instid0(VALU_DEP_2) | instskip(NEXT) | instid1(VALU_DEP_4)
	v_add_co_ci_u32_e32 v36, vcc_lo, s9, v18, vcc_lo
	v_add_co_u32 v23, vcc_lo, s8, v19
	v_add_co_ci_u32_e32 v24, vcc_lo, s9, v20, vcc_lo
	s_clause 0x2
	global_load_b128 v[15:18], v[21:22], off offset:16
	global_load_b128 v[19:22], v[21:22], off
	global_load_b128 v[23:26], v[23:24], off
	v_mov_b32_e32 v3, v6
	s_waitcnt vmcnt(3)
	v_subrev_nc_u32_e32 v2, s18, v8
	s_delay_alu instid0(VALU_DEP_1) | instskip(NEXT) | instid1(VALU_DEP_1)
	v_mul_lo_u32 v2, v2, 6
	v_lshlrev_b64 v[27:28], 2, v[2:3]
	s_delay_alu instid0(VALU_DEP_1) | instskip(NEXT) | instid1(VALU_DEP_2)
	v_add_co_u32 v27, vcc_lo, s10, v27
	v_add_co_ci_u32_e32 v28, vcc_lo, s11, v28, vcc_lo
	global_load_b64 v[39:40], v[27:28], off
	s_waitcnt vmcnt(0)
	v_dual_fmac_f32 v12, v21, v39 :: v_dual_add_nc_u32 v5, 2, v2
	s_delay_alu instid0(VALU_DEP_1) | instskip(SKIP_1) | instid1(VALU_DEP_3)
	v_lshlrev_b64 v[29:30], 2, v[5:6]
	v_dual_fmac_f32 v10, v19, v39 :: v_dual_add_nc_u32 v5, -8, v1
	v_fmac_f32_e32 v12, v17, v40
	s_delay_alu instid0(VALU_DEP_2) | instskip(NEXT) | instid1(VALU_DEP_4)
	v_fmac_f32_e32 v10, v15, v40
	v_add_co_u32 v27, vcc_lo, s10, v29
	v_add_co_ci_u32_e32 v28, vcc_lo, s11, v30, vcc_lo
	v_lshlrev_b64 v[31:32], 2, v[5:6]
	v_add_nc_u32_e32 v5, -4, v1
	v_add_nc_u32_e32 v1, 0x180, v1
	global_load_b64 v[41:42], v[27:28], off
	v_fmac_f32_e32 v13, v20, v39
	v_lshlrev_b64 v[33:34], 2, v[5:6]
	v_add_nc_u32_e32 v5, 4, v2
	v_add_co_u32 v2, vcc_lo, s8, v31
	v_add_co_ci_u32_e32 v3, vcc_lo, s9, v32, vcc_lo
	global_load_b128 v[27:30], v[2:3], off
	v_add_co_u32 v2, vcc_lo, s8, v33
	v_add_co_ci_u32_e32 v3, vcc_lo, s9, v34, vcc_lo
	s_waitcnt vmcnt(1)
	v_fmac_f32_e32 v10, v23, v41
	v_lshlrev_b64 v[31:32], 2, v[5:6]
	v_dual_fmac_f32 v11, v22, v39 :: v_dual_fmac_f32 v12, v25, v41
	v_fmac_f32_e32 v13, v16, v40
	s_delay_alu instid0(VALU_DEP_3) | instskip(NEXT) | instid1(VALU_DEP_4)
	v_add_co_u32 v37, vcc_lo, s10, v31
	v_add_co_ci_u32_e32 v38, vcc_lo, s11, v32, vcc_lo
	global_load_b128 v[31:34], v[2:3], off
	global_load_b64 v[2:3], v[37:38], off
	global_load_b128 v[35:38], v[35:36], off
	s_waitcnt vmcnt(3)
	v_fmac_f32_e32 v12, v29, v42
	v_dual_fmac_f32 v10, v27, v42 :: v_dual_fmac_f32 v11, v18, v40
	v_fmac_f32_e32 v13, v24, v41
	v_cmp_ge_i32_e32 vcc_lo, v7, v14
	s_or_b32 s5, vcc_lo, s5
	s_waitcnt vmcnt(1)
	v_fmac_f32_e32 v12, v33, v2
	v_dual_fmac_f32 v10, v31, v2 :: v_dual_fmac_f32 v11, v26, v41
	s_waitcnt vmcnt(0)
	s_delay_alu instid0(VALU_DEP_2) | instskip(NEXT) | instid1(VALU_DEP_2)
	v_dual_fmac_f32 v13, v28, v42 :: v_dual_fmac_f32 v12, v37, v3
	v_dual_fmac_f32 v10, v35, v3 :: v_dual_fmac_f32 v11, v30, v42
	s_delay_alu instid0(VALU_DEP_2) | instskip(NEXT) | instid1(VALU_DEP_2)
	v_fmac_f32_e32 v13, v32, v2
	v_fmac_f32_e32 v11, v34, v2
	s_delay_alu instid0(VALU_DEP_2) | instskip(NEXT) | instid1(VALU_DEP_2)
	v_fmac_f32_e32 v13, v36, v3
	v_fmac_f32_e32 v11, v38, v3
	s_and_not1_b32 exec_lo, exec_lo, s5
	s_cbranch_execnz .LBB22_9
; %bb.10:
	s_or_b32 exec_lo, exec_lo, s5
.LBB22_11:
	s_delay_alu instid0(SALU_CYCLE_1) | instskip(NEXT) | instid1(SALU_CYCLE_1)
	s_or_b32 exec_lo, exec_lo, s4
	s_and_not1_b32 vcc_lo, exec_lo, s3
	s_cbranch_vccz .LBB22_13
	s_branch .LBB22_18
.LBB22_12:
                                        ; implicit-def: $vgpr10
                                        ; implicit-def: $vgpr11
                                        ; implicit-def: $vgpr12
                                        ; implicit-def: $vgpr13
.LBB22_13:
	v_dual_mov_b32 v10, 0 :: v_dual_mov_b32 v11, 0
	v_dual_mov_b32 v12, 0 :: v_dual_mov_b32 v13, 0
	s_delay_alu instid0(VALU_DEP_3)
	s_and_saveexec_b32 s3, s2
	s_cbranch_execz .LBB22_17
; %bb.14:
	v_mad_u64_u32 v[2:3], null, v0, 24, 23
	v_dual_mov_b32 v6, 0 :: v_dual_mov_b32 v11, 0
	v_dual_mov_b32 v10, 0 :: v_dual_mov_b32 v13, 0
	v_mov_b32_e32 v12, 0
	s_mov_b32 s2, 0
.LBB22_15:                              ; =>This Inner Loop Header: Depth=1
	v_ashrrev_i32_e32 v1, 31, v0
	v_subrev_nc_u32_e32 v5, 23, v2
	v_dual_mov_b32 v16, v6 :: v_dual_add_nc_u32 v15, -5, v2
	v_mov_b32_e32 v3, v6
	s_delay_alu instid0(VALU_DEP_4) | instskip(NEXT) | instid1(VALU_DEP_4)
	v_lshlrev_b64 v[7:8], 2, v[0:1]
	v_lshlrev_b64 v[17:18], 2, v[5:6]
	v_dual_mov_b32 v24, v6 :: v_dual_add_nc_u32 v5, -10, v2
	s_delay_alu instid0(VALU_DEP_4)
	v_lshlrev_b64 v[19:20], 2, v[2:3]
	v_add_nc_u32_e32 v0, 16, v0
	v_add_co_u32 v7, vcc_lo, s6, v7
	v_add_co_ci_u32_e32 v8, vcc_lo, s7, v8, vcc_lo
	v_add_co_u32 v21, vcc_lo, s8, v17
	v_add_co_ci_u32_e32 v22, vcc_lo, s9, v18, vcc_lo
	global_load_b32 v1, v[7:8], off
	v_dual_mov_b32 v8, v6 :: v_dual_add_nc_u32 v7, -11, v2
	v_lshlrev_b64 v[15:16], 2, v[15:16]
	v_lshlrev_b64 v[25:26], 2, v[5:6]
	s_delay_alu instid0(VALU_DEP_3) | instskip(NEXT) | instid1(VALU_DEP_1)
	v_lshlrev_b64 v[7:8], 2, v[7:8]
	v_add_co_u32 v7, vcc_lo, s8, v7
	s_delay_alu instid0(VALU_DEP_2)
	v_add_co_ci_u32_e32 v8, vcc_lo, s9, v8, vcc_lo
	v_add_co_u32 v27, vcc_lo, s8, v15
	v_add_co_ci_u32_e32 v28, vcc_lo, s9, v16, vcc_lo
	v_add_co_u32 v29, vcc_lo, s8, v19
	v_add_co_ci_u32_e32 v30, vcc_lo, s9, v20, vcc_lo
	s_clause 0x3
	global_load_b128 v[15:18], v[21:22], off offset:16
	global_load_b128 v[19:22], v[21:22], off
	global_load_b32 v3, v[7:8], off
	global_load_b32 v28, v[27:28], off
	v_add_nc_u32_e32 v5, -4, v2
	v_add_co_u32 v7, vcc_lo, s8, v25
	v_add_co_ci_u32_e32 v8, vcc_lo, s9, v26, vcc_lo
	s_delay_alu instid0(VALU_DEP_3) | instskip(NEXT) | instid1(VALU_DEP_1)
	v_lshlrev_b64 v[31:32], 2, v[5:6]
	v_add_co_u32 v25, vcc_lo, s8, v31
	s_delay_alu instid0(VALU_DEP_2)
	v_add_co_ci_u32_e32 v26, vcc_lo, s9, v32, vcc_lo
	s_clause 0x1
	global_load_b32 v37, v[7:8], off
	global_load_b32 v38, v[25:26], off
	s_waitcnt vmcnt(6)
	v_subrev_nc_u32_e32 v1, s18, v1
	s_delay_alu instid0(VALU_DEP_1) | instskip(NEXT) | instid1(VALU_DEP_1)
	v_mul_lo_u32 v23, v1, 6
	v_lshlrev_b64 v[7:8], 2, v[23:24]
	s_delay_alu instid0(VALU_DEP_1) | instskip(NEXT) | instid1(VALU_DEP_2)
	v_add_co_u32 v7, vcc_lo, s10, v7
	v_add_co_ci_u32_e32 v8, vcc_lo, s11, v8, vcc_lo
	global_load_b64 v[7:8], v[7:8], off
	v_add_nc_u32_e32 v5, 2, v23
	s_delay_alu instid0(VALU_DEP_1) | instskip(NEXT) | instid1(VALU_DEP_1)
	v_lshlrev_b64 v[24:25], 2, v[5:6]
	v_add_co_u32 v24, vcc_lo, s10, v24
	s_delay_alu instid0(VALU_DEP_2)
	v_add_co_ci_u32_e32 v25, vcc_lo, s11, v25, vcc_lo
	global_load_b64 v[24:25], v[24:25], off
	s_waitcnt vmcnt(1)
	v_fmac_f32_e32 v10, v19, v7
	v_dual_fmac_f32 v12, v3, v7 :: v_dual_add_nc_u32 v5, -15, v2
	v_fmac_f32_e32 v13, v17, v7
	v_fmac_f32_e32 v11, v28, v7
	s_delay_alu instid0(VALU_DEP_4) | instskip(NEXT) | instid1(VALU_DEP_4)
	v_fmac_f32_e32 v10, v20, v8
	v_fmac_f32_e32 v12, v37, v8
	v_lshlrev_b64 v[26:27], 2, v[5:6]
	v_add_nc_u32_e32 v5, -9, v2
	v_fmac_f32_e32 v13, v18, v8
	s_delay_alu instid0(VALU_DEP_3) | instskip(NEXT) | instid1(VALU_DEP_4)
	v_add_co_u32 v26, vcc_lo, s8, v26
	v_add_co_ci_u32_e32 v27, vcc_lo, s9, v27, vcc_lo
	s_waitcnt vmcnt(0)
	v_fmac_f32_e32 v10, v21, v24
	v_lshlrev_b64 v[31:32], 2, v[5:6]
	global_load_b32 v1, v[26:27], off
	v_fmac_f32_e32 v10, v22, v25
	v_add_co_u32 v31, vcc_lo, s8, v31
	v_add_co_ci_u32_e32 v32, vcc_lo, s9, v32, vcc_lo
	global_load_b32 v39, v[31:32], off
	v_add_nc_u32_e32 v5, -3, v2
	s_waitcnt vmcnt(1)
	v_fmac_f32_e32 v13, v1, v24
	s_waitcnt vmcnt(0)
	v_fmac_f32_e32 v12, v39, v24
	v_lshlrev_b64 v[33:34], 2, v[5:6]
	v_add_nc_u32_e32 v5, -14, v2
	s_delay_alu instid0(VALU_DEP_1) | instskip(SKIP_1) | instid1(VALU_DEP_4)
	v_lshlrev_b64 v[26:27], 2, v[5:6]
	v_add_nc_u32_e32 v5, -8, v2
	v_add_co_u32 v31, vcc_lo, s8, v33
	v_add_co_ci_u32_e32 v32, vcc_lo, s9, v34, vcc_lo
	s_delay_alu instid0(VALU_DEP_4) | instskip(NEXT) | instid1(VALU_DEP_4)
	v_add_co_u32 v26, vcc_lo, s8, v26
	v_lshlrev_b64 v[33:34], 2, v[5:6]
	v_add_nc_u32_e32 v5, -2, v2
	v_add_co_ci_u32_e32 v27, vcc_lo, s9, v27, vcc_lo
	global_load_b32 v40, v[31:32], off
	v_lshlrev_b64 v[31:32], 2, v[5:6]
	v_add_nc_u32_e32 v5, 4, v23
	global_load_b32 v23, v[26:27], off
	v_add_co_u32 v26, vcc_lo, s8, v33
	v_add_co_ci_u32_e32 v27, vcc_lo, s9, v34, vcc_lo
	v_add_co_u32 v31, vcc_lo, s8, v31
	v_lshlrev_b64 v[33:34], 2, v[5:6]
	global_load_b32 v41, v[26:27], off
	v_add_co_ci_u32_e32 v32, vcc_lo, s9, v32, vcc_lo
	global_load_b32 v42, v[31:32], off
	v_add_co_u32 v31, vcc_lo, s10, v33
	v_add_co_ci_u32_e32 v32, vcc_lo, s11, v34, vcc_lo
	global_load_b64 v[31:32], v[31:32], off
	s_waitcnt vmcnt(3)
	v_fmac_f32_e32 v13, v23, v25
	s_waitcnt vmcnt(2)
	v_dual_fmac_f32 v12, v41, v25 :: v_dual_add_nc_u32 v5, -13, v2
	s_delay_alu instid0(VALU_DEP_1) | instskip(SKIP_1) | instid1(VALU_DEP_1)
	v_lshlrev_b64 v[26:27], 2, v[5:6]
	v_add_nc_u32_e32 v5, -7, v2
	v_lshlrev_b64 v[33:34], 2, v[5:6]
	v_add_nc_u32_e32 v5, -1, v2
	s_delay_alu instid0(VALU_DEP_4) | instskip(SKIP_1) | instid1(VALU_DEP_3)
	v_add_co_u32 v26, vcc_lo, s8, v26
	v_add_co_ci_u32_e32 v27, vcc_lo, s9, v27, vcc_lo
	v_lshlrev_b64 v[35:36], 2, v[5:6]
	s_waitcnt vmcnt(0)
	v_dual_fmac_f32 v10, v15, v31 :: v_dual_add_nc_u32 v5, -12, v2
	global_load_b32 v43, v[26:27], off
	v_add_co_u32 v26, vcc_lo, s8, v33
	v_add_co_ci_u32_e32 v27, vcc_lo, s9, v34, vcc_lo
	v_lshlrev_b64 v[33:34], 2, v[5:6]
	v_add_nc_u32_e32 v5, -6, v2
	v_add_co_u32 v35, vcc_lo, s8, v35
	global_load_b32 v44, v[26:27], off
	v_add_co_ci_u32_e32 v36, vcc_lo, s9, v36, vcc_lo
	v_lshlrev_b64 v[26:27], 2, v[5:6]
	v_add_co_u32 v33, vcc_lo, s8, v33
	v_add_co_ci_u32_e32 v34, vcc_lo, s9, v34, vcc_lo
	global_load_b32 v5, v[35:36], off
	v_add_co_u32 v26, vcc_lo, s8, v26
	v_add_co_ci_u32_e32 v27, vcc_lo, s9, v27, vcc_lo
	s_clause 0x2
	global_load_b32 v33, v[33:34], off
	global_load_b32 v26, v[26:27], off
	;; [unrolled: 1-line block ×3, first 2 shown]
	v_dual_fmac_f32 v11, v38, v8 :: v_dual_add_nc_u32 v2, 0x180, v2
	v_cmp_ge_i32_e32 vcc_lo, v0, v14
	v_fmac_f32_e32 v10, v16, v32
	s_delay_alu instid0(VALU_DEP_3) | instskip(SKIP_1) | instid1(VALU_DEP_1)
	v_fmac_f32_e32 v11, v40, v24
	s_or_b32 s2, vcc_lo, s2
	v_fmac_f32_e32 v11, v42, v25
	s_waitcnt vmcnt(5)
	v_fmac_f32_e32 v13, v43, v31
	s_waitcnt vmcnt(4)
	;; [unrolled: 2-line block ×6, first 2 shown]
	v_fmac_f32_e32 v11, v27, v32
	s_and_not1_b32 exec_lo, exec_lo, s2
	s_cbranch_execnz .LBB22_15
; %bb.16:
	s_or_b32 exec_lo, exec_lo, s2
.LBB22_17:
	s_delay_alu instid0(SALU_CYCLE_1)
	s_or_b32 exec_lo, exec_lo, s3
.LBB22_18:
	v_mbcnt_lo_u32_b32 v0, -1, 0
	s_mov_b32 s2, -1
	s_delay_alu instid0(VALU_DEP_1) | instskip(SKIP_1) | instid1(VALU_DEP_2)
	v_xor_b32_e32 v1, 8, v0
	v_xor_b32_e32 v6, 4, v0
	v_cmp_gt_i32_e32 vcc_lo, 32, v1
	v_cndmask_b32_e32 v1, v0, v1, vcc_lo
	s_delay_alu instid0(VALU_DEP_3) | instskip(SKIP_1) | instid1(VALU_DEP_1)
	v_cmp_gt_i32_e32 vcc_lo, 32, v6
	v_cndmask_b32_e32 v6, v0, v6, vcc_lo
	v_lshlrev_b32_e32 v6, 2, v6
	s_delay_alu instid0(VALU_DEP_4)
	v_lshlrev_b32_e32 v1, 2, v1
	ds_bpermute_b32 v2, v1, v10
	s_waitcnt lgkmcnt(0)
	v_add_f32_e32 v2, v10, v2
	ds_bpermute_b32 v3, v1, v13
	ds_bpermute_b32 v5, v1, v12
	;; [unrolled: 1-line block ×4, first 2 shown]
	s_waitcnt lgkmcnt(3)
	v_add_f32_e32 v3, v13, v3
	s_waitcnt lgkmcnt(2)
	v_add_f32_e32 v5, v12, v5
	;; [unrolled: 2-line block ×3, first 2 shown]
	v_xor_b32_e32 v11, 2, v0
	s_waitcnt lgkmcnt(0)
	v_add_f32_e32 v2, v2, v7
	ds_bpermute_b32 v8, v6, v3
	ds_bpermute_b32 v10, v6, v5
	;; [unrolled: 1-line block ×3, first 2 shown]
	v_cmp_gt_i32_e32 vcc_lo, 32, v11
	v_cndmask_b32_e32 v11, v0, v11, vcc_lo
	s_waitcnt lgkmcnt(2)
	v_add_f32_e32 v3, v3, v8
	s_waitcnt lgkmcnt(1)
	v_add_f32_e32 v5, v5, v10
	s_waitcnt lgkmcnt(0)
	v_dual_add_f32 v6, v1, v6 :: v_dual_lshlrev_b32 v11, 2, v11
	ds_bpermute_b32 v1, v11, v2
	ds_bpermute_b32 v7, v11, v3
	;; [unrolled: 1-line block ×4, first 2 shown]
	v_xor_b32_e32 v11, 1, v0
	s_delay_alu instid0(VALU_DEP_1) | instskip(SKIP_3) | instid1(VALU_DEP_2)
	v_cmp_gt_i32_e32 vcc_lo, 32, v11
	v_cndmask_b32_e32 v0, v0, v11, vcc_lo
	v_cmp_eq_u32_e32 vcc_lo, 15, v9
	s_waitcnt lgkmcnt(3)
	v_dual_add_f32 v0, v2, v1 :: v_dual_lshlrev_b32 v11, 2, v0
	s_waitcnt lgkmcnt(1)
	v_dual_add_f32 v1, v3, v7 :: v_dual_add_f32 v2, v5, v8
	s_waitcnt lgkmcnt(0)
	v_add_f32_e32 v3, v6, v10
	ds_bpermute_b32 v5, v11, v0
	ds_bpermute_b32 v6, v11, v1
	;; [unrolled: 1-line block ×4, first 2 shown]
	s_and_b32 exec_lo, exec_lo, vcc_lo
	s_cbranch_execz .LBB22_23
; %bb.19:
	s_load_b64 s[0:1], s[0:1], 0x38
	s_waitcnt lgkmcnt(0)
	v_dual_add_f32 v0, v0, v5 :: v_dual_add_f32 v1, v1, v6
	v_dual_add_f32 v2, v2, v7 :: v_dual_add_f32 v3, v3, v8
	v_cmp_eq_f32_e64 s3, s12, 0
	s_delay_alu instid0(VALU_DEP_3) | instskip(NEXT) | instid1(VALU_DEP_3)
	v_dual_mul_f32 v0, s16, v0 :: v_dual_mul_f32 v1, s16, v1
	v_dual_mul_f32 v2, s16, v2 :: v_dual_mul_f32 v3, s16, v3
	v_lshlrev_b32_e32 v4, 2, v4
	s_delay_alu instid0(VALU_DEP_4)
	s_and_b32 vcc_lo, exec_lo, s3
	s_cbranch_vccz .LBB22_21
; %bb.20:
	s_delay_alu instid0(VALU_DEP_1) | instskip(SKIP_1) | instid1(VALU_DEP_1)
	v_ashrrev_i32_e32 v5, 31, v4
	s_mov_b32 s2, 0
	v_lshlrev_b64 v[5:6], 2, v[4:5]
	s_delay_alu instid0(VALU_DEP_1) | instskip(NEXT) | instid1(VALU_DEP_2)
	v_add_co_u32 v5, vcc_lo, s0, v5
	v_add_co_ci_u32_e32 v6, vcc_lo, s1, v6, vcc_lo
	global_store_b128 v[5:6], v[0:3], off
.LBB22_21:
	s_and_not1_b32 vcc_lo, exec_lo, s2
	s_cbranch_vccnz .LBB22_23
; %bb.22:
	v_ashrrev_i32_e32 v5, 31, v4
	s_delay_alu instid0(VALU_DEP_1) | instskip(NEXT) | instid1(VALU_DEP_1)
	v_lshlrev_b64 v[4:5], 2, v[4:5]
	v_add_co_u32 v8, vcc_lo, s0, v4
	s_delay_alu instid0(VALU_DEP_2)
	v_add_co_ci_u32_e32 v9, vcc_lo, s1, v5, vcc_lo
	global_load_b128 v[4:7], v[8:9], off
	s_waitcnt vmcnt(0)
	v_dual_fmac_f32 v0, s12, v4 :: v_dual_fmac_f32 v1, s12, v5
	v_dual_fmac_f32 v2, s12, v6 :: v_dual_fmac_f32 v3, s12, v7
	global_store_b128 v[8:9], v[0:3], off
.LBB22_23:
	s_nop 0
	s_sendmsg sendmsg(MSG_DEALLOC_VGPRS)
	s_endpgm
	.section	.rodata,"a",@progbits
	.p2align	6, 0x0
	.amdhsa_kernel _ZN9rocsparseL19gebsrmvn_4xn_kernelILj128ELj6ELj16EfEEvi20rocsparse_direction_NS_24const_host_device_scalarIT2_EEPKiS6_PKS3_S8_S4_PS3_21rocsparse_index_base_b
		.amdhsa_group_segment_fixed_size 0
		.amdhsa_private_segment_fixed_size 0
		.amdhsa_kernarg_size 72
		.amdhsa_user_sgpr_count 15
		.amdhsa_user_sgpr_dispatch_ptr 0
		.amdhsa_user_sgpr_queue_ptr 0
		.amdhsa_user_sgpr_kernarg_segment_ptr 1
		.amdhsa_user_sgpr_dispatch_id 0
		.amdhsa_user_sgpr_private_segment_size 0
		.amdhsa_wavefront_size32 1
		.amdhsa_uses_dynamic_stack 0
		.amdhsa_enable_private_segment 0
		.amdhsa_system_sgpr_workgroup_id_x 1
		.amdhsa_system_sgpr_workgroup_id_y 0
		.amdhsa_system_sgpr_workgroup_id_z 0
		.amdhsa_system_sgpr_workgroup_info 0
		.amdhsa_system_vgpr_workitem_id 0
		.amdhsa_next_free_vgpr 45
		.amdhsa_next_free_sgpr 20
		.amdhsa_reserve_vcc 1
		.amdhsa_float_round_mode_32 0
		.amdhsa_float_round_mode_16_64 0
		.amdhsa_float_denorm_mode_32 3
		.amdhsa_float_denorm_mode_16_64 3
		.amdhsa_dx10_clamp 1
		.amdhsa_ieee_mode 1
		.amdhsa_fp16_overflow 0
		.amdhsa_workgroup_processor_mode 1
		.amdhsa_memory_ordered 1
		.amdhsa_forward_progress 0
		.amdhsa_shared_vgpr_count 0
		.amdhsa_exception_fp_ieee_invalid_op 0
		.amdhsa_exception_fp_denorm_src 0
		.amdhsa_exception_fp_ieee_div_zero 0
		.amdhsa_exception_fp_ieee_overflow 0
		.amdhsa_exception_fp_ieee_underflow 0
		.amdhsa_exception_fp_ieee_inexact 0
		.amdhsa_exception_int_div_zero 0
	.end_amdhsa_kernel
	.section	.text._ZN9rocsparseL19gebsrmvn_4xn_kernelILj128ELj6ELj16EfEEvi20rocsparse_direction_NS_24const_host_device_scalarIT2_EEPKiS6_PKS3_S8_S4_PS3_21rocsparse_index_base_b,"axG",@progbits,_ZN9rocsparseL19gebsrmvn_4xn_kernelILj128ELj6ELj16EfEEvi20rocsparse_direction_NS_24const_host_device_scalarIT2_EEPKiS6_PKS3_S8_S4_PS3_21rocsparse_index_base_b,comdat
.Lfunc_end22:
	.size	_ZN9rocsparseL19gebsrmvn_4xn_kernelILj128ELj6ELj16EfEEvi20rocsparse_direction_NS_24const_host_device_scalarIT2_EEPKiS6_PKS3_S8_S4_PS3_21rocsparse_index_base_b, .Lfunc_end22-_ZN9rocsparseL19gebsrmvn_4xn_kernelILj128ELj6ELj16EfEEvi20rocsparse_direction_NS_24const_host_device_scalarIT2_EEPKiS6_PKS3_S8_S4_PS3_21rocsparse_index_base_b
                                        ; -- End function
	.section	.AMDGPU.csdata,"",@progbits
; Kernel info:
; codeLenInByte = 2404
; NumSgprs: 22
; NumVgprs: 45
; ScratchSize: 0
; MemoryBound: 0
; FloatMode: 240
; IeeeMode: 1
; LDSByteSize: 0 bytes/workgroup (compile time only)
; SGPRBlocks: 2
; VGPRBlocks: 5
; NumSGPRsForWavesPerEU: 22
; NumVGPRsForWavesPerEU: 45
; Occupancy: 16
; WaveLimiterHint : 1
; COMPUTE_PGM_RSRC2:SCRATCH_EN: 0
; COMPUTE_PGM_RSRC2:USER_SGPR: 15
; COMPUTE_PGM_RSRC2:TRAP_HANDLER: 0
; COMPUTE_PGM_RSRC2:TGID_X_EN: 1
; COMPUTE_PGM_RSRC2:TGID_Y_EN: 0
; COMPUTE_PGM_RSRC2:TGID_Z_EN: 0
; COMPUTE_PGM_RSRC2:TIDIG_COMP_CNT: 0
	.section	.text._ZN9rocsparseL19gebsrmvn_4xn_kernelILj128ELj6ELj32EfEEvi20rocsparse_direction_NS_24const_host_device_scalarIT2_EEPKiS6_PKS3_S8_S4_PS3_21rocsparse_index_base_b,"axG",@progbits,_ZN9rocsparseL19gebsrmvn_4xn_kernelILj128ELj6ELj32EfEEvi20rocsparse_direction_NS_24const_host_device_scalarIT2_EEPKiS6_PKS3_S8_S4_PS3_21rocsparse_index_base_b,comdat
	.globl	_ZN9rocsparseL19gebsrmvn_4xn_kernelILj128ELj6ELj32EfEEvi20rocsparse_direction_NS_24const_host_device_scalarIT2_EEPKiS6_PKS3_S8_S4_PS3_21rocsparse_index_base_b ; -- Begin function _ZN9rocsparseL19gebsrmvn_4xn_kernelILj128ELj6ELj32EfEEvi20rocsparse_direction_NS_24const_host_device_scalarIT2_EEPKiS6_PKS3_S8_S4_PS3_21rocsparse_index_base_b
	.p2align	8
	.type	_ZN9rocsparseL19gebsrmvn_4xn_kernelILj128ELj6ELj32EfEEvi20rocsparse_direction_NS_24const_host_device_scalarIT2_EEPKiS6_PKS3_S8_S4_PS3_21rocsparse_index_base_b,@function
_ZN9rocsparseL19gebsrmvn_4xn_kernelILj128ELj6ELj32EfEEvi20rocsparse_direction_NS_24const_host_device_scalarIT2_EEPKiS6_PKS3_S8_S4_PS3_21rocsparse_index_base_b: ; @_ZN9rocsparseL19gebsrmvn_4xn_kernelILj128ELj6ELj32EfEEvi20rocsparse_direction_NS_24const_host_device_scalarIT2_EEPKiS6_PKS3_S8_S4_PS3_21rocsparse_index_base_b
; %bb.0:
	s_clause 0x2
	s_load_b64 s[18:19], s[0:1], 0x40
	s_load_b64 s[16:17], s[0:1], 0x8
	;; [unrolled: 1-line block ×3, first 2 shown]
	s_waitcnt lgkmcnt(0)
	s_bitcmp1_b32 s19, 0
	s_cselect_b32 s2, -1, 0
	s_delay_alu instid0(SALU_CYCLE_1)
	s_and_b32 vcc_lo, exec_lo, s2
	s_xor_b32 s2, s2, -1
	s_cbranch_vccnz .LBB23_2
; %bb.1:
	s_load_b32 s16, s[16:17], 0x0
.LBB23_2:
	s_and_not1_b32 vcc_lo, exec_lo, s2
	s_cbranch_vccnz .LBB23_4
; %bb.3:
	s_load_b32 s12, s[12:13], 0x0
.LBB23_4:
	s_waitcnt lgkmcnt(0)
	v_cmp_eq_f32_e64 s2, s16, 0
	v_cmp_eq_f32_e64 s3, s12, 1.0
	s_delay_alu instid0(VALU_DEP_1) | instskip(NEXT) | instid1(SALU_CYCLE_1)
	s_and_b32 s2, s2, s3
	s_and_b32 vcc_lo, exec_lo, s2
	s_cbranch_vccnz .LBB23_23
; %bb.5:
	s_load_b64 s[2:3], s[0:1], 0x0
	v_lshrrev_b32_e32 v1, 5, v0
	s_delay_alu instid0(VALU_DEP_1) | instskip(SKIP_1) | instid1(VALU_DEP_1)
	v_lshl_or_b32 v4, s15, 2, v1
	s_waitcnt lgkmcnt(0)
	v_cmp_gt_i32_e32 vcc_lo, s2, v4
	s_and_saveexec_b32 s2, vcc_lo
	s_cbranch_execz .LBB23_23
; %bb.6:
	s_load_b256 s[4:11], s[0:1], 0x10
	v_ashrrev_i32_e32 v5, 31, v4
	v_and_b32_e32 v9, 31, v0
	s_cmp_lg_u32 s3, 0
	s_delay_alu instid0(VALU_DEP_2) | instskip(SKIP_1) | instid1(VALU_DEP_1)
	v_lshlrev_b64 v[1:2], 2, v[4:5]
	s_waitcnt lgkmcnt(0)
	v_add_co_u32 v1, vcc_lo, s4, v1
	s_delay_alu instid0(VALU_DEP_2) | instskip(SKIP_4) | instid1(VALU_DEP_2)
	v_add_co_ci_u32_e32 v2, vcc_lo, s5, v2, vcc_lo
	global_load_b64 v[1:2], v[1:2], off
	s_waitcnt vmcnt(0)
	v_subrev_nc_u32_e32 v0, s18, v1
	v_subrev_nc_u32_e32 v14, s18, v2
	v_add_nc_u32_e32 v0, v0, v9
	s_delay_alu instid0(VALU_DEP_1)
	v_cmp_lt_i32_e64 s2, v0, v14
	s_cbranch_scc0 .LBB23_12
; %bb.7:
	v_dual_mov_b32 v10, 0 :: v_dual_mov_b32 v11, 0
	v_dual_mov_b32 v12, 0 :: v_dual_mov_b32 v13, 0
	s_mov_b32 s3, 0
	s_and_saveexec_b32 s4, s2
	s_cbranch_execz .LBB23_11
; %bb.8:
	v_mad_u64_u32 v[1:2], null, v0, 24, 20
	v_dual_mov_b32 v6, 0 :: v_dual_mov_b32 v7, v0
	v_dual_mov_b32 v10, 0 :: v_dual_mov_b32 v11, 0
	;; [unrolled: 1-line block ×3, first 2 shown]
	s_mov_b32 s5, 0
.LBB23_9:                               ; =>This Inner Loop Header: Depth=1
	s_delay_alu instid0(VALU_DEP_3) | instskip(SKIP_1) | instid1(VALU_DEP_2)
	v_ashrrev_i32_e32 v8, 31, v7
	v_subrev_nc_u32_e32 v5, 20, v1
	v_lshlrev_b64 v[2:3], 2, v[7:8]
	s_delay_alu instid0(VALU_DEP_2) | instskip(SKIP_2) | instid1(VALU_DEP_4)
	v_lshlrev_b64 v[15:16], 2, v[5:6]
	v_add_nc_u32_e32 v7, 32, v7
	v_add_nc_u32_e32 v5, -12, v1
	v_add_co_u32 v2, vcc_lo, s6, v2
	v_add_co_ci_u32_e32 v3, vcc_lo, s7, v3, vcc_lo
	v_add_co_u32 v21, vcc_lo, s8, v15
	v_add_co_ci_u32_e32 v22, vcc_lo, s9, v16, vcc_lo
	global_load_b32 v8, v[2:3], off
	v_mov_b32_e32 v2, v6
	v_lshlrev_b64 v[19:20], 2, v[5:6]
	s_delay_alu instid0(VALU_DEP_2) | instskip(NEXT) | instid1(VALU_DEP_1)
	v_lshlrev_b64 v[17:18], 2, v[1:2]
	v_add_co_u32 v35, vcc_lo, s8, v17
	s_delay_alu instid0(VALU_DEP_2) | instskip(NEXT) | instid1(VALU_DEP_4)
	v_add_co_ci_u32_e32 v36, vcc_lo, s9, v18, vcc_lo
	v_add_co_u32 v23, vcc_lo, s8, v19
	v_add_co_ci_u32_e32 v24, vcc_lo, s9, v20, vcc_lo
	s_clause 0x2
	global_load_b128 v[15:18], v[21:22], off offset:16
	global_load_b128 v[19:22], v[21:22], off
	global_load_b128 v[23:26], v[23:24], off
	v_mov_b32_e32 v3, v6
	s_waitcnt vmcnt(3)
	v_subrev_nc_u32_e32 v2, s18, v8
	s_delay_alu instid0(VALU_DEP_1) | instskip(NEXT) | instid1(VALU_DEP_1)
	v_mul_lo_u32 v2, v2, 6
	v_lshlrev_b64 v[27:28], 2, v[2:3]
	s_delay_alu instid0(VALU_DEP_1) | instskip(NEXT) | instid1(VALU_DEP_2)
	v_add_co_u32 v27, vcc_lo, s10, v27
	v_add_co_ci_u32_e32 v28, vcc_lo, s11, v28, vcc_lo
	global_load_b64 v[39:40], v[27:28], off
	s_waitcnt vmcnt(0)
	v_dual_fmac_f32 v12, v21, v39 :: v_dual_add_nc_u32 v5, 2, v2
	s_delay_alu instid0(VALU_DEP_1) | instskip(SKIP_1) | instid1(VALU_DEP_3)
	v_lshlrev_b64 v[29:30], 2, v[5:6]
	v_dual_fmac_f32 v10, v19, v39 :: v_dual_add_nc_u32 v5, -8, v1
	v_fmac_f32_e32 v12, v17, v40
	s_delay_alu instid0(VALU_DEP_2) | instskip(NEXT) | instid1(VALU_DEP_4)
	v_fmac_f32_e32 v10, v15, v40
	v_add_co_u32 v27, vcc_lo, s10, v29
	v_add_co_ci_u32_e32 v28, vcc_lo, s11, v30, vcc_lo
	v_lshlrev_b64 v[31:32], 2, v[5:6]
	v_add_nc_u32_e32 v5, -4, v1
	v_add_nc_u32_e32 v1, 0x300, v1
	global_load_b64 v[41:42], v[27:28], off
	v_fmac_f32_e32 v13, v20, v39
	v_lshlrev_b64 v[33:34], 2, v[5:6]
	v_add_nc_u32_e32 v5, 4, v2
	v_add_co_u32 v2, vcc_lo, s8, v31
	v_add_co_ci_u32_e32 v3, vcc_lo, s9, v32, vcc_lo
	global_load_b128 v[27:30], v[2:3], off
	v_add_co_u32 v2, vcc_lo, s8, v33
	v_add_co_ci_u32_e32 v3, vcc_lo, s9, v34, vcc_lo
	s_waitcnt vmcnt(1)
	v_fmac_f32_e32 v10, v23, v41
	v_lshlrev_b64 v[31:32], 2, v[5:6]
	v_dual_fmac_f32 v11, v22, v39 :: v_dual_fmac_f32 v12, v25, v41
	v_fmac_f32_e32 v13, v16, v40
	s_delay_alu instid0(VALU_DEP_3) | instskip(NEXT) | instid1(VALU_DEP_4)
	v_add_co_u32 v37, vcc_lo, s10, v31
	v_add_co_ci_u32_e32 v38, vcc_lo, s11, v32, vcc_lo
	global_load_b128 v[31:34], v[2:3], off
	global_load_b64 v[2:3], v[37:38], off
	global_load_b128 v[35:38], v[35:36], off
	s_waitcnt vmcnt(3)
	v_fmac_f32_e32 v12, v29, v42
	v_dual_fmac_f32 v10, v27, v42 :: v_dual_fmac_f32 v11, v18, v40
	v_fmac_f32_e32 v13, v24, v41
	v_cmp_ge_i32_e32 vcc_lo, v7, v14
	s_or_b32 s5, vcc_lo, s5
	s_waitcnt vmcnt(1)
	v_fmac_f32_e32 v12, v33, v2
	v_dual_fmac_f32 v10, v31, v2 :: v_dual_fmac_f32 v11, v26, v41
	s_waitcnt vmcnt(0)
	s_delay_alu instid0(VALU_DEP_2) | instskip(NEXT) | instid1(VALU_DEP_2)
	v_dual_fmac_f32 v13, v28, v42 :: v_dual_fmac_f32 v12, v37, v3
	v_dual_fmac_f32 v10, v35, v3 :: v_dual_fmac_f32 v11, v30, v42
	s_delay_alu instid0(VALU_DEP_2) | instskip(NEXT) | instid1(VALU_DEP_2)
	v_fmac_f32_e32 v13, v32, v2
	v_fmac_f32_e32 v11, v34, v2
	s_delay_alu instid0(VALU_DEP_2) | instskip(NEXT) | instid1(VALU_DEP_2)
	v_fmac_f32_e32 v13, v36, v3
	v_fmac_f32_e32 v11, v38, v3
	s_and_not1_b32 exec_lo, exec_lo, s5
	s_cbranch_execnz .LBB23_9
; %bb.10:
	s_or_b32 exec_lo, exec_lo, s5
.LBB23_11:
	s_delay_alu instid0(SALU_CYCLE_1) | instskip(NEXT) | instid1(SALU_CYCLE_1)
	s_or_b32 exec_lo, exec_lo, s4
	s_and_not1_b32 vcc_lo, exec_lo, s3
	s_cbranch_vccz .LBB23_13
	s_branch .LBB23_18
.LBB23_12:
                                        ; implicit-def: $vgpr10
                                        ; implicit-def: $vgpr11
                                        ; implicit-def: $vgpr12
                                        ; implicit-def: $vgpr13
.LBB23_13:
	v_dual_mov_b32 v10, 0 :: v_dual_mov_b32 v11, 0
	v_dual_mov_b32 v12, 0 :: v_dual_mov_b32 v13, 0
	s_delay_alu instid0(VALU_DEP_3)
	s_and_saveexec_b32 s3, s2
	s_cbranch_execz .LBB23_17
; %bb.14:
	v_mad_u64_u32 v[2:3], null, v0, 24, 23
	v_dual_mov_b32 v6, 0 :: v_dual_mov_b32 v11, 0
	v_dual_mov_b32 v10, 0 :: v_dual_mov_b32 v13, 0
	v_mov_b32_e32 v12, 0
	s_mov_b32 s2, 0
.LBB23_15:                              ; =>This Inner Loop Header: Depth=1
	v_ashrrev_i32_e32 v1, 31, v0
	v_subrev_nc_u32_e32 v5, 23, v2
	v_dual_mov_b32 v16, v6 :: v_dual_add_nc_u32 v15, -5, v2
	v_mov_b32_e32 v3, v6
	s_delay_alu instid0(VALU_DEP_4) | instskip(NEXT) | instid1(VALU_DEP_4)
	v_lshlrev_b64 v[7:8], 2, v[0:1]
	v_lshlrev_b64 v[17:18], 2, v[5:6]
	v_dual_mov_b32 v24, v6 :: v_dual_add_nc_u32 v5, -10, v2
	s_delay_alu instid0(VALU_DEP_4)
	v_lshlrev_b64 v[19:20], 2, v[2:3]
	v_add_nc_u32_e32 v0, 32, v0
	v_add_co_u32 v7, vcc_lo, s6, v7
	v_add_co_ci_u32_e32 v8, vcc_lo, s7, v8, vcc_lo
	v_add_co_u32 v21, vcc_lo, s8, v17
	v_add_co_ci_u32_e32 v22, vcc_lo, s9, v18, vcc_lo
	global_load_b32 v1, v[7:8], off
	v_dual_mov_b32 v8, v6 :: v_dual_add_nc_u32 v7, -11, v2
	v_lshlrev_b64 v[15:16], 2, v[15:16]
	v_lshlrev_b64 v[25:26], 2, v[5:6]
	s_delay_alu instid0(VALU_DEP_3) | instskip(NEXT) | instid1(VALU_DEP_1)
	v_lshlrev_b64 v[7:8], 2, v[7:8]
	v_add_co_u32 v7, vcc_lo, s8, v7
	s_delay_alu instid0(VALU_DEP_2)
	v_add_co_ci_u32_e32 v8, vcc_lo, s9, v8, vcc_lo
	v_add_co_u32 v27, vcc_lo, s8, v15
	v_add_co_ci_u32_e32 v28, vcc_lo, s9, v16, vcc_lo
	v_add_co_u32 v29, vcc_lo, s8, v19
	v_add_co_ci_u32_e32 v30, vcc_lo, s9, v20, vcc_lo
	s_clause 0x3
	global_load_b128 v[15:18], v[21:22], off offset:16
	global_load_b128 v[19:22], v[21:22], off
	global_load_b32 v3, v[7:8], off
	global_load_b32 v28, v[27:28], off
	v_add_nc_u32_e32 v5, -4, v2
	v_add_co_u32 v7, vcc_lo, s8, v25
	v_add_co_ci_u32_e32 v8, vcc_lo, s9, v26, vcc_lo
	s_delay_alu instid0(VALU_DEP_3) | instskip(NEXT) | instid1(VALU_DEP_1)
	v_lshlrev_b64 v[31:32], 2, v[5:6]
	v_add_co_u32 v25, vcc_lo, s8, v31
	s_delay_alu instid0(VALU_DEP_2)
	v_add_co_ci_u32_e32 v26, vcc_lo, s9, v32, vcc_lo
	s_clause 0x1
	global_load_b32 v37, v[7:8], off
	global_load_b32 v38, v[25:26], off
	s_waitcnt vmcnt(6)
	v_subrev_nc_u32_e32 v1, s18, v1
	s_delay_alu instid0(VALU_DEP_1) | instskip(NEXT) | instid1(VALU_DEP_1)
	v_mul_lo_u32 v23, v1, 6
	v_lshlrev_b64 v[7:8], 2, v[23:24]
	s_delay_alu instid0(VALU_DEP_1) | instskip(NEXT) | instid1(VALU_DEP_2)
	v_add_co_u32 v7, vcc_lo, s10, v7
	v_add_co_ci_u32_e32 v8, vcc_lo, s11, v8, vcc_lo
	global_load_b64 v[7:8], v[7:8], off
	v_add_nc_u32_e32 v5, 2, v23
	s_delay_alu instid0(VALU_DEP_1) | instskip(NEXT) | instid1(VALU_DEP_1)
	v_lshlrev_b64 v[24:25], 2, v[5:6]
	v_add_co_u32 v24, vcc_lo, s10, v24
	s_delay_alu instid0(VALU_DEP_2)
	v_add_co_ci_u32_e32 v25, vcc_lo, s11, v25, vcc_lo
	global_load_b64 v[24:25], v[24:25], off
	s_waitcnt vmcnt(1)
	v_fmac_f32_e32 v10, v19, v7
	v_dual_fmac_f32 v12, v3, v7 :: v_dual_add_nc_u32 v5, -15, v2
	v_fmac_f32_e32 v13, v17, v7
	v_fmac_f32_e32 v11, v28, v7
	s_delay_alu instid0(VALU_DEP_4) | instskip(NEXT) | instid1(VALU_DEP_4)
	v_fmac_f32_e32 v10, v20, v8
	v_fmac_f32_e32 v12, v37, v8
	v_lshlrev_b64 v[26:27], 2, v[5:6]
	v_add_nc_u32_e32 v5, -9, v2
	v_fmac_f32_e32 v13, v18, v8
	s_delay_alu instid0(VALU_DEP_3) | instskip(NEXT) | instid1(VALU_DEP_4)
	v_add_co_u32 v26, vcc_lo, s8, v26
	v_add_co_ci_u32_e32 v27, vcc_lo, s9, v27, vcc_lo
	s_waitcnt vmcnt(0)
	v_fmac_f32_e32 v10, v21, v24
	v_lshlrev_b64 v[31:32], 2, v[5:6]
	global_load_b32 v1, v[26:27], off
	v_fmac_f32_e32 v10, v22, v25
	v_add_co_u32 v31, vcc_lo, s8, v31
	v_add_co_ci_u32_e32 v32, vcc_lo, s9, v32, vcc_lo
	global_load_b32 v39, v[31:32], off
	v_add_nc_u32_e32 v5, -3, v2
	s_waitcnt vmcnt(1)
	v_fmac_f32_e32 v13, v1, v24
	s_waitcnt vmcnt(0)
	v_fmac_f32_e32 v12, v39, v24
	v_lshlrev_b64 v[33:34], 2, v[5:6]
	v_add_nc_u32_e32 v5, -14, v2
	s_delay_alu instid0(VALU_DEP_1) | instskip(SKIP_1) | instid1(VALU_DEP_4)
	v_lshlrev_b64 v[26:27], 2, v[5:6]
	v_add_nc_u32_e32 v5, -8, v2
	v_add_co_u32 v31, vcc_lo, s8, v33
	v_add_co_ci_u32_e32 v32, vcc_lo, s9, v34, vcc_lo
	s_delay_alu instid0(VALU_DEP_4) | instskip(NEXT) | instid1(VALU_DEP_4)
	v_add_co_u32 v26, vcc_lo, s8, v26
	v_lshlrev_b64 v[33:34], 2, v[5:6]
	v_add_nc_u32_e32 v5, -2, v2
	v_add_co_ci_u32_e32 v27, vcc_lo, s9, v27, vcc_lo
	global_load_b32 v40, v[31:32], off
	v_lshlrev_b64 v[31:32], 2, v[5:6]
	v_add_nc_u32_e32 v5, 4, v23
	global_load_b32 v23, v[26:27], off
	v_add_co_u32 v26, vcc_lo, s8, v33
	v_add_co_ci_u32_e32 v27, vcc_lo, s9, v34, vcc_lo
	v_add_co_u32 v31, vcc_lo, s8, v31
	v_lshlrev_b64 v[33:34], 2, v[5:6]
	global_load_b32 v41, v[26:27], off
	v_add_co_ci_u32_e32 v32, vcc_lo, s9, v32, vcc_lo
	global_load_b32 v42, v[31:32], off
	v_add_co_u32 v31, vcc_lo, s10, v33
	v_add_co_ci_u32_e32 v32, vcc_lo, s11, v34, vcc_lo
	global_load_b64 v[31:32], v[31:32], off
	s_waitcnt vmcnt(3)
	v_fmac_f32_e32 v13, v23, v25
	s_waitcnt vmcnt(2)
	v_dual_fmac_f32 v12, v41, v25 :: v_dual_add_nc_u32 v5, -13, v2
	s_delay_alu instid0(VALU_DEP_1) | instskip(SKIP_1) | instid1(VALU_DEP_1)
	v_lshlrev_b64 v[26:27], 2, v[5:6]
	v_add_nc_u32_e32 v5, -7, v2
	v_lshlrev_b64 v[33:34], 2, v[5:6]
	v_add_nc_u32_e32 v5, -1, v2
	s_delay_alu instid0(VALU_DEP_4) | instskip(SKIP_1) | instid1(VALU_DEP_3)
	v_add_co_u32 v26, vcc_lo, s8, v26
	v_add_co_ci_u32_e32 v27, vcc_lo, s9, v27, vcc_lo
	v_lshlrev_b64 v[35:36], 2, v[5:6]
	s_waitcnt vmcnt(0)
	v_dual_fmac_f32 v10, v15, v31 :: v_dual_add_nc_u32 v5, -12, v2
	global_load_b32 v43, v[26:27], off
	v_add_co_u32 v26, vcc_lo, s8, v33
	v_add_co_ci_u32_e32 v27, vcc_lo, s9, v34, vcc_lo
	v_lshlrev_b64 v[33:34], 2, v[5:6]
	v_add_nc_u32_e32 v5, -6, v2
	v_add_co_u32 v35, vcc_lo, s8, v35
	global_load_b32 v44, v[26:27], off
	v_add_co_ci_u32_e32 v36, vcc_lo, s9, v36, vcc_lo
	v_lshlrev_b64 v[26:27], 2, v[5:6]
	v_add_co_u32 v33, vcc_lo, s8, v33
	v_add_co_ci_u32_e32 v34, vcc_lo, s9, v34, vcc_lo
	global_load_b32 v5, v[35:36], off
	v_add_co_u32 v26, vcc_lo, s8, v26
	v_add_co_ci_u32_e32 v27, vcc_lo, s9, v27, vcc_lo
	s_clause 0x2
	global_load_b32 v33, v[33:34], off
	global_load_b32 v26, v[26:27], off
	;; [unrolled: 1-line block ×3, first 2 shown]
	v_dual_fmac_f32 v11, v38, v8 :: v_dual_add_nc_u32 v2, 0x300, v2
	v_cmp_ge_i32_e32 vcc_lo, v0, v14
	v_fmac_f32_e32 v10, v16, v32
	s_delay_alu instid0(VALU_DEP_3) | instskip(SKIP_1) | instid1(VALU_DEP_1)
	v_fmac_f32_e32 v11, v40, v24
	s_or_b32 s2, vcc_lo, s2
	v_fmac_f32_e32 v11, v42, v25
	s_waitcnt vmcnt(5)
	v_fmac_f32_e32 v13, v43, v31
	s_waitcnt vmcnt(4)
	;; [unrolled: 2-line block ×6, first 2 shown]
	v_fmac_f32_e32 v11, v27, v32
	s_and_not1_b32 exec_lo, exec_lo, s2
	s_cbranch_execnz .LBB23_15
; %bb.16:
	s_or_b32 exec_lo, exec_lo, s2
.LBB23_17:
	s_delay_alu instid0(SALU_CYCLE_1)
	s_or_b32 exec_lo, exec_lo, s3
.LBB23_18:
	v_mbcnt_lo_u32_b32 v0, -1, 0
	s_mov_b32 s2, -1
	s_delay_alu instid0(VALU_DEP_1) | instskip(SKIP_1) | instid1(VALU_DEP_2)
	v_xor_b32_e32 v1, 16, v0
	v_xor_b32_e32 v6, 8, v0
	v_cmp_gt_i32_e32 vcc_lo, 32, v1
	v_cndmask_b32_e32 v1, v0, v1, vcc_lo
	s_delay_alu instid0(VALU_DEP_3) | instskip(SKIP_1) | instid1(VALU_DEP_1)
	v_cmp_gt_i32_e32 vcc_lo, 32, v6
	v_cndmask_b32_e32 v6, v0, v6, vcc_lo
	v_lshlrev_b32_e32 v6, 2, v6
	s_delay_alu instid0(VALU_DEP_4)
	v_lshlrev_b32_e32 v1, 2, v1
	ds_bpermute_b32 v2, v1, v10
	s_waitcnt lgkmcnt(0)
	v_add_f32_e32 v2, v10, v2
	ds_bpermute_b32 v3, v1, v13
	ds_bpermute_b32 v5, v1, v12
	;; [unrolled: 1-line block ×4, first 2 shown]
	s_waitcnt lgkmcnt(3)
	v_add_f32_e32 v3, v13, v3
	s_waitcnt lgkmcnt(0)
	v_dual_add_f32 v5, v12, v5 :: v_dual_add_f32 v2, v2, v7
	v_add_f32_e32 v1, v11, v1
	ds_bpermute_b32 v8, v6, v3
	ds_bpermute_b32 v10, v6, v5
	v_xor_b32_e32 v11, 4, v0
	ds_bpermute_b32 v6, v6, v1
	v_cmp_gt_i32_e32 vcc_lo, 32, v11
	s_waitcnt lgkmcnt(2)
	v_add_f32_e32 v3, v3, v8
	s_waitcnt lgkmcnt(1)
	v_add_f32_e32 v5, v5, v10
	;; [unrolled: 2-line block ×3, first 2 shown]
	v_cndmask_b32_e32 v11, v0, v11, vcc_lo
	s_delay_alu instid0(VALU_DEP_1)
	v_lshlrev_b32_e32 v11, 2, v11
	ds_bpermute_b32 v8, v11, v5
	ds_bpermute_b32 v6, v11, v2
	;; [unrolled: 1-line block ×4, first 2 shown]
	v_xor_b32_e32 v11, 2, v0
	s_delay_alu instid0(VALU_DEP_1)
	v_cmp_gt_i32_e32 vcc_lo, 32, v11
	s_waitcnt lgkmcnt(3)
	v_add_f32_e32 v5, v5, v8
	s_waitcnt lgkmcnt(2)
	v_dual_cndmask_b32 v11, v0, v11 :: v_dual_add_f32 v2, v2, v6
	s_waitcnt lgkmcnt(0)
	v_dual_add_f32 v3, v3, v7 :: v_dual_add_f32 v6, v1, v10
	s_delay_alu instid0(VALU_DEP_2)
	v_lshlrev_b32_e32 v11, 2, v11
	ds_bpermute_b32 v1, v11, v2
	ds_bpermute_b32 v7, v11, v3
	;; [unrolled: 1-line block ×4, first 2 shown]
	v_xor_b32_e32 v11, 1, v0
	s_delay_alu instid0(VALU_DEP_1) | instskip(SKIP_3) | instid1(VALU_DEP_2)
	v_cmp_gt_i32_e32 vcc_lo, 32, v11
	v_cndmask_b32_e32 v0, v0, v11, vcc_lo
	v_cmp_eq_u32_e32 vcc_lo, 31, v9
	s_waitcnt lgkmcnt(3)
	v_dual_add_f32 v0, v2, v1 :: v_dual_lshlrev_b32 v11, 2, v0
	s_waitcnt lgkmcnt(1)
	v_dual_add_f32 v1, v3, v7 :: v_dual_add_f32 v2, v5, v8
	s_waitcnt lgkmcnt(0)
	v_add_f32_e32 v3, v6, v10
	ds_bpermute_b32 v5, v11, v0
	ds_bpermute_b32 v6, v11, v1
	;; [unrolled: 1-line block ×4, first 2 shown]
	s_and_b32 exec_lo, exec_lo, vcc_lo
	s_cbranch_execz .LBB23_23
; %bb.19:
	s_load_b64 s[0:1], s[0:1], 0x38
	s_waitcnt lgkmcnt(0)
	v_dual_add_f32 v0, v0, v5 :: v_dual_add_f32 v1, v1, v6
	v_dual_add_f32 v2, v2, v7 :: v_dual_add_f32 v3, v3, v8
	v_cmp_eq_f32_e64 s3, s12, 0
	s_delay_alu instid0(VALU_DEP_3) | instskip(NEXT) | instid1(VALU_DEP_3)
	v_dual_mul_f32 v0, s16, v0 :: v_dual_mul_f32 v1, s16, v1
	v_dual_mul_f32 v2, s16, v2 :: v_dual_mul_f32 v3, s16, v3
	v_lshlrev_b32_e32 v4, 2, v4
	s_delay_alu instid0(VALU_DEP_4)
	s_and_b32 vcc_lo, exec_lo, s3
	s_cbranch_vccz .LBB23_21
; %bb.20:
	s_delay_alu instid0(VALU_DEP_1) | instskip(SKIP_1) | instid1(VALU_DEP_1)
	v_ashrrev_i32_e32 v5, 31, v4
	s_mov_b32 s2, 0
	v_lshlrev_b64 v[5:6], 2, v[4:5]
	s_delay_alu instid0(VALU_DEP_1) | instskip(NEXT) | instid1(VALU_DEP_2)
	v_add_co_u32 v5, vcc_lo, s0, v5
	v_add_co_ci_u32_e32 v6, vcc_lo, s1, v6, vcc_lo
	global_store_b128 v[5:6], v[0:3], off
.LBB23_21:
	s_and_not1_b32 vcc_lo, exec_lo, s2
	s_cbranch_vccnz .LBB23_23
; %bb.22:
	v_ashrrev_i32_e32 v5, 31, v4
	s_delay_alu instid0(VALU_DEP_1) | instskip(NEXT) | instid1(VALU_DEP_1)
	v_lshlrev_b64 v[4:5], 2, v[4:5]
	v_add_co_u32 v8, vcc_lo, s0, v4
	s_delay_alu instid0(VALU_DEP_2)
	v_add_co_ci_u32_e32 v9, vcc_lo, s1, v5, vcc_lo
	global_load_b128 v[4:7], v[8:9], off
	s_waitcnt vmcnt(0)
	v_dual_fmac_f32 v0, s12, v4 :: v_dual_fmac_f32 v1, s12, v5
	v_dual_fmac_f32 v2, s12, v6 :: v_dual_fmac_f32 v3, s12, v7
	global_store_b128 v[8:9], v[0:3], off
.LBB23_23:
	s_nop 0
	s_sendmsg sendmsg(MSG_DEALLOC_VGPRS)
	s_endpgm
	.section	.rodata,"a",@progbits
	.p2align	6, 0x0
	.amdhsa_kernel _ZN9rocsparseL19gebsrmvn_4xn_kernelILj128ELj6ELj32EfEEvi20rocsparse_direction_NS_24const_host_device_scalarIT2_EEPKiS6_PKS3_S8_S4_PS3_21rocsparse_index_base_b
		.amdhsa_group_segment_fixed_size 0
		.amdhsa_private_segment_fixed_size 0
		.amdhsa_kernarg_size 72
		.amdhsa_user_sgpr_count 15
		.amdhsa_user_sgpr_dispatch_ptr 0
		.amdhsa_user_sgpr_queue_ptr 0
		.amdhsa_user_sgpr_kernarg_segment_ptr 1
		.amdhsa_user_sgpr_dispatch_id 0
		.amdhsa_user_sgpr_private_segment_size 0
		.amdhsa_wavefront_size32 1
		.amdhsa_uses_dynamic_stack 0
		.amdhsa_enable_private_segment 0
		.amdhsa_system_sgpr_workgroup_id_x 1
		.amdhsa_system_sgpr_workgroup_id_y 0
		.amdhsa_system_sgpr_workgroup_id_z 0
		.amdhsa_system_sgpr_workgroup_info 0
		.amdhsa_system_vgpr_workitem_id 0
		.amdhsa_next_free_vgpr 45
		.amdhsa_next_free_sgpr 20
		.amdhsa_reserve_vcc 1
		.amdhsa_float_round_mode_32 0
		.amdhsa_float_round_mode_16_64 0
		.amdhsa_float_denorm_mode_32 3
		.amdhsa_float_denorm_mode_16_64 3
		.amdhsa_dx10_clamp 1
		.amdhsa_ieee_mode 1
		.amdhsa_fp16_overflow 0
		.amdhsa_workgroup_processor_mode 1
		.amdhsa_memory_ordered 1
		.amdhsa_forward_progress 0
		.amdhsa_shared_vgpr_count 0
		.amdhsa_exception_fp_ieee_invalid_op 0
		.amdhsa_exception_fp_denorm_src 0
		.amdhsa_exception_fp_ieee_div_zero 0
		.amdhsa_exception_fp_ieee_overflow 0
		.amdhsa_exception_fp_ieee_underflow 0
		.amdhsa_exception_fp_ieee_inexact 0
		.amdhsa_exception_int_div_zero 0
	.end_amdhsa_kernel
	.section	.text._ZN9rocsparseL19gebsrmvn_4xn_kernelILj128ELj6ELj32EfEEvi20rocsparse_direction_NS_24const_host_device_scalarIT2_EEPKiS6_PKS3_S8_S4_PS3_21rocsparse_index_base_b,"axG",@progbits,_ZN9rocsparseL19gebsrmvn_4xn_kernelILj128ELj6ELj32EfEEvi20rocsparse_direction_NS_24const_host_device_scalarIT2_EEPKiS6_PKS3_S8_S4_PS3_21rocsparse_index_base_b,comdat
.Lfunc_end23:
	.size	_ZN9rocsparseL19gebsrmvn_4xn_kernelILj128ELj6ELj32EfEEvi20rocsparse_direction_NS_24const_host_device_scalarIT2_EEPKiS6_PKS3_S8_S4_PS3_21rocsparse_index_base_b, .Lfunc_end23-_ZN9rocsparseL19gebsrmvn_4xn_kernelILj128ELj6ELj32EfEEvi20rocsparse_direction_NS_24const_host_device_scalarIT2_EEPKiS6_PKS3_S8_S4_PS3_21rocsparse_index_base_b
                                        ; -- End function
	.section	.AMDGPU.csdata,"",@progbits
; Kernel info:
; codeLenInByte = 2484
; NumSgprs: 22
; NumVgprs: 45
; ScratchSize: 0
; MemoryBound: 0
; FloatMode: 240
; IeeeMode: 1
; LDSByteSize: 0 bytes/workgroup (compile time only)
; SGPRBlocks: 2
; VGPRBlocks: 5
; NumSGPRsForWavesPerEU: 22
; NumVGPRsForWavesPerEU: 45
; Occupancy: 16
; WaveLimiterHint : 1
; COMPUTE_PGM_RSRC2:SCRATCH_EN: 0
; COMPUTE_PGM_RSRC2:USER_SGPR: 15
; COMPUTE_PGM_RSRC2:TRAP_HANDLER: 0
; COMPUTE_PGM_RSRC2:TGID_X_EN: 1
; COMPUTE_PGM_RSRC2:TGID_Y_EN: 0
; COMPUTE_PGM_RSRC2:TGID_Z_EN: 0
; COMPUTE_PGM_RSRC2:TIDIG_COMP_CNT: 0
	.section	.text._ZN9rocsparseL19gebsrmvn_4xn_kernelILj128ELj6ELj64EfEEvi20rocsparse_direction_NS_24const_host_device_scalarIT2_EEPKiS6_PKS3_S8_S4_PS3_21rocsparse_index_base_b,"axG",@progbits,_ZN9rocsparseL19gebsrmvn_4xn_kernelILj128ELj6ELj64EfEEvi20rocsparse_direction_NS_24const_host_device_scalarIT2_EEPKiS6_PKS3_S8_S4_PS3_21rocsparse_index_base_b,comdat
	.globl	_ZN9rocsparseL19gebsrmvn_4xn_kernelILj128ELj6ELj64EfEEvi20rocsparse_direction_NS_24const_host_device_scalarIT2_EEPKiS6_PKS3_S8_S4_PS3_21rocsparse_index_base_b ; -- Begin function _ZN9rocsparseL19gebsrmvn_4xn_kernelILj128ELj6ELj64EfEEvi20rocsparse_direction_NS_24const_host_device_scalarIT2_EEPKiS6_PKS3_S8_S4_PS3_21rocsparse_index_base_b
	.p2align	8
	.type	_ZN9rocsparseL19gebsrmvn_4xn_kernelILj128ELj6ELj64EfEEvi20rocsparse_direction_NS_24const_host_device_scalarIT2_EEPKiS6_PKS3_S8_S4_PS3_21rocsparse_index_base_b,@function
_ZN9rocsparseL19gebsrmvn_4xn_kernelILj128ELj6ELj64EfEEvi20rocsparse_direction_NS_24const_host_device_scalarIT2_EEPKiS6_PKS3_S8_S4_PS3_21rocsparse_index_base_b: ; @_ZN9rocsparseL19gebsrmvn_4xn_kernelILj128ELj6ELj64EfEEvi20rocsparse_direction_NS_24const_host_device_scalarIT2_EEPKiS6_PKS3_S8_S4_PS3_21rocsparse_index_base_b
; %bb.0:
	s_clause 0x2
	s_load_b64 s[18:19], s[0:1], 0x40
	s_load_b64 s[16:17], s[0:1], 0x8
	;; [unrolled: 1-line block ×3, first 2 shown]
	s_waitcnt lgkmcnt(0)
	s_bitcmp1_b32 s19, 0
	s_cselect_b32 s2, -1, 0
	s_delay_alu instid0(SALU_CYCLE_1)
	s_and_b32 vcc_lo, exec_lo, s2
	s_xor_b32 s2, s2, -1
	s_cbranch_vccnz .LBB24_2
; %bb.1:
	s_load_b32 s16, s[16:17], 0x0
.LBB24_2:
	s_and_not1_b32 vcc_lo, exec_lo, s2
	s_cbranch_vccnz .LBB24_4
; %bb.3:
	s_load_b32 s12, s[12:13], 0x0
.LBB24_4:
	s_waitcnt lgkmcnt(0)
	v_cmp_eq_f32_e64 s2, s16, 0
	v_cmp_eq_f32_e64 s3, s12, 1.0
	s_delay_alu instid0(VALU_DEP_1) | instskip(NEXT) | instid1(SALU_CYCLE_1)
	s_and_b32 s2, s2, s3
	s_and_b32 vcc_lo, exec_lo, s2
	s_cbranch_vccnz .LBB24_23
; %bb.5:
	s_load_b64 s[2:3], s[0:1], 0x0
	v_lshrrev_b32_e32 v1, 6, v0
	s_delay_alu instid0(VALU_DEP_1) | instskip(SKIP_1) | instid1(VALU_DEP_1)
	v_lshl_or_b32 v4, s15, 1, v1
	s_waitcnt lgkmcnt(0)
	v_cmp_gt_i32_e32 vcc_lo, s2, v4
	s_and_saveexec_b32 s2, vcc_lo
	s_cbranch_execz .LBB24_23
; %bb.6:
	s_load_b256 s[4:11], s[0:1], 0x10
	v_ashrrev_i32_e32 v5, 31, v4
	v_and_b32_e32 v9, 63, v0
	s_cmp_lg_u32 s3, 0
	s_delay_alu instid0(VALU_DEP_2) | instskip(SKIP_1) | instid1(VALU_DEP_1)
	v_lshlrev_b64 v[1:2], 2, v[4:5]
	s_waitcnt lgkmcnt(0)
	v_add_co_u32 v1, vcc_lo, s4, v1
	s_delay_alu instid0(VALU_DEP_2) | instskip(SKIP_4) | instid1(VALU_DEP_2)
	v_add_co_ci_u32_e32 v2, vcc_lo, s5, v2, vcc_lo
	global_load_b64 v[1:2], v[1:2], off
	s_waitcnt vmcnt(0)
	v_subrev_nc_u32_e32 v0, s18, v1
	v_subrev_nc_u32_e32 v14, s18, v2
	v_add_nc_u32_e32 v0, v0, v9
	s_delay_alu instid0(VALU_DEP_1)
	v_cmp_lt_i32_e64 s2, v0, v14
	s_cbranch_scc0 .LBB24_12
; %bb.7:
	v_dual_mov_b32 v10, 0 :: v_dual_mov_b32 v11, 0
	v_dual_mov_b32 v12, 0 :: v_dual_mov_b32 v13, 0
	s_mov_b32 s3, 0
	s_and_saveexec_b32 s4, s2
	s_cbranch_execz .LBB24_11
; %bb.8:
	v_mad_u64_u32 v[1:2], null, v0, 24, 20
	v_dual_mov_b32 v6, 0 :: v_dual_mov_b32 v7, v0
	v_dual_mov_b32 v10, 0 :: v_dual_mov_b32 v11, 0
	;; [unrolled: 1-line block ×3, first 2 shown]
	s_mov_b32 s5, 0
.LBB24_9:                               ; =>This Inner Loop Header: Depth=1
	s_delay_alu instid0(VALU_DEP_3) | instskip(SKIP_1) | instid1(VALU_DEP_2)
	v_ashrrev_i32_e32 v8, 31, v7
	v_subrev_nc_u32_e32 v5, 20, v1
	v_lshlrev_b64 v[2:3], 2, v[7:8]
	s_delay_alu instid0(VALU_DEP_2) | instskip(SKIP_2) | instid1(VALU_DEP_4)
	v_lshlrev_b64 v[15:16], 2, v[5:6]
	v_add_nc_u32_e32 v7, 64, v7
	v_add_nc_u32_e32 v5, -12, v1
	v_add_co_u32 v2, vcc_lo, s6, v2
	v_add_co_ci_u32_e32 v3, vcc_lo, s7, v3, vcc_lo
	v_add_co_u32 v21, vcc_lo, s8, v15
	v_add_co_ci_u32_e32 v22, vcc_lo, s9, v16, vcc_lo
	global_load_b32 v8, v[2:3], off
	v_mov_b32_e32 v2, v6
	v_lshlrev_b64 v[19:20], 2, v[5:6]
	s_delay_alu instid0(VALU_DEP_2) | instskip(NEXT) | instid1(VALU_DEP_1)
	v_lshlrev_b64 v[17:18], 2, v[1:2]
	v_add_co_u32 v35, vcc_lo, s8, v17
	s_delay_alu instid0(VALU_DEP_2) | instskip(NEXT) | instid1(VALU_DEP_4)
	v_add_co_ci_u32_e32 v36, vcc_lo, s9, v18, vcc_lo
	v_add_co_u32 v23, vcc_lo, s8, v19
	v_add_co_ci_u32_e32 v24, vcc_lo, s9, v20, vcc_lo
	s_clause 0x2
	global_load_b128 v[15:18], v[21:22], off offset:16
	global_load_b128 v[19:22], v[21:22], off
	global_load_b128 v[23:26], v[23:24], off
	v_mov_b32_e32 v3, v6
	s_waitcnt vmcnt(3)
	v_subrev_nc_u32_e32 v2, s18, v8
	s_delay_alu instid0(VALU_DEP_1) | instskip(NEXT) | instid1(VALU_DEP_1)
	v_mul_lo_u32 v2, v2, 6
	v_lshlrev_b64 v[27:28], 2, v[2:3]
	s_delay_alu instid0(VALU_DEP_1) | instskip(NEXT) | instid1(VALU_DEP_2)
	v_add_co_u32 v27, vcc_lo, s10, v27
	v_add_co_ci_u32_e32 v28, vcc_lo, s11, v28, vcc_lo
	global_load_b64 v[39:40], v[27:28], off
	s_waitcnt vmcnt(0)
	v_dual_fmac_f32 v12, v21, v39 :: v_dual_add_nc_u32 v5, 2, v2
	s_delay_alu instid0(VALU_DEP_1) | instskip(SKIP_1) | instid1(VALU_DEP_3)
	v_lshlrev_b64 v[29:30], 2, v[5:6]
	v_dual_fmac_f32 v10, v19, v39 :: v_dual_add_nc_u32 v5, -8, v1
	v_fmac_f32_e32 v12, v17, v40
	s_delay_alu instid0(VALU_DEP_2) | instskip(NEXT) | instid1(VALU_DEP_4)
	v_fmac_f32_e32 v10, v15, v40
	v_add_co_u32 v27, vcc_lo, s10, v29
	v_add_co_ci_u32_e32 v28, vcc_lo, s11, v30, vcc_lo
	v_lshlrev_b64 v[31:32], 2, v[5:6]
	v_add_nc_u32_e32 v5, -4, v1
	v_add_nc_u32_e32 v1, 0x600, v1
	global_load_b64 v[41:42], v[27:28], off
	v_fmac_f32_e32 v13, v20, v39
	v_lshlrev_b64 v[33:34], 2, v[5:6]
	v_add_nc_u32_e32 v5, 4, v2
	v_add_co_u32 v2, vcc_lo, s8, v31
	v_add_co_ci_u32_e32 v3, vcc_lo, s9, v32, vcc_lo
	global_load_b128 v[27:30], v[2:3], off
	v_add_co_u32 v2, vcc_lo, s8, v33
	v_add_co_ci_u32_e32 v3, vcc_lo, s9, v34, vcc_lo
	s_waitcnt vmcnt(1)
	v_fmac_f32_e32 v10, v23, v41
	v_lshlrev_b64 v[31:32], 2, v[5:6]
	v_dual_fmac_f32 v11, v22, v39 :: v_dual_fmac_f32 v12, v25, v41
	v_fmac_f32_e32 v13, v16, v40
	s_delay_alu instid0(VALU_DEP_3) | instskip(NEXT) | instid1(VALU_DEP_4)
	v_add_co_u32 v37, vcc_lo, s10, v31
	v_add_co_ci_u32_e32 v38, vcc_lo, s11, v32, vcc_lo
	global_load_b128 v[31:34], v[2:3], off
	global_load_b64 v[2:3], v[37:38], off
	global_load_b128 v[35:38], v[35:36], off
	s_waitcnt vmcnt(3)
	v_fmac_f32_e32 v12, v29, v42
	v_dual_fmac_f32 v10, v27, v42 :: v_dual_fmac_f32 v11, v18, v40
	v_fmac_f32_e32 v13, v24, v41
	v_cmp_ge_i32_e32 vcc_lo, v7, v14
	s_or_b32 s5, vcc_lo, s5
	s_waitcnt vmcnt(1)
	v_fmac_f32_e32 v12, v33, v2
	v_dual_fmac_f32 v10, v31, v2 :: v_dual_fmac_f32 v11, v26, v41
	s_waitcnt vmcnt(0)
	s_delay_alu instid0(VALU_DEP_2) | instskip(NEXT) | instid1(VALU_DEP_2)
	v_dual_fmac_f32 v13, v28, v42 :: v_dual_fmac_f32 v12, v37, v3
	v_dual_fmac_f32 v10, v35, v3 :: v_dual_fmac_f32 v11, v30, v42
	s_delay_alu instid0(VALU_DEP_2) | instskip(NEXT) | instid1(VALU_DEP_2)
	v_fmac_f32_e32 v13, v32, v2
	v_fmac_f32_e32 v11, v34, v2
	s_delay_alu instid0(VALU_DEP_2) | instskip(NEXT) | instid1(VALU_DEP_2)
	v_fmac_f32_e32 v13, v36, v3
	v_fmac_f32_e32 v11, v38, v3
	s_and_not1_b32 exec_lo, exec_lo, s5
	s_cbranch_execnz .LBB24_9
; %bb.10:
	s_or_b32 exec_lo, exec_lo, s5
.LBB24_11:
	s_delay_alu instid0(SALU_CYCLE_1) | instskip(NEXT) | instid1(SALU_CYCLE_1)
	s_or_b32 exec_lo, exec_lo, s4
	s_and_not1_b32 vcc_lo, exec_lo, s3
	s_cbranch_vccz .LBB24_13
	s_branch .LBB24_18
.LBB24_12:
                                        ; implicit-def: $vgpr10
                                        ; implicit-def: $vgpr11
                                        ; implicit-def: $vgpr12
                                        ; implicit-def: $vgpr13
.LBB24_13:
	v_dual_mov_b32 v10, 0 :: v_dual_mov_b32 v11, 0
	v_dual_mov_b32 v12, 0 :: v_dual_mov_b32 v13, 0
	s_delay_alu instid0(VALU_DEP_3)
	s_and_saveexec_b32 s3, s2
	s_cbranch_execz .LBB24_17
; %bb.14:
	v_mad_u64_u32 v[2:3], null, v0, 24, 23
	v_dual_mov_b32 v6, 0 :: v_dual_mov_b32 v11, 0
	v_dual_mov_b32 v10, 0 :: v_dual_mov_b32 v13, 0
	v_mov_b32_e32 v12, 0
	s_mov_b32 s2, 0
.LBB24_15:                              ; =>This Inner Loop Header: Depth=1
	v_ashrrev_i32_e32 v1, 31, v0
	v_subrev_nc_u32_e32 v5, 23, v2
	v_dual_mov_b32 v16, v6 :: v_dual_add_nc_u32 v15, -5, v2
	v_mov_b32_e32 v3, v6
	s_delay_alu instid0(VALU_DEP_4) | instskip(NEXT) | instid1(VALU_DEP_4)
	v_lshlrev_b64 v[7:8], 2, v[0:1]
	v_lshlrev_b64 v[17:18], 2, v[5:6]
	v_dual_mov_b32 v24, v6 :: v_dual_add_nc_u32 v5, -10, v2
	s_delay_alu instid0(VALU_DEP_4)
	v_lshlrev_b64 v[19:20], 2, v[2:3]
	v_add_nc_u32_e32 v0, 64, v0
	v_add_co_u32 v7, vcc_lo, s6, v7
	v_add_co_ci_u32_e32 v8, vcc_lo, s7, v8, vcc_lo
	v_add_co_u32 v21, vcc_lo, s8, v17
	v_add_co_ci_u32_e32 v22, vcc_lo, s9, v18, vcc_lo
	global_load_b32 v1, v[7:8], off
	v_dual_mov_b32 v8, v6 :: v_dual_add_nc_u32 v7, -11, v2
	v_lshlrev_b64 v[15:16], 2, v[15:16]
	v_lshlrev_b64 v[25:26], 2, v[5:6]
	s_delay_alu instid0(VALU_DEP_3) | instskip(NEXT) | instid1(VALU_DEP_1)
	v_lshlrev_b64 v[7:8], 2, v[7:8]
	v_add_co_u32 v7, vcc_lo, s8, v7
	s_delay_alu instid0(VALU_DEP_2)
	v_add_co_ci_u32_e32 v8, vcc_lo, s9, v8, vcc_lo
	v_add_co_u32 v27, vcc_lo, s8, v15
	v_add_co_ci_u32_e32 v28, vcc_lo, s9, v16, vcc_lo
	v_add_co_u32 v29, vcc_lo, s8, v19
	v_add_co_ci_u32_e32 v30, vcc_lo, s9, v20, vcc_lo
	s_clause 0x3
	global_load_b128 v[15:18], v[21:22], off offset:16
	global_load_b128 v[19:22], v[21:22], off
	global_load_b32 v3, v[7:8], off
	global_load_b32 v28, v[27:28], off
	v_add_nc_u32_e32 v5, -4, v2
	v_add_co_u32 v7, vcc_lo, s8, v25
	v_add_co_ci_u32_e32 v8, vcc_lo, s9, v26, vcc_lo
	s_delay_alu instid0(VALU_DEP_3) | instskip(NEXT) | instid1(VALU_DEP_1)
	v_lshlrev_b64 v[31:32], 2, v[5:6]
	v_add_co_u32 v25, vcc_lo, s8, v31
	s_delay_alu instid0(VALU_DEP_2)
	v_add_co_ci_u32_e32 v26, vcc_lo, s9, v32, vcc_lo
	s_clause 0x1
	global_load_b32 v37, v[7:8], off
	global_load_b32 v38, v[25:26], off
	s_waitcnt vmcnt(6)
	v_subrev_nc_u32_e32 v1, s18, v1
	s_delay_alu instid0(VALU_DEP_1) | instskip(NEXT) | instid1(VALU_DEP_1)
	v_mul_lo_u32 v23, v1, 6
	v_lshlrev_b64 v[7:8], 2, v[23:24]
	s_delay_alu instid0(VALU_DEP_1) | instskip(NEXT) | instid1(VALU_DEP_2)
	v_add_co_u32 v7, vcc_lo, s10, v7
	v_add_co_ci_u32_e32 v8, vcc_lo, s11, v8, vcc_lo
	global_load_b64 v[7:8], v[7:8], off
	v_add_nc_u32_e32 v5, 2, v23
	s_delay_alu instid0(VALU_DEP_1) | instskip(NEXT) | instid1(VALU_DEP_1)
	v_lshlrev_b64 v[24:25], 2, v[5:6]
	v_add_co_u32 v24, vcc_lo, s10, v24
	s_delay_alu instid0(VALU_DEP_2)
	v_add_co_ci_u32_e32 v25, vcc_lo, s11, v25, vcc_lo
	global_load_b64 v[24:25], v[24:25], off
	s_waitcnt vmcnt(1)
	v_fmac_f32_e32 v10, v19, v7
	v_dual_fmac_f32 v12, v3, v7 :: v_dual_add_nc_u32 v5, -15, v2
	v_fmac_f32_e32 v13, v17, v7
	v_fmac_f32_e32 v11, v28, v7
	s_delay_alu instid0(VALU_DEP_4) | instskip(NEXT) | instid1(VALU_DEP_4)
	v_fmac_f32_e32 v10, v20, v8
	v_fmac_f32_e32 v12, v37, v8
	v_lshlrev_b64 v[26:27], 2, v[5:6]
	v_add_nc_u32_e32 v5, -9, v2
	v_fmac_f32_e32 v13, v18, v8
	s_delay_alu instid0(VALU_DEP_3) | instskip(NEXT) | instid1(VALU_DEP_4)
	v_add_co_u32 v26, vcc_lo, s8, v26
	v_add_co_ci_u32_e32 v27, vcc_lo, s9, v27, vcc_lo
	s_waitcnt vmcnt(0)
	v_fmac_f32_e32 v10, v21, v24
	v_lshlrev_b64 v[31:32], 2, v[5:6]
	global_load_b32 v1, v[26:27], off
	v_fmac_f32_e32 v10, v22, v25
	v_add_co_u32 v31, vcc_lo, s8, v31
	v_add_co_ci_u32_e32 v32, vcc_lo, s9, v32, vcc_lo
	global_load_b32 v39, v[31:32], off
	v_add_nc_u32_e32 v5, -3, v2
	s_waitcnt vmcnt(1)
	v_fmac_f32_e32 v13, v1, v24
	s_waitcnt vmcnt(0)
	v_fmac_f32_e32 v12, v39, v24
	v_lshlrev_b64 v[33:34], 2, v[5:6]
	v_add_nc_u32_e32 v5, -14, v2
	s_delay_alu instid0(VALU_DEP_1) | instskip(SKIP_1) | instid1(VALU_DEP_4)
	v_lshlrev_b64 v[26:27], 2, v[5:6]
	v_add_nc_u32_e32 v5, -8, v2
	v_add_co_u32 v31, vcc_lo, s8, v33
	v_add_co_ci_u32_e32 v32, vcc_lo, s9, v34, vcc_lo
	s_delay_alu instid0(VALU_DEP_4) | instskip(NEXT) | instid1(VALU_DEP_4)
	v_add_co_u32 v26, vcc_lo, s8, v26
	v_lshlrev_b64 v[33:34], 2, v[5:6]
	v_add_nc_u32_e32 v5, -2, v2
	v_add_co_ci_u32_e32 v27, vcc_lo, s9, v27, vcc_lo
	global_load_b32 v40, v[31:32], off
	v_lshlrev_b64 v[31:32], 2, v[5:6]
	v_add_nc_u32_e32 v5, 4, v23
	global_load_b32 v23, v[26:27], off
	v_add_co_u32 v26, vcc_lo, s8, v33
	v_add_co_ci_u32_e32 v27, vcc_lo, s9, v34, vcc_lo
	v_add_co_u32 v31, vcc_lo, s8, v31
	v_lshlrev_b64 v[33:34], 2, v[5:6]
	global_load_b32 v41, v[26:27], off
	v_add_co_ci_u32_e32 v32, vcc_lo, s9, v32, vcc_lo
	global_load_b32 v42, v[31:32], off
	v_add_co_u32 v31, vcc_lo, s10, v33
	v_add_co_ci_u32_e32 v32, vcc_lo, s11, v34, vcc_lo
	global_load_b64 v[31:32], v[31:32], off
	s_waitcnt vmcnt(3)
	v_fmac_f32_e32 v13, v23, v25
	s_waitcnt vmcnt(2)
	v_dual_fmac_f32 v12, v41, v25 :: v_dual_add_nc_u32 v5, -13, v2
	s_delay_alu instid0(VALU_DEP_1) | instskip(SKIP_1) | instid1(VALU_DEP_1)
	v_lshlrev_b64 v[26:27], 2, v[5:6]
	v_add_nc_u32_e32 v5, -7, v2
	v_lshlrev_b64 v[33:34], 2, v[5:6]
	v_add_nc_u32_e32 v5, -1, v2
	s_delay_alu instid0(VALU_DEP_4) | instskip(SKIP_1) | instid1(VALU_DEP_3)
	v_add_co_u32 v26, vcc_lo, s8, v26
	v_add_co_ci_u32_e32 v27, vcc_lo, s9, v27, vcc_lo
	v_lshlrev_b64 v[35:36], 2, v[5:6]
	s_waitcnt vmcnt(0)
	v_dual_fmac_f32 v10, v15, v31 :: v_dual_add_nc_u32 v5, -12, v2
	global_load_b32 v43, v[26:27], off
	v_add_co_u32 v26, vcc_lo, s8, v33
	v_add_co_ci_u32_e32 v27, vcc_lo, s9, v34, vcc_lo
	v_lshlrev_b64 v[33:34], 2, v[5:6]
	v_add_nc_u32_e32 v5, -6, v2
	v_add_co_u32 v35, vcc_lo, s8, v35
	global_load_b32 v44, v[26:27], off
	v_add_co_ci_u32_e32 v36, vcc_lo, s9, v36, vcc_lo
	v_lshlrev_b64 v[26:27], 2, v[5:6]
	v_add_co_u32 v33, vcc_lo, s8, v33
	v_add_co_ci_u32_e32 v34, vcc_lo, s9, v34, vcc_lo
	global_load_b32 v5, v[35:36], off
	v_add_co_u32 v26, vcc_lo, s8, v26
	v_add_co_ci_u32_e32 v27, vcc_lo, s9, v27, vcc_lo
	s_clause 0x2
	global_load_b32 v33, v[33:34], off
	global_load_b32 v26, v[26:27], off
	;; [unrolled: 1-line block ×3, first 2 shown]
	v_dual_fmac_f32 v11, v38, v8 :: v_dual_add_nc_u32 v2, 0x600, v2
	v_cmp_ge_i32_e32 vcc_lo, v0, v14
	v_fmac_f32_e32 v10, v16, v32
	s_delay_alu instid0(VALU_DEP_3) | instskip(SKIP_1) | instid1(VALU_DEP_1)
	v_fmac_f32_e32 v11, v40, v24
	s_or_b32 s2, vcc_lo, s2
	v_fmac_f32_e32 v11, v42, v25
	s_waitcnt vmcnt(5)
	v_fmac_f32_e32 v13, v43, v31
	s_waitcnt vmcnt(4)
	;; [unrolled: 2-line block ×6, first 2 shown]
	v_fmac_f32_e32 v11, v27, v32
	s_and_not1_b32 exec_lo, exec_lo, s2
	s_cbranch_execnz .LBB24_15
; %bb.16:
	s_or_b32 exec_lo, exec_lo, s2
.LBB24_17:
	s_delay_alu instid0(SALU_CYCLE_1)
	s_or_b32 exec_lo, exec_lo, s3
.LBB24_18:
	v_mbcnt_lo_u32_b32 v0, -1, 0
	s_mov_b32 s2, -1
	s_delay_alu instid0(VALU_DEP_1) | instskip(SKIP_1) | instid1(VALU_DEP_2)
	v_or_b32_e32 v1, 32, v0
	v_xor_b32_e32 v6, 16, v0
	v_cmp_gt_i32_e32 vcc_lo, 32, v1
	v_cndmask_b32_e32 v1, v0, v1, vcc_lo
	s_delay_alu instid0(VALU_DEP_3) | instskip(SKIP_1) | instid1(VALU_DEP_1)
	v_cmp_gt_i32_e32 vcc_lo, 32, v6
	v_cndmask_b32_e32 v6, v0, v6, vcc_lo
	v_lshlrev_b32_e32 v6, 2, v6
	s_delay_alu instid0(VALU_DEP_4)
	v_lshlrev_b32_e32 v1, 2, v1
	ds_bpermute_b32 v2, v1, v10
	s_waitcnt lgkmcnt(0)
	v_add_f32_e32 v2, v10, v2
	ds_bpermute_b32 v3, v1, v13
	ds_bpermute_b32 v5, v1, v12
	;; [unrolled: 1-line block ×4, first 2 shown]
	s_waitcnt lgkmcnt(3)
	v_add_f32_e32 v3, v13, v3
	s_waitcnt lgkmcnt(0)
	v_dual_add_f32 v5, v12, v5 :: v_dual_add_f32 v2, v2, v7
	v_add_f32_e32 v1, v11, v1
	ds_bpermute_b32 v8, v6, v3
	ds_bpermute_b32 v10, v6, v5
	v_xor_b32_e32 v11, 8, v0
	ds_bpermute_b32 v6, v6, v1
	v_cmp_gt_i32_e32 vcc_lo, 32, v11
	v_cndmask_b32_e32 v11, v0, v11, vcc_lo
	s_delay_alu instid0(VALU_DEP_1)
	v_lshlrev_b32_e32 v11, 2, v11
	s_waitcnt lgkmcnt(2)
	v_add_f32_e32 v3, v3, v8
	s_waitcnt lgkmcnt(1)
	v_add_f32_e32 v5, v5, v10
	;; [unrolled: 2-line block ×3, first 2 shown]
	ds_bpermute_b32 v6, v11, v2
	ds_bpermute_b32 v7, v11, v3
	;; [unrolled: 1-line block ×4, first 2 shown]
	v_xor_b32_e32 v11, 4, v0
	s_delay_alu instid0(VALU_DEP_1) | instskip(SKIP_2) | instid1(VALU_DEP_1)
	v_cmp_gt_i32_e32 vcc_lo, 32, v11
	v_cndmask_b32_e32 v11, v0, v11, vcc_lo
	s_waitcnt lgkmcnt(3)
	v_dual_add_f32 v2, v2, v6 :: v_dual_lshlrev_b32 v11, 2, v11
	s_waitcnt lgkmcnt(2)
	v_add_f32_e32 v3, v3, v7
	s_waitcnt lgkmcnt(1)
	v_add_f32_e32 v5, v5, v8
	;; [unrolled: 2-line block ×3, first 2 shown]
	ds_bpermute_b32 v6, v11, v2
	ds_bpermute_b32 v7, v11, v3
	;; [unrolled: 1-line block ×4, first 2 shown]
	v_xor_b32_e32 v11, 2, v0
	s_delay_alu instid0(VALU_DEP_1) | instskip(SKIP_2) | instid1(VALU_DEP_1)
	v_cmp_gt_i32_e32 vcc_lo, 32, v11
	v_cndmask_b32_e32 v11, v0, v11, vcc_lo
	s_waitcnt lgkmcnt(3)
	v_dual_add_f32 v2, v2, v6 :: v_dual_lshlrev_b32 v11, 2, v11
	s_waitcnt lgkmcnt(2)
	v_add_f32_e32 v3, v3, v7
	s_waitcnt lgkmcnt(1)
	v_add_f32_e32 v5, v5, v8
	;; [unrolled: 2-line block ×3, first 2 shown]
	ds_bpermute_b32 v1, v11, v2
	ds_bpermute_b32 v7, v11, v3
	;; [unrolled: 1-line block ×4, first 2 shown]
	v_xor_b32_e32 v11, 1, v0
	s_delay_alu instid0(VALU_DEP_1) | instskip(SKIP_3) | instid1(VALU_DEP_2)
	v_cmp_gt_i32_e32 vcc_lo, 32, v11
	v_cndmask_b32_e32 v0, v0, v11, vcc_lo
	v_cmp_eq_u32_e32 vcc_lo, 63, v9
	s_waitcnt lgkmcnt(3)
	v_dual_add_f32 v0, v2, v1 :: v_dual_lshlrev_b32 v11, 2, v0
	s_waitcnt lgkmcnt(1)
	v_dual_add_f32 v1, v3, v7 :: v_dual_add_f32 v2, v5, v8
	s_waitcnt lgkmcnt(0)
	v_add_f32_e32 v3, v6, v10
	ds_bpermute_b32 v5, v11, v0
	ds_bpermute_b32 v6, v11, v1
	;; [unrolled: 1-line block ×4, first 2 shown]
	s_and_b32 exec_lo, exec_lo, vcc_lo
	s_cbranch_execz .LBB24_23
; %bb.19:
	s_load_b64 s[0:1], s[0:1], 0x38
	s_waitcnt lgkmcnt(0)
	v_dual_add_f32 v0, v0, v5 :: v_dual_add_f32 v1, v1, v6
	v_dual_add_f32 v2, v2, v7 :: v_dual_add_f32 v3, v3, v8
	v_cmp_eq_f32_e64 s3, s12, 0
	s_delay_alu instid0(VALU_DEP_3) | instskip(NEXT) | instid1(VALU_DEP_3)
	v_dual_mul_f32 v0, s16, v0 :: v_dual_mul_f32 v1, s16, v1
	v_dual_mul_f32 v2, s16, v2 :: v_dual_mul_f32 v3, s16, v3
	v_lshlrev_b32_e32 v4, 2, v4
	s_delay_alu instid0(VALU_DEP_4)
	s_and_b32 vcc_lo, exec_lo, s3
	s_cbranch_vccz .LBB24_21
; %bb.20:
	s_delay_alu instid0(VALU_DEP_1) | instskip(SKIP_1) | instid1(VALU_DEP_1)
	v_ashrrev_i32_e32 v5, 31, v4
	s_mov_b32 s2, 0
	v_lshlrev_b64 v[5:6], 2, v[4:5]
	s_delay_alu instid0(VALU_DEP_1) | instskip(NEXT) | instid1(VALU_DEP_2)
	v_add_co_u32 v5, vcc_lo, s0, v5
	v_add_co_ci_u32_e32 v6, vcc_lo, s1, v6, vcc_lo
	global_store_b128 v[5:6], v[0:3], off
.LBB24_21:
	s_and_not1_b32 vcc_lo, exec_lo, s2
	s_cbranch_vccnz .LBB24_23
; %bb.22:
	v_ashrrev_i32_e32 v5, 31, v4
	s_delay_alu instid0(VALU_DEP_1) | instskip(NEXT) | instid1(VALU_DEP_1)
	v_lshlrev_b64 v[4:5], 2, v[4:5]
	v_add_co_u32 v8, vcc_lo, s0, v4
	s_delay_alu instid0(VALU_DEP_2)
	v_add_co_ci_u32_e32 v9, vcc_lo, s1, v5, vcc_lo
	global_load_b128 v[4:7], v[8:9], off
	s_waitcnt vmcnt(0)
	v_dual_fmac_f32 v0, s12, v4 :: v_dual_fmac_f32 v1, s12, v5
	v_dual_fmac_f32 v2, s12, v6 :: v_dual_fmac_f32 v3, s12, v7
	global_store_b128 v[8:9], v[0:3], off
.LBB24_23:
	s_nop 0
	s_sendmsg sendmsg(MSG_DEALLOC_VGPRS)
	s_endpgm
	.section	.rodata,"a",@progbits
	.p2align	6, 0x0
	.amdhsa_kernel _ZN9rocsparseL19gebsrmvn_4xn_kernelILj128ELj6ELj64EfEEvi20rocsparse_direction_NS_24const_host_device_scalarIT2_EEPKiS6_PKS3_S8_S4_PS3_21rocsparse_index_base_b
		.amdhsa_group_segment_fixed_size 0
		.amdhsa_private_segment_fixed_size 0
		.amdhsa_kernarg_size 72
		.amdhsa_user_sgpr_count 15
		.amdhsa_user_sgpr_dispatch_ptr 0
		.amdhsa_user_sgpr_queue_ptr 0
		.amdhsa_user_sgpr_kernarg_segment_ptr 1
		.amdhsa_user_sgpr_dispatch_id 0
		.amdhsa_user_sgpr_private_segment_size 0
		.amdhsa_wavefront_size32 1
		.amdhsa_uses_dynamic_stack 0
		.amdhsa_enable_private_segment 0
		.amdhsa_system_sgpr_workgroup_id_x 1
		.amdhsa_system_sgpr_workgroup_id_y 0
		.amdhsa_system_sgpr_workgroup_id_z 0
		.amdhsa_system_sgpr_workgroup_info 0
		.amdhsa_system_vgpr_workitem_id 0
		.amdhsa_next_free_vgpr 45
		.amdhsa_next_free_sgpr 20
		.amdhsa_reserve_vcc 1
		.amdhsa_float_round_mode_32 0
		.amdhsa_float_round_mode_16_64 0
		.amdhsa_float_denorm_mode_32 3
		.amdhsa_float_denorm_mode_16_64 3
		.amdhsa_dx10_clamp 1
		.amdhsa_ieee_mode 1
		.amdhsa_fp16_overflow 0
		.amdhsa_workgroup_processor_mode 1
		.amdhsa_memory_ordered 1
		.amdhsa_forward_progress 0
		.amdhsa_shared_vgpr_count 0
		.amdhsa_exception_fp_ieee_invalid_op 0
		.amdhsa_exception_fp_denorm_src 0
		.amdhsa_exception_fp_ieee_div_zero 0
		.amdhsa_exception_fp_ieee_overflow 0
		.amdhsa_exception_fp_ieee_underflow 0
		.amdhsa_exception_fp_ieee_inexact 0
		.amdhsa_exception_int_div_zero 0
	.end_amdhsa_kernel
	.section	.text._ZN9rocsparseL19gebsrmvn_4xn_kernelILj128ELj6ELj64EfEEvi20rocsparse_direction_NS_24const_host_device_scalarIT2_EEPKiS6_PKS3_S8_S4_PS3_21rocsparse_index_base_b,"axG",@progbits,_ZN9rocsparseL19gebsrmvn_4xn_kernelILj128ELj6ELj64EfEEvi20rocsparse_direction_NS_24const_host_device_scalarIT2_EEPKiS6_PKS3_S8_S4_PS3_21rocsparse_index_base_b,comdat
.Lfunc_end24:
	.size	_ZN9rocsparseL19gebsrmvn_4xn_kernelILj128ELj6ELj64EfEEvi20rocsparse_direction_NS_24const_host_device_scalarIT2_EEPKiS6_PKS3_S8_S4_PS3_21rocsparse_index_base_b, .Lfunc_end24-_ZN9rocsparseL19gebsrmvn_4xn_kernelILj128ELj6ELj64EfEEvi20rocsparse_direction_NS_24const_host_device_scalarIT2_EEPKiS6_PKS3_S8_S4_PS3_21rocsparse_index_base_b
                                        ; -- End function
	.section	.AMDGPU.csdata,"",@progbits
; Kernel info:
; codeLenInByte = 2568
; NumSgprs: 22
; NumVgprs: 45
; ScratchSize: 0
; MemoryBound: 0
; FloatMode: 240
; IeeeMode: 1
; LDSByteSize: 0 bytes/workgroup (compile time only)
; SGPRBlocks: 2
; VGPRBlocks: 5
; NumSGPRsForWavesPerEU: 22
; NumVGPRsForWavesPerEU: 45
; Occupancy: 16
; WaveLimiterHint : 1
; COMPUTE_PGM_RSRC2:SCRATCH_EN: 0
; COMPUTE_PGM_RSRC2:USER_SGPR: 15
; COMPUTE_PGM_RSRC2:TRAP_HANDLER: 0
; COMPUTE_PGM_RSRC2:TGID_X_EN: 1
; COMPUTE_PGM_RSRC2:TGID_Y_EN: 0
; COMPUTE_PGM_RSRC2:TGID_Z_EN: 0
; COMPUTE_PGM_RSRC2:TIDIG_COMP_CNT: 0
	.section	.text._ZN9rocsparseL19gebsrmvn_4xn_kernelILj128ELj7ELj4EfEEvi20rocsparse_direction_NS_24const_host_device_scalarIT2_EEPKiS6_PKS3_S8_S4_PS3_21rocsparse_index_base_b,"axG",@progbits,_ZN9rocsparseL19gebsrmvn_4xn_kernelILj128ELj7ELj4EfEEvi20rocsparse_direction_NS_24const_host_device_scalarIT2_EEPKiS6_PKS3_S8_S4_PS3_21rocsparse_index_base_b,comdat
	.globl	_ZN9rocsparseL19gebsrmvn_4xn_kernelILj128ELj7ELj4EfEEvi20rocsparse_direction_NS_24const_host_device_scalarIT2_EEPKiS6_PKS3_S8_S4_PS3_21rocsparse_index_base_b ; -- Begin function _ZN9rocsparseL19gebsrmvn_4xn_kernelILj128ELj7ELj4EfEEvi20rocsparse_direction_NS_24const_host_device_scalarIT2_EEPKiS6_PKS3_S8_S4_PS3_21rocsparse_index_base_b
	.p2align	8
	.type	_ZN9rocsparseL19gebsrmvn_4xn_kernelILj128ELj7ELj4EfEEvi20rocsparse_direction_NS_24const_host_device_scalarIT2_EEPKiS6_PKS3_S8_S4_PS3_21rocsparse_index_base_b,@function
_ZN9rocsparseL19gebsrmvn_4xn_kernelILj128ELj7ELj4EfEEvi20rocsparse_direction_NS_24const_host_device_scalarIT2_EEPKiS6_PKS3_S8_S4_PS3_21rocsparse_index_base_b: ; @_ZN9rocsparseL19gebsrmvn_4xn_kernelILj128ELj7ELj4EfEEvi20rocsparse_direction_NS_24const_host_device_scalarIT2_EEPKiS6_PKS3_S8_S4_PS3_21rocsparse_index_base_b
; %bb.0:
	s_clause 0x2
	s_load_b64 s[18:19], s[0:1], 0x40
	s_load_b64 s[16:17], s[0:1], 0x8
	;; [unrolled: 1-line block ×3, first 2 shown]
	s_waitcnt lgkmcnt(0)
	s_bitcmp1_b32 s19, 0
	s_cselect_b32 s2, -1, 0
	s_delay_alu instid0(SALU_CYCLE_1)
	s_and_b32 vcc_lo, exec_lo, s2
	s_xor_b32 s2, s2, -1
	s_cbranch_vccnz .LBB25_2
; %bb.1:
	s_load_b32 s16, s[16:17], 0x0
.LBB25_2:
	s_and_not1_b32 vcc_lo, exec_lo, s2
	s_cbranch_vccnz .LBB25_4
; %bb.3:
	s_load_b32 s12, s[12:13], 0x0
.LBB25_4:
	s_waitcnt lgkmcnt(0)
	v_cmp_eq_f32_e64 s2, s16, 0
	v_cmp_eq_f32_e64 s3, s12, 1.0
	s_delay_alu instid0(VALU_DEP_1) | instskip(NEXT) | instid1(SALU_CYCLE_1)
	s_and_b32 s2, s2, s3
	s_and_b32 vcc_lo, exec_lo, s2
	s_cbranch_vccnz .LBB25_23
; %bb.5:
	s_load_b64 s[2:3], s[0:1], 0x0
	v_lshrrev_b32_e32 v1, 2, v0
	s_delay_alu instid0(VALU_DEP_1) | instskip(SKIP_1) | instid1(VALU_DEP_1)
	v_lshl_or_b32 v4, s15, 5, v1
	s_waitcnt lgkmcnt(0)
	v_cmp_gt_i32_e32 vcc_lo, s2, v4
	s_and_saveexec_b32 s2, vcc_lo
	s_cbranch_execz .LBB25_23
; %bb.6:
	s_load_b256 s[4:11], s[0:1], 0x10
	v_ashrrev_i32_e32 v5, 31, v4
	v_and_b32_e32 v9, 3, v0
	s_cmp_lg_u32 s3, 0
	s_delay_alu instid0(VALU_DEP_2) | instskip(SKIP_1) | instid1(VALU_DEP_1)
	v_lshlrev_b64 v[1:2], 2, v[4:5]
	s_waitcnt lgkmcnt(0)
	v_add_co_u32 v1, vcc_lo, s4, v1
	s_delay_alu instid0(VALU_DEP_2) | instskip(SKIP_4) | instid1(VALU_DEP_2)
	v_add_co_ci_u32_e32 v2, vcc_lo, s5, v2, vcc_lo
	global_load_b64 v[1:2], v[1:2], off
	s_waitcnt vmcnt(0)
	v_subrev_nc_u32_e32 v0, s18, v1
	v_subrev_nc_u32_e32 v14, s18, v2
	v_add_nc_u32_e32 v0, v0, v9
	s_delay_alu instid0(VALU_DEP_1)
	v_cmp_lt_i32_e64 s2, v0, v14
	s_cbranch_scc0 .LBB25_12
; %bb.7:
	v_dual_mov_b32 v10, 0 :: v_dual_mov_b32 v11, 0
	v_dual_mov_b32 v12, 0 :: v_dual_mov_b32 v13, 0
	s_mov_b32 s3, 0
	s_and_saveexec_b32 s4, s2
	s_cbranch_execz .LBB25_11
; %bb.8:
	v_mad_u64_u32 v[1:2], null, v0, 28, 24
	v_dual_mov_b32 v6, 0 :: v_dual_mov_b32 v7, v0
	v_dual_mov_b32 v10, 0 :: v_dual_mov_b32 v11, 0
	;; [unrolled: 1-line block ×3, first 2 shown]
	s_mov_b32 s5, 0
.LBB25_9:                               ; =>This Inner Loop Header: Depth=1
	s_delay_alu instid0(VALU_DEP_3) | instskip(SKIP_1) | instid1(VALU_DEP_2)
	v_ashrrev_i32_e32 v8, 31, v7
	v_subrev_nc_u32_e32 v5, 24, v1
	v_lshlrev_b64 v[2:3], 2, v[7:8]
	s_delay_alu instid0(VALU_DEP_2) | instskip(SKIP_2) | instid1(VALU_DEP_4)
	v_lshlrev_b64 v[15:16], 2, v[5:6]
	v_subrev_nc_u32_e32 v5, 20, v1
	v_add_nc_u32_e32 v7, 4, v7
	v_add_co_u32 v2, vcc_lo, s6, v2
	v_add_co_ci_u32_e32 v3, vcc_lo, s7, v3, vcc_lo
	s_delay_alu instid0(VALU_DEP_4) | instskip(SKIP_4) | instid1(VALU_DEP_2)
	v_lshlrev_b64 v[19:20], 2, v[5:6]
	v_add_co_u32 v15, vcc_lo, s8, v15
	global_load_b32 v8, v[2:3], off
	v_mov_b32_e32 v2, v6
	v_add_co_ci_u32_e32 v16, vcc_lo, s9, v16, vcc_lo
	v_lshlrev_b64 v[17:18], 2, v[1:2]
	s_delay_alu instid0(VALU_DEP_1) | instskip(NEXT) | instid1(VALU_DEP_2)
	v_add_co_u32 v39, vcc_lo, s8, v17
	v_add_co_ci_u32_e32 v40, vcc_lo, s9, v18, vcc_lo
	v_add_co_u32 v19, vcc_lo, s8, v19
	v_add_co_ci_u32_e32 v20, vcc_lo, s9, v20, vcc_lo
	s_clause 0x1
	global_load_b128 v[15:18], v[15:16], off
	global_load_b128 v[19:22], v[19:20], off
	v_mov_b32_e32 v3, v6
	s_waitcnt vmcnt(2)
	v_subrev_nc_u32_e32 v2, s18, v8
	s_delay_alu instid0(VALU_DEP_1) | instskip(NEXT) | instid1(VALU_DEP_1)
	v_mul_lo_u32 v2, v2, 7
	v_lshlrev_b64 v[23:24], 2, v[2:3]
	s_delay_alu instid0(VALU_DEP_1) | instskip(NEXT) | instid1(VALU_DEP_2)
	v_add_co_u32 v23, vcc_lo, s10, v23
	v_add_co_ci_u32_e32 v24, vcc_lo, s11, v24, vcc_lo
	global_load_b32 v8, v[23:24], off
	v_add_nc_u32_e32 v5, 1, v2
	s_delay_alu instid0(VALU_DEP_1) | instskip(SKIP_1) | instid1(VALU_DEP_1)
	v_lshlrev_b64 v[25:26], 2, v[5:6]
	v_add_nc_u32_e32 v5, -16, v1
	v_lshlrev_b64 v[27:28], 2, v[5:6]
	s_delay_alu instid0(VALU_DEP_3) | instskip(NEXT) | instid1(VALU_DEP_4)
	v_add_co_u32 v25, vcc_lo, s10, v25
	v_add_co_ci_u32_e32 v26, vcc_lo, s11, v26, vcc_lo
	global_load_b32 v45, v[25:26], off
	v_add_co_u32 v25, vcc_lo, s8, v27
	v_add_co_ci_u32_e32 v26, vcc_lo, s9, v28, vcc_lo
	s_waitcnt vmcnt(1)
	v_fmac_f32_e32 v12, v17, v8
	v_dual_fmac_f32 v10, v15, v8 :: v_dual_add_nc_u32 v5, 2, v2
	s_waitcnt vmcnt(0)
	s_delay_alu instid0(VALU_DEP_1) | instskip(NEXT) | instid1(VALU_DEP_2)
	v_fmac_f32_e32 v10, v19, v45
	v_lshlrev_b64 v[23:24], 2, v[5:6]
	v_fmac_f32_e32 v12, v21, v45
	s_delay_alu instid0(VALU_DEP_2) | instskip(NEXT) | instid1(VALU_DEP_3)
	v_add_co_u32 v29, vcc_lo, s10, v23
	v_add_co_ci_u32_e32 v30, vcc_lo, s11, v24, vcc_lo
	global_load_b128 v[23:26], v[25:26], off
	global_load_b32 v46, v[29:30], off
	v_add_nc_u32_e32 v5, -12, v1
	s_delay_alu instid0(VALU_DEP_1) | instskip(SKIP_1) | instid1(VALU_DEP_1)
	v_lshlrev_b64 v[27:28], 2, v[5:6]
	v_add_nc_u32_e32 v5, 3, v2
	v_lshlrev_b64 v[31:32], 2, v[5:6]
	s_delay_alu instid0(VALU_DEP_3) | instskip(NEXT) | instid1(VALU_DEP_4)
	v_add_co_u32 v27, vcc_lo, s8, v27
	v_add_co_ci_u32_e32 v28, vcc_lo, s9, v28, vcc_lo
	s_delay_alu instid0(VALU_DEP_3) | instskip(NEXT) | instid1(VALU_DEP_4)
	v_add_co_u32 v31, vcc_lo, s10, v31
	v_add_co_ci_u32_e32 v32, vcc_lo, s11, v32, vcc_lo
	global_load_b32 v47, v[31:32], off
	global_load_b128 v[27:30], v[27:28], off
	s_waitcnt vmcnt(2)
	v_dual_fmac_f32 v12, v25, v46 :: v_dual_add_nc_u32 v5, -8, v1
	s_delay_alu instid0(VALU_DEP_1) | instskip(SKIP_2) | instid1(VALU_DEP_3)
	v_lshlrev_b64 v[33:34], 2, v[5:6]
	v_fmac_f32_e32 v10, v23, v46
	v_add_nc_u32_e32 v5, 4, v2
	v_add_co_u32 v31, vcc_lo, s8, v33
	s_delay_alu instid0(VALU_DEP_4)
	v_add_co_ci_u32_e32 v32, vcc_lo, s9, v34, vcc_lo
	global_load_b128 v[31:34], v[31:32], off
	s_waitcnt vmcnt(1)
	v_fmac_f32_e32 v10, v27, v47
	v_lshlrev_b64 v[35:36], 2, v[5:6]
	v_dual_fmac_f32 v12, v29, v47 :: v_dual_add_nc_u32 v5, -4, v1
	v_add_nc_u32_e32 v1, 0x70, v1
	s_delay_alu instid0(VALU_DEP_3) | instskip(NEXT) | instid1(VALU_DEP_4)
	v_add_co_u32 v35, vcc_lo, s10, v35
	v_add_co_ci_u32_e32 v36, vcc_lo, s11, v36, vcc_lo
	s_delay_alu instid0(VALU_DEP_4) | instskip(SKIP_3) | instid1(VALU_DEP_1)
	v_lshlrev_b64 v[37:38], 2, v[5:6]
	global_load_b32 v48, v[35:36], off
	s_waitcnt vmcnt(0)
	v_dual_fmac_f32 v10, v31, v48 :: v_dual_add_nc_u32 v5, 5, v2
	v_lshlrev_b64 v[41:42], 2, v[5:6]
	v_dual_fmac_f32 v12, v33, v48 :: v_dual_add_nc_u32 v5, 6, v2
	v_add_co_u32 v2, vcc_lo, s8, v37
	v_add_co_ci_u32_e32 v3, vcc_lo, s9, v38, vcc_lo
	s_delay_alu instid0(VALU_DEP_3)
	v_lshlrev_b64 v[43:44], 2, v[5:6]
	v_add_co_u32 v41, vcc_lo, s10, v41
	v_add_co_ci_u32_e32 v42, vcc_lo, s11, v42, vcc_lo
	global_load_b128 v[35:38], v[2:3], off
	global_load_b32 v5, v[41:42], off
	v_add_co_u32 v2, vcc_lo, s10, v43
	v_add_co_ci_u32_e32 v3, vcc_lo, s11, v44, vcc_lo
	global_load_b128 v[39:42], v[39:40], off
	global_load_b32 v2, v[2:3], off
	v_fmac_f32_e32 v13, v16, v8
	v_fmac_f32_e32 v11, v18, v8
	v_cmp_ge_i32_e32 vcc_lo, v7, v14
	s_or_b32 s5, vcc_lo, s5
	s_waitcnt vmcnt(2)
	v_fmac_f32_e32 v12, v37, v5
	v_fmac_f32_e32 v11, v22, v45
	v_fmac_f32_e32 v10, v35, v5
	s_waitcnt vmcnt(0)
	s_delay_alu instid0(VALU_DEP_1) | instskip(NEXT) | instid1(VALU_DEP_1)
	v_dual_fmac_f32 v13, v20, v45 :: v_dual_fmac_f32 v10, v39, v2
	v_fmac_f32_e32 v13, v24, v46
	v_fmac_f32_e32 v12, v41, v2
	;; [unrolled: 1-line block ×3, first 2 shown]
	s_delay_alu instid0(VALU_DEP_3) | instskip(NEXT) | instid1(VALU_DEP_2)
	v_fmac_f32_e32 v13, v28, v47
	v_fmac_f32_e32 v11, v30, v47
	s_delay_alu instid0(VALU_DEP_2) | instskip(NEXT) | instid1(VALU_DEP_2)
	v_fmac_f32_e32 v13, v32, v48
	v_fmac_f32_e32 v11, v34, v48
	s_delay_alu instid0(VALU_DEP_2) | instskip(NEXT) | instid1(VALU_DEP_2)
	;; [unrolled: 3-line block ×3, first 2 shown]
	v_fmac_f32_e32 v13, v40, v2
	v_fmac_f32_e32 v11, v42, v2
	s_and_not1_b32 exec_lo, exec_lo, s5
	s_cbranch_execnz .LBB25_9
; %bb.10:
	s_or_b32 exec_lo, exec_lo, s5
.LBB25_11:
	s_delay_alu instid0(SALU_CYCLE_1) | instskip(NEXT) | instid1(SALU_CYCLE_1)
	s_or_b32 exec_lo, exec_lo, s4
	s_and_not1_b32 vcc_lo, exec_lo, s3
	s_cbranch_vccz .LBB25_13
	s_branch .LBB25_18
.LBB25_12:
                                        ; implicit-def: $vgpr10
                                        ; implicit-def: $vgpr11
                                        ; implicit-def: $vgpr12
                                        ; implicit-def: $vgpr13
.LBB25_13:
	v_dual_mov_b32 v10, 0 :: v_dual_mov_b32 v11, 0
	v_dual_mov_b32 v12, 0 :: v_dual_mov_b32 v13, 0
	s_delay_alu instid0(VALU_DEP_3)
	s_and_saveexec_b32 s3, s2
	s_cbranch_execz .LBB25_17
; %bb.14:
	v_mad_u64_u32 v[2:3], null, v0, 28, 27
	v_dual_mov_b32 v6, 0 :: v_dual_mov_b32 v11, 0
	v_dual_mov_b32 v10, 0 :: v_dual_mov_b32 v13, 0
	v_mov_b32_e32 v12, 0
	s_mov_b32 s2, 0
.LBB25_15:                              ; =>This Inner Loop Header: Depth=1
	v_ashrrev_i32_e32 v1, 31, v0
	v_subrev_nc_u32_e32 v5, 27, v2
	v_add_nc_u32_e32 v17, -6, v2
	v_dual_mov_b32 v20, v6 :: v_dual_add_nc_u32 v15, -13, v2
	s_delay_alu instid0(VALU_DEP_4) | instskip(NEXT) | instid1(VALU_DEP_4)
	v_lshlrev_b64 v[7:8], 2, v[0:1]
	v_lshlrev_b64 v[21:22], 2, v[5:6]
	v_mov_b32_e32 v18, v6
	v_dual_mov_b32 v3, v6 :: v_dual_add_nc_u32 v0, 4, v0
	s_delay_alu instid0(VALU_DEP_4)
	v_add_co_u32 v7, vcc_lo, s6, v7
	v_add_co_ci_u32_e32 v8, vcc_lo, s7, v8, vcc_lo
	v_add_co_u32 v21, vcc_lo, s8, v21
	v_add_co_ci_u32_e32 v22, vcc_lo, s9, v22, vcc_lo
	global_load_b32 v1, v[7:8], off
	v_subrev_nc_u32_e32 v7, 20, v2
	v_mov_b32_e32 v8, v6
	v_lshlrev_b64 v[17:18], 2, v[17:18]
	v_lshlrev_b64 v[23:24], 2, v[2:3]
	s_delay_alu instid0(VALU_DEP_3) | instskip(NEXT) | instid1(VALU_DEP_1)
	v_lshlrev_b64 v[7:8], 2, v[7:8]
	v_add_co_u32 v7, vcc_lo, s8, v7
	s_delay_alu instid0(VALU_DEP_2) | instskip(SKIP_2) | instid1(VALU_DEP_1)
	v_add_co_ci_u32_e32 v8, vcc_lo, s9, v8, vcc_lo
	s_waitcnt vmcnt(0)
	v_subrev_nc_u32_e32 v1, s18, v1
	v_mul_lo_u32 v19, v1, 7
	s_delay_alu instid0(VALU_DEP_1) | instskip(NEXT) | instid1(VALU_DEP_1)
	v_dual_mov_b32 v16, v6 :: v_dual_add_nc_u32 v5, 1, v19
	v_lshlrev_b64 v[15:16], 2, v[15:16]
	s_delay_alu instid0(VALU_DEP_1) | instskip(NEXT) | instid1(VALU_DEP_2)
	v_add_co_u32 v25, vcc_lo, s8, v15
	v_add_co_ci_u32_e32 v26, vcc_lo, s9, v16, vcc_lo
	v_add_co_u32 v27, vcc_lo, s8, v17
	v_add_co_ci_u32_e32 v28, vcc_lo, s9, v18, vcc_lo
	s_clause 0x3
	global_load_b128 v[15:18], v[21:22], off
	global_load_b32 v3, v[7:8], off
	global_load_b32 v29, v[25:26], off
	;; [unrolled: 1-line block ×3, first 2 shown]
	v_lshlrev_b64 v[7:8], 2, v[19:20]
	v_add_co_u32 v23, vcc_lo, s8, v23
	v_add_co_ci_u32_e32 v24, vcc_lo, s9, v24, vcc_lo
	v_lshlrev_b64 v[20:21], 2, v[5:6]
	s_delay_alu instid0(VALU_DEP_4)
	v_add_co_u32 v7, vcc_lo, s10, v7
	v_add_co_ci_u32_e32 v8, vcc_lo, s11, v8, vcc_lo
	v_subrev_nc_u32_e32 v5, 19, v2
	global_load_b32 v1, v[7:8], off
	v_add_co_u32 v7, vcc_lo, s10, v20
	v_add_co_ci_u32_e32 v8, vcc_lo, s11, v21, vcc_lo
	v_lshlrev_b64 v[25:26], 2, v[5:6]
	v_add_nc_u32_e32 v5, -12, v2
	global_load_b32 v28, v[7:8], off
	v_lshlrev_b64 v[20:21], 2, v[5:6]
	v_add_co_u32 v25, vcc_lo, s8, v25
	v_add_co_ci_u32_e32 v26, vcc_lo, s9, v26, vcc_lo
	v_add_nc_u32_e32 v5, -5, v2
	s_delay_alu instid0(VALU_DEP_4)
	v_add_co_u32 v20, vcc_lo, s8, v20
	v_add_co_ci_u32_e32 v21, vcc_lo, s9, v21, vcc_lo
	s_clause 0x1
	global_load_b32 v30, v[25:26], off
	global_load_b32 v31, v[20:21], off
	s_waitcnt vmcnt(3)
	v_fmac_f32_e32 v12, v29, v1
	v_lshlrev_b64 v[7:8], 2, v[5:6]
	v_dual_fmac_f32 v10, v15, v1 :: v_dual_add_nc_u32 v5, 2, v19
	v_fmac_f32_e32 v13, v3, v1
	v_fmac_f32_e32 v11, v27, v1
	s_delay_alu instid0(VALU_DEP_4)
	v_add_co_u32 v7, vcc_lo, s8, v7
	s_waitcnt vmcnt(2)
	v_fmac_f32_e32 v10, v16, v28
	v_lshlrev_b64 v[25:26], 2, v[5:6]
	v_add_co_ci_u32_e32 v8, vcc_lo, s9, v8, vcc_lo
	v_subrev_nc_u32_e32 v5, 18, v2
	global_load_b32 v32, v[7:8], off
	v_add_co_u32 v7, vcc_lo, s10, v25
	v_add_co_ci_u32_e32 v8, vcc_lo, s11, v26, vcc_lo
	v_lshlrev_b64 v[20:21], 2, v[5:6]
	s_waitcnt vmcnt(1)
	v_dual_fmac_f32 v12, v31, v28 :: v_dual_add_nc_u32 v5, -11, v2
	global_load_b32 v33, v[7:8], off
	v_add_co_u32 v20, vcc_lo, s8, v20
	v_lshlrev_b64 v[25:26], 2, v[5:6]
	v_add_co_ci_u32_e32 v21, vcc_lo, s9, v21, vcc_lo
	v_add_nc_u32_e32 v5, -4, v2
	global_load_b32 v34, v[20:21], off
	v_add_co_u32 v20, vcc_lo, s8, v25
	v_add_co_ci_u32_e32 v21, vcc_lo, s9, v26, vcc_lo
	global_load_b32 v35, v[20:21], off
	s_waitcnt vmcnt(2)
	v_fmac_f32_e32 v10, v17, v33
	v_lshlrev_b64 v[7:8], 2, v[5:6]
	s_delay_alu instid0(VALU_DEP_1) | instskip(NEXT) | instid1(VALU_DEP_2)
	v_add_co_u32 v7, vcc_lo, s8, v7
	v_add_co_ci_u32_e32 v8, vcc_lo, s9, v8, vcc_lo
	global_load_b32 v36, v[7:8], off
	s_waitcnt vmcnt(1)
	v_dual_fmac_f32 v12, v35, v33 :: v_dual_add_nc_u32 v5, 3, v19
	s_delay_alu instid0(VALU_DEP_1) | instskip(SKIP_1) | instid1(VALU_DEP_2)
	v_lshlrev_b64 v[25:26], 2, v[5:6]
	v_subrev_nc_u32_e32 v5, 17, v2
	v_add_co_u32 v7, vcc_lo, s10, v25
	s_delay_alu instid0(VALU_DEP_3) | instskip(NEXT) | instid1(VALU_DEP_3)
	v_add_co_ci_u32_e32 v8, vcc_lo, s11, v26, vcc_lo
	v_lshlrev_b64 v[20:21], 2, v[5:6]
	global_load_b32 v37, v[7:8], off
	v_add_nc_u32_e32 v5, -10, v2
	v_add_co_u32 v20, vcc_lo, s8, v20
	v_add_co_ci_u32_e32 v21, vcc_lo, s9, v21, vcc_lo
	global_load_b32 v38, v[20:21], off
	s_waitcnt vmcnt(1)
	v_fmac_f32_e32 v10, v18, v37
	v_lshlrev_b64 v[25:26], 2, v[5:6]
	s_delay_alu instid0(VALU_DEP_1) | instskip(NEXT) | instid1(VALU_DEP_2)
	v_add_co_u32 v20, vcc_lo, s8, v25
	v_add_co_ci_u32_e32 v21, vcc_lo, s9, v26, vcc_lo
	global_load_b32 v39, v[20:21], off
	v_add_nc_u32_e32 v5, -3, v2
	s_delay_alu instid0(VALU_DEP_1) | instskip(SKIP_1) | instid1(VALU_DEP_2)
	v_lshlrev_b64 v[7:8], 2, v[5:6]
	v_subrev_nc_u32_e32 v5, 23, v2
	v_add_co_u32 v7, vcc_lo, s8, v7
	s_delay_alu instid0(VALU_DEP_2) | instskip(NEXT) | instid1(VALU_DEP_4)
	v_lshlrev_b64 v[25:26], 2, v[5:6]
	v_add_co_ci_u32_e32 v8, vcc_lo, s9, v8, vcc_lo
	global_load_b32 v40, v[7:8], off
	v_add_co_u32 v7, vcc_lo, s8, v25
	v_add_co_ci_u32_e32 v8, vcc_lo, s9, v26, vcc_lo
	global_load_b32 v41, v[7:8], off
	v_add_nc_u32_e32 v5, 4, v19
	s_delay_alu instid0(VALU_DEP_1) | instskip(NEXT) | instid1(VALU_DEP_1)
	v_lshlrev_b64 v[20:21], 2, v[5:6]
	v_add_co_u32 v20, vcc_lo, s10, v20
	s_delay_alu instid0(VALU_DEP_2)
	v_add_co_ci_u32_e32 v21, vcc_lo, s11, v21, vcc_lo
	global_load_b32 v42, v[20:21], off
	s_waitcnt vmcnt(3)
	v_fmac_f32_e32 v12, v39, v37
	s_waitcnt vmcnt(0)
	v_fmac_f32_e32 v10, v41, v42
	v_add_nc_u32_e32 v5, -16, v2
	s_delay_alu instid0(VALU_DEP_1) | instskip(SKIP_1) | instid1(VALU_DEP_1)
	v_lshlrev_b64 v[25:26], 2, v[5:6]
	v_add_nc_u32_e32 v5, -9, v2
	v_lshlrev_b64 v[7:8], 2, v[5:6]
	s_delay_alu instid0(VALU_DEP_3) | instskip(NEXT) | instid1(VALU_DEP_4)
	v_add_co_u32 v20, vcc_lo, s8, v25
	v_add_co_ci_u32_e32 v21, vcc_lo, s9, v26, vcc_lo
	v_add_nc_u32_e32 v5, -2, v2
	s_delay_alu instid0(VALU_DEP_4)
	v_add_co_u32 v7, vcc_lo, s8, v7
	v_add_co_ci_u32_e32 v8, vcc_lo, s9, v8, vcc_lo
	global_load_b32 v43, v[20:21], off
	v_lshlrev_b64 v[25:26], 2, v[5:6]
	v_subrev_nc_u32_e32 v5, 22, v2
	global_load_b32 v44, v[7:8], off
	v_lshlrev_b64 v[20:21], 2, v[5:6]
	v_add_nc_u32_e32 v5, 5, v19
	v_add_co_u32 v7, vcc_lo, s8, v25
	v_add_co_ci_u32_e32 v8, vcc_lo, s9, v26, vcc_lo
	s_delay_alu instid0(VALU_DEP_4)
	v_add_co_u32 v20, vcc_lo, s8, v20
	v_add_co_ci_u32_e32 v21, vcc_lo, s9, v21, vcc_lo
	s_clause 0x1
	global_load_b32 v45, v[7:8], off
	global_load_b32 v46, v[20:21], off
	s_waitcnt vmcnt(2)
	v_fmac_f32_e32 v12, v44, v42
	v_lshlrev_b64 v[25:26], 2, v[5:6]
	v_add_nc_u32_e32 v5, -15, v2
	s_delay_alu instid0(VALU_DEP_1) | instskip(SKIP_1) | instid1(VALU_DEP_4)
	v_lshlrev_b64 v[7:8], 2, v[5:6]
	v_add_nc_u32_e32 v5, -8, v2
	v_add_co_u32 v20, vcc_lo, s10, v25
	v_add_co_ci_u32_e32 v21, vcc_lo, s11, v26, vcc_lo
	s_delay_alu instid0(VALU_DEP_3)
	v_lshlrev_b64 v[25:26], 2, v[5:6]
	v_add_nc_u32_e32 v5, -1, v2
	v_add_co_u32 v7, vcc_lo, s8, v7
	v_add_co_ci_u32_e32 v8, vcc_lo, s9, v8, vcc_lo
	global_load_b32 v47, v[20:21], off
	v_lshlrev_b64 v[20:21], 2, v[5:6]
	v_subrev_nc_u32_e32 v5, 21, v2
	global_load_b32 v48, v[7:8], off
	v_add_co_u32 v7, vcc_lo, s8, v25
	v_add_co_ci_u32_e32 v8, vcc_lo, s9, v26, vcc_lo
	v_lshlrev_b64 v[25:26], 2, v[5:6]
	v_add_nc_u32_e32 v5, 6, v19
	v_add_co_u32 v19, vcc_lo, s8, v20
	v_add_co_ci_u32_e32 v20, vcc_lo, s9, v21, vcc_lo
	s_clause 0x1
	global_load_b32 v49, v[7:8], off
	global_load_b32 v50, v[19:20], off
	v_lshlrev_b64 v[7:8], 2, v[5:6]
	v_add_nc_u32_e32 v5, -14, v2
	v_add_co_u32 v19, vcc_lo, s8, v25
	v_add_co_ci_u32_e32 v20, vcc_lo, s9, v26, vcc_lo
	s_delay_alu instid0(VALU_DEP_3) | instskip(SKIP_3) | instid1(VALU_DEP_3)
	v_lshlrev_b64 v[21:22], 2, v[5:6]
	v_add_nc_u32_e32 v5, -7, v2
	v_add_co_u32 v7, vcc_lo, s10, v7
	v_add_co_ci_u32_e32 v8, vcc_lo, s11, v8, vcc_lo
	v_lshlrev_b64 v[25:26], 2, v[5:6]
	v_add_co_u32 v21, vcc_lo, s8, v21
	v_add_co_ci_u32_e32 v22, vcc_lo, s9, v22, vcc_lo
	v_add_nc_u32_e32 v2, 0x70, v2
	s_delay_alu instid0(VALU_DEP_4)
	v_add_co_u32 v25, vcc_lo, s8, v25
	v_add_co_ci_u32_e32 v26, vcc_lo, s9, v26, vcc_lo
	global_load_b32 v5, v[19:20], off
	global_load_b32 v7, v[7:8], off
	s_clause 0x2
	global_load_b32 v8, v[21:22], off
	global_load_b32 v19, v[25:26], off
	global_load_b32 v20, v[23:24], off
	v_fmac_f32_e32 v11, v32, v28
	v_cmp_ge_i32_e32 vcc_lo, v0, v14
	s_delay_alu instid0(VALU_DEP_2) | instskip(SKIP_1) | instid1(VALU_DEP_1)
	v_fmac_f32_e32 v11, v36, v33
	s_or_b32 s2, vcc_lo, s2
	v_fmac_f32_e32 v11, v40, v37
	s_waitcnt vmcnt(8)
	s_delay_alu instid0(VALU_DEP_1) | instskip(SKIP_3) | instid1(VALU_DEP_2)
	v_dual_fmac_f32 v11, v45, v42 :: v_dual_fmac_f32 v10, v46, v47
	s_waitcnt vmcnt(6)
	v_dual_fmac_f32 v13, v30, v28 :: v_dual_fmac_f32 v12, v49, v47
	s_waitcnt vmcnt(5)
	v_fmac_f32_e32 v11, v50, v47
	s_waitcnt vmcnt(3)
	s_delay_alu instid0(VALU_DEP_2)
	v_dual_fmac_f32 v10, v5, v7 :: v_dual_fmac_f32 v13, v34, v33
	s_waitcnt vmcnt(1)
	v_fmac_f32_e32 v12, v19, v7
	s_waitcnt vmcnt(0)
	v_fmac_f32_e32 v11, v20, v7
	v_fmac_f32_e32 v13, v38, v37
	s_delay_alu instid0(VALU_DEP_1) | instskip(NEXT) | instid1(VALU_DEP_1)
	v_fmac_f32_e32 v13, v43, v42
	v_fmac_f32_e32 v13, v48, v47
	s_delay_alu instid0(VALU_DEP_1)
	v_fmac_f32_e32 v13, v8, v7
	s_and_not1_b32 exec_lo, exec_lo, s2
	s_cbranch_execnz .LBB25_15
; %bb.16:
	s_or_b32 exec_lo, exec_lo, s2
.LBB25_17:
	s_delay_alu instid0(SALU_CYCLE_1)
	s_or_b32 exec_lo, exec_lo, s3
.LBB25_18:
	v_mbcnt_lo_u32_b32 v0, -1, 0
	s_mov_b32 s2, -1
	s_delay_alu instid0(VALU_DEP_1) | instskip(NEXT) | instid1(VALU_DEP_1)
	v_xor_b32_e32 v1, 2, v0
	v_cmp_gt_i32_e32 vcc_lo, 32, v1
	v_cndmask_b32_e32 v1, v0, v1, vcc_lo
	s_delay_alu instid0(VALU_DEP_1)
	v_lshlrev_b32_e32 v1, 2, v1
	ds_bpermute_b32 v2, v1, v10
	ds_bpermute_b32 v3, v1, v13
	;; [unrolled: 1-line block ×4, first 2 shown]
	v_xor_b32_e32 v1, 1, v0
	s_delay_alu instid0(VALU_DEP_1) | instskip(SKIP_3) | instid1(VALU_DEP_2)
	v_cmp_gt_i32_e32 vcc_lo, 32, v1
	v_cndmask_b32_e32 v0, v0, v1, vcc_lo
	v_cmp_eq_u32_e32 vcc_lo, 3, v9
	s_waitcnt lgkmcnt(2)
	v_dual_add_f32 v1, v13, v3 :: v_dual_lshlrev_b32 v8, 2, v0
	v_add_f32_e32 v0, v10, v2
	s_waitcnt lgkmcnt(0)
	v_dual_add_f32 v2, v12, v5 :: v_dual_add_f32 v3, v11, v6
	ds_bpermute_b32 v6, v8, v1
	ds_bpermute_b32 v5, v8, v0
	;; [unrolled: 1-line block ×4, first 2 shown]
	s_and_b32 exec_lo, exec_lo, vcc_lo
	s_cbranch_execz .LBB25_23
; %bb.19:
	s_load_b64 s[0:1], s[0:1], 0x38
	s_waitcnt lgkmcnt(0)
	v_dual_add_f32 v0, v0, v5 :: v_dual_add_f32 v1, v1, v6
	v_dual_add_f32 v2, v2, v7 :: v_dual_add_f32 v3, v3, v8
	v_cmp_eq_f32_e64 s3, s12, 0
	s_delay_alu instid0(VALU_DEP_3) | instskip(NEXT) | instid1(VALU_DEP_3)
	v_dual_mul_f32 v0, s16, v0 :: v_dual_mul_f32 v1, s16, v1
	v_dual_mul_f32 v2, s16, v2 :: v_dual_mul_f32 v3, s16, v3
	v_lshlrev_b32_e32 v4, 2, v4
	s_delay_alu instid0(VALU_DEP_4)
	s_and_b32 vcc_lo, exec_lo, s3
	s_cbranch_vccz .LBB25_21
; %bb.20:
	s_delay_alu instid0(VALU_DEP_1) | instskip(SKIP_1) | instid1(VALU_DEP_1)
	v_ashrrev_i32_e32 v5, 31, v4
	s_mov_b32 s2, 0
	v_lshlrev_b64 v[5:6], 2, v[4:5]
	s_delay_alu instid0(VALU_DEP_1) | instskip(NEXT) | instid1(VALU_DEP_2)
	v_add_co_u32 v5, vcc_lo, s0, v5
	v_add_co_ci_u32_e32 v6, vcc_lo, s1, v6, vcc_lo
	global_store_b128 v[5:6], v[0:3], off
.LBB25_21:
	s_and_not1_b32 vcc_lo, exec_lo, s2
	s_cbranch_vccnz .LBB25_23
; %bb.22:
	v_ashrrev_i32_e32 v5, 31, v4
	s_delay_alu instid0(VALU_DEP_1) | instskip(NEXT) | instid1(VALU_DEP_1)
	v_lshlrev_b64 v[4:5], 2, v[4:5]
	v_add_co_u32 v8, vcc_lo, s0, v4
	s_delay_alu instid0(VALU_DEP_2)
	v_add_co_ci_u32_e32 v9, vcc_lo, s1, v5, vcc_lo
	global_load_b128 v[4:7], v[8:9], off
	s_waitcnt vmcnt(0)
	v_dual_fmac_f32 v0, s12, v4 :: v_dual_fmac_f32 v1, s12, v5
	v_dual_fmac_f32 v2, s12, v6 :: v_dual_fmac_f32 v3, s12, v7
	global_store_b128 v[8:9], v[0:3], off
.LBB25_23:
	s_nop 0
	s_sendmsg sendmsg(MSG_DEALLOC_VGPRS)
	s_endpgm
	.section	.rodata,"a",@progbits
	.p2align	6, 0x0
	.amdhsa_kernel _ZN9rocsparseL19gebsrmvn_4xn_kernelILj128ELj7ELj4EfEEvi20rocsparse_direction_NS_24const_host_device_scalarIT2_EEPKiS6_PKS3_S8_S4_PS3_21rocsparse_index_base_b
		.amdhsa_group_segment_fixed_size 0
		.amdhsa_private_segment_fixed_size 0
		.amdhsa_kernarg_size 72
		.amdhsa_user_sgpr_count 15
		.amdhsa_user_sgpr_dispatch_ptr 0
		.amdhsa_user_sgpr_queue_ptr 0
		.amdhsa_user_sgpr_kernarg_segment_ptr 1
		.amdhsa_user_sgpr_dispatch_id 0
		.amdhsa_user_sgpr_private_segment_size 0
		.amdhsa_wavefront_size32 1
		.amdhsa_uses_dynamic_stack 0
		.amdhsa_enable_private_segment 0
		.amdhsa_system_sgpr_workgroup_id_x 1
		.amdhsa_system_sgpr_workgroup_id_y 0
		.amdhsa_system_sgpr_workgroup_id_z 0
		.amdhsa_system_sgpr_workgroup_info 0
		.amdhsa_system_vgpr_workitem_id 0
		.amdhsa_next_free_vgpr 51
		.amdhsa_next_free_sgpr 20
		.amdhsa_reserve_vcc 1
		.amdhsa_float_round_mode_32 0
		.amdhsa_float_round_mode_16_64 0
		.amdhsa_float_denorm_mode_32 3
		.amdhsa_float_denorm_mode_16_64 3
		.amdhsa_dx10_clamp 1
		.amdhsa_ieee_mode 1
		.amdhsa_fp16_overflow 0
		.amdhsa_workgroup_processor_mode 1
		.amdhsa_memory_ordered 1
		.amdhsa_forward_progress 0
		.amdhsa_shared_vgpr_count 0
		.amdhsa_exception_fp_ieee_invalid_op 0
		.amdhsa_exception_fp_denorm_src 0
		.amdhsa_exception_fp_ieee_div_zero 0
		.amdhsa_exception_fp_ieee_overflow 0
		.amdhsa_exception_fp_ieee_underflow 0
		.amdhsa_exception_fp_ieee_inexact 0
		.amdhsa_exception_int_div_zero 0
	.end_amdhsa_kernel
	.section	.text._ZN9rocsparseL19gebsrmvn_4xn_kernelILj128ELj7ELj4EfEEvi20rocsparse_direction_NS_24const_host_device_scalarIT2_EEPKiS6_PKS3_S8_S4_PS3_21rocsparse_index_base_b,"axG",@progbits,_ZN9rocsparseL19gebsrmvn_4xn_kernelILj128ELj7ELj4EfEEvi20rocsparse_direction_NS_24const_host_device_scalarIT2_EEPKiS6_PKS3_S8_S4_PS3_21rocsparse_index_base_b,comdat
.Lfunc_end25:
	.size	_ZN9rocsparseL19gebsrmvn_4xn_kernelILj128ELj7ELj4EfEEvi20rocsparse_direction_NS_24const_host_device_scalarIT2_EEPKiS6_PKS3_S8_S4_PS3_21rocsparse_index_base_b, .Lfunc_end25-_ZN9rocsparseL19gebsrmvn_4xn_kernelILj128ELj7ELj4EfEEvi20rocsparse_direction_NS_24const_host_device_scalarIT2_EEPKiS6_PKS3_S8_S4_PS3_21rocsparse_index_base_b
                                        ; -- End function
	.section	.AMDGPU.csdata,"",@progbits
; Kernel info:
; codeLenInByte = 2952
; NumSgprs: 22
; NumVgprs: 51
; ScratchSize: 0
; MemoryBound: 0
; FloatMode: 240
; IeeeMode: 1
; LDSByteSize: 0 bytes/workgroup (compile time only)
; SGPRBlocks: 2
; VGPRBlocks: 6
; NumSGPRsForWavesPerEU: 22
; NumVGPRsForWavesPerEU: 51
; Occupancy: 16
; WaveLimiterHint : 1
; COMPUTE_PGM_RSRC2:SCRATCH_EN: 0
; COMPUTE_PGM_RSRC2:USER_SGPR: 15
; COMPUTE_PGM_RSRC2:TRAP_HANDLER: 0
; COMPUTE_PGM_RSRC2:TGID_X_EN: 1
; COMPUTE_PGM_RSRC2:TGID_Y_EN: 0
; COMPUTE_PGM_RSRC2:TGID_Z_EN: 0
; COMPUTE_PGM_RSRC2:TIDIG_COMP_CNT: 0
	.section	.text._ZN9rocsparseL19gebsrmvn_4xn_kernelILj128ELj7ELj8EfEEvi20rocsparse_direction_NS_24const_host_device_scalarIT2_EEPKiS6_PKS3_S8_S4_PS3_21rocsparse_index_base_b,"axG",@progbits,_ZN9rocsparseL19gebsrmvn_4xn_kernelILj128ELj7ELj8EfEEvi20rocsparse_direction_NS_24const_host_device_scalarIT2_EEPKiS6_PKS3_S8_S4_PS3_21rocsparse_index_base_b,comdat
	.globl	_ZN9rocsparseL19gebsrmvn_4xn_kernelILj128ELj7ELj8EfEEvi20rocsparse_direction_NS_24const_host_device_scalarIT2_EEPKiS6_PKS3_S8_S4_PS3_21rocsparse_index_base_b ; -- Begin function _ZN9rocsparseL19gebsrmvn_4xn_kernelILj128ELj7ELj8EfEEvi20rocsparse_direction_NS_24const_host_device_scalarIT2_EEPKiS6_PKS3_S8_S4_PS3_21rocsparse_index_base_b
	.p2align	8
	.type	_ZN9rocsparseL19gebsrmvn_4xn_kernelILj128ELj7ELj8EfEEvi20rocsparse_direction_NS_24const_host_device_scalarIT2_EEPKiS6_PKS3_S8_S4_PS3_21rocsparse_index_base_b,@function
_ZN9rocsparseL19gebsrmvn_4xn_kernelILj128ELj7ELj8EfEEvi20rocsparse_direction_NS_24const_host_device_scalarIT2_EEPKiS6_PKS3_S8_S4_PS3_21rocsparse_index_base_b: ; @_ZN9rocsparseL19gebsrmvn_4xn_kernelILj128ELj7ELj8EfEEvi20rocsparse_direction_NS_24const_host_device_scalarIT2_EEPKiS6_PKS3_S8_S4_PS3_21rocsparse_index_base_b
; %bb.0:
	s_clause 0x2
	s_load_b64 s[18:19], s[0:1], 0x40
	s_load_b64 s[16:17], s[0:1], 0x8
	;; [unrolled: 1-line block ×3, first 2 shown]
	s_waitcnt lgkmcnt(0)
	s_bitcmp1_b32 s19, 0
	s_cselect_b32 s2, -1, 0
	s_delay_alu instid0(SALU_CYCLE_1)
	s_and_b32 vcc_lo, exec_lo, s2
	s_xor_b32 s2, s2, -1
	s_cbranch_vccnz .LBB26_2
; %bb.1:
	s_load_b32 s16, s[16:17], 0x0
.LBB26_2:
	s_and_not1_b32 vcc_lo, exec_lo, s2
	s_cbranch_vccnz .LBB26_4
; %bb.3:
	s_load_b32 s12, s[12:13], 0x0
.LBB26_4:
	s_waitcnt lgkmcnt(0)
	v_cmp_eq_f32_e64 s2, s16, 0
	v_cmp_eq_f32_e64 s3, s12, 1.0
	s_delay_alu instid0(VALU_DEP_1) | instskip(NEXT) | instid1(SALU_CYCLE_1)
	s_and_b32 s2, s2, s3
	s_and_b32 vcc_lo, exec_lo, s2
	s_cbranch_vccnz .LBB26_23
; %bb.5:
	s_load_b64 s[2:3], s[0:1], 0x0
	v_lshrrev_b32_e32 v1, 3, v0
	s_delay_alu instid0(VALU_DEP_1) | instskip(SKIP_1) | instid1(VALU_DEP_1)
	v_lshl_or_b32 v4, s15, 4, v1
	s_waitcnt lgkmcnt(0)
	v_cmp_gt_i32_e32 vcc_lo, s2, v4
	s_and_saveexec_b32 s2, vcc_lo
	s_cbranch_execz .LBB26_23
; %bb.6:
	s_load_b256 s[4:11], s[0:1], 0x10
	v_ashrrev_i32_e32 v5, 31, v4
	v_and_b32_e32 v9, 7, v0
	s_cmp_lg_u32 s3, 0
	s_delay_alu instid0(VALU_DEP_2) | instskip(SKIP_1) | instid1(VALU_DEP_1)
	v_lshlrev_b64 v[1:2], 2, v[4:5]
	s_waitcnt lgkmcnt(0)
	v_add_co_u32 v1, vcc_lo, s4, v1
	s_delay_alu instid0(VALU_DEP_2) | instskip(SKIP_4) | instid1(VALU_DEP_2)
	v_add_co_ci_u32_e32 v2, vcc_lo, s5, v2, vcc_lo
	global_load_b64 v[1:2], v[1:2], off
	s_waitcnt vmcnt(0)
	v_subrev_nc_u32_e32 v0, s18, v1
	v_subrev_nc_u32_e32 v14, s18, v2
	v_add_nc_u32_e32 v0, v0, v9
	s_delay_alu instid0(VALU_DEP_1)
	v_cmp_lt_i32_e64 s2, v0, v14
	s_cbranch_scc0 .LBB26_12
; %bb.7:
	v_dual_mov_b32 v10, 0 :: v_dual_mov_b32 v11, 0
	v_dual_mov_b32 v12, 0 :: v_dual_mov_b32 v13, 0
	s_mov_b32 s3, 0
	s_and_saveexec_b32 s4, s2
	s_cbranch_execz .LBB26_11
; %bb.8:
	v_mad_u64_u32 v[1:2], null, v0, 28, 24
	v_dual_mov_b32 v6, 0 :: v_dual_mov_b32 v7, v0
	v_dual_mov_b32 v10, 0 :: v_dual_mov_b32 v11, 0
	;; [unrolled: 1-line block ×3, first 2 shown]
	s_mov_b32 s5, 0
.LBB26_9:                               ; =>This Inner Loop Header: Depth=1
	s_delay_alu instid0(VALU_DEP_3) | instskip(SKIP_1) | instid1(VALU_DEP_2)
	v_ashrrev_i32_e32 v8, 31, v7
	v_subrev_nc_u32_e32 v5, 24, v1
	v_lshlrev_b64 v[2:3], 2, v[7:8]
	s_delay_alu instid0(VALU_DEP_2) | instskip(SKIP_2) | instid1(VALU_DEP_4)
	v_lshlrev_b64 v[15:16], 2, v[5:6]
	v_subrev_nc_u32_e32 v5, 20, v1
	v_add_nc_u32_e32 v7, 8, v7
	v_add_co_u32 v2, vcc_lo, s6, v2
	v_add_co_ci_u32_e32 v3, vcc_lo, s7, v3, vcc_lo
	s_delay_alu instid0(VALU_DEP_4) | instskip(SKIP_4) | instid1(VALU_DEP_2)
	v_lshlrev_b64 v[19:20], 2, v[5:6]
	v_add_co_u32 v15, vcc_lo, s8, v15
	global_load_b32 v8, v[2:3], off
	v_mov_b32_e32 v2, v6
	v_add_co_ci_u32_e32 v16, vcc_lo, s9, v16, vcc_lo
	v_lshlrev_b64 v[17:18], 2, v[1:2]
	s_delay_alu instid0(VALU_DEP_1) | instskip(NEXT) | instid1(VALU_DEP_2)
	v_add_co_u32 v39, vcc_lo, s8, v17
	v_add_co_ci_u32_e32 v40, vcc_lo, s9, v18, vcc_lo
	v_add_co_u32 v19, vcc_lo, s8, v19
	v_add_co_ci_u32_e32 v20, vcc_lo, s9, v20, vcc_lo
	s_clause 0x1
	global_load_b128 v[15:18], v[15:16], off
	global_load_b128 v[19:22], v[19:20], off
	v_mov_b32_e32 v3, v6
	s_waitcnt vmcnt(2)
	v_subrev_nc_u32_e32 v2, s18, v8
	s_delay_alu instid0(VALU_DEP_1) | instskip(NEXT) | instid1(VALU_DEP_1)
	v_mul_lo_u32 v2, v2, 7
	v_lshlrev_b64 v[23:24], 2, v[2:3]
	s_delay_alu instid0(VALU_DEP_1) | instskip(NEXT) | instid1(VALU_DEP_2)
	v_add_co_u32 v23, vcc_lo, s10, v23
	v_add_co_ci_u32_e32 v24, vcc_lo, s11, v24, vcc_lo
	global_load_b32 v8, v[23:24], off
	v_add_nc_u32_e32 v5, 1, v2
	s_delay_alu instid0(VALU_DEP_1) | instskip(SKIP_1) | instid1(VALU_DEP_1)
	v_lshlrev_b64 v[25:26], 2, v[5:6]
	v_add_nc_u32_e32 v5, -16, v1
	v_lshlrev_b64 v[27:28], 2, v[5:6]
	s_delay_alu instid0(VALU_DEP_3) | instskip(NEXT) | instid1(VALU_DEP_4)
	v_add_co_u32 v25, vcc_lo, s10, v25
	v_add_co_ci_u32_e32 v26, vcc_lo, s11, v26, vcc_lo
	global_load_b32 v45, v[25:26], off
	v_add_co_u32 v25, vcc_lo, s8, v27
	v_add_co_ci_u32_e32 v26, vcc_lo, s9, v28, vcc_lo
	s_waitcnt vmcnt(1)
	v_fmac_f32_e32 v12, v17, v8
	v_dual_fmac_f32 v10, v15, v8 :: v_dual_add_nc_u32 v5, 2, v2
	s_waitcnt vmcnt(0)
	s_delay_alu instid0(VALU_DEP_1) | instskip(NEXT) | instid1(VALU_DEP_2)
	v_fmac_f32_e32 v10, v19, v45
	v_lshlrev_b64 v[23:24], 2, v[5:6]
	v_fmac_f32_e32 v12, v21, v45
	s_delay_alu instid0(VALU_DEP_2) | instskip(NEXT) | instid1(VALU_DEP_3)
	v_add_co_u32 v29, vcc_lo, s10, v23
	v_add_co_ci_u32_e32 v30, vcc_lo, s11, v24, vcc_lo
	global_load_b128 v[23:26], v[25:26], off
	global_load_b32 v46, v[29:30], off
	v_add_nc_u32_e32 v5, -12, v1
	s_delay_alu instid0(VALU_DEP_1) | instskip(SKIP_1) | instid1(VALU_DEP_1)
	v_lshlrev_b64 v[27:28], 2, v[5:6]
	v_add_nc_u32_e32 v5, 3, v2
	v_lshlrev_b64 v[31:32], 2, v[5:6]
	s_delay_alu instid0(VALU_DEP_3) | instskip(NEXT) | instid1(VALU_DEP_4)
	v_add_co_u32 v27, vcc_lo, s8, v27
	v_add_co_ci_u32_e32 v28, vcc_lo, s9, v28, vcc_lo
	s_delay_alu instid0(VALU_DEP_3) | instskip(NEXT) | instid1(VALU_DEP_4)
	v_add_co_u32 v31, vcc_lo, s10, v31
	v_add_co_ci_u32_e32 v32, vcc_lo, s11, v32, vcc_lo
	global_load_b32 v47, v[31:32], off
	global_load_b128 v[27:30], v[27:28], off
	s_waitcnt vmcnt(2)
	v_dual_fmac_f32 v12, v25, v46 :: v_dual_add_nc_u32 v5, -8, v1
	s_delay_alu instid0(VALU_DEP_1) | instskip(SKIP_2) | instid1(VALU_DEP_3)
	v_lshlrev_b64 v[33:34], 2, v[5:6]
	v_fmac_f32_e32 v10, v23, v46
	v_add_nc_u32_e32 v5, 4, v2
	v_add_co_u32 v31, vcc_lo, s8, v33
	s_delay_alu instid0(VALU_DEP_4)
	v_add_co_ci_u32_e32 v32, vcc_lo, s9, v34, vcc_lo
	global_load_b128 v[31:34], v[31:32], off
	s_waitcnt vmcnt(1)
	v_fmac_f32_e32 v10, v27, v47
	v_lshlrev_b64 v[35:36], 2, v[5:6]
	v_dual_fmac_f32 v12, v29, v47 :: v_dual_add_nc_u32 v5, -4, v1
	v_add_nc_u32_e32 v1, 0xe0, v1
	s_delay_alu instid0(VALU_DEP_3) | instskip(NEXT) | instid1(VALU_DEP_4)
	v_add_co_u32 v35, vcc_lo, s10, v35
	v_add_co_ci_u32_e32 v36, vcc_lo, s11, v36, vcc_lo
	s_delay_alu instid0(VALU_DEP_4) | instskip(SKIP_3) | instid1(VALU_DEP_1)
	v_lshlrev_b64 v[37:38], 2, v[5:6]
	global_load_b32 v48, v[35:36], off
	s_waitcnt vmcnt(0)
	v_dual_fmac_f32 v10, v31, v48 :: v_dual_add_nc_u32 v5, 5, v2
	v_lshlrev_b64 v[41:42], 2, v[5:6]
	v_dual_fmac_f32 v12, v33, v48 :: v_dual_add_nc_u32 v5, 6, v2
	v_add_co_u32 v2, vcc_lo, s8, v37
	v_add_co_ci_u32_e32 v3, vcc_lo, s9, v38, vcc_lo
	s_delay_alu instid0(VALU_DEP_3)
	v_lshlrev_b64 v[43:44], 2, v[5:6]
	v_add_co_u32 v41, vcc_lo, s10, v41
	v_add_co_ci_u32_e32 v42, vcc_lo, s11, v42, vcc_lo
	global_load_b128 v[35:38], v[2:3], off
	global_load_b32 v5, v[41:42], off
	v_add_co_u32 v2, vcc_lo, s10, v43
	v_add_co_ci_u32_e32 v3, vcc_lo, s11, v44, vcc_lo
	global_load_b128 v[39:42], v[39:40], off
	global_load_b32 v2, v[2:3], off
	v_fmac_f32_e32 v13, v16, v8
	v_fmac_f32_e32 v11, v18, v8
	v_cmp_ge_i32_e32 vcc_lo, v7, v14
	s_or_b32 s5, vcc_lo, s5
	s_waitcnt vmcnt(2)
	v_fmac_f32_e32 v12, v37, v5
	v_fmac_f32_e32 v11, v22, v45
	;; [unrolled: 1-line block ×3, first 2 shown]
	s_waitcnt vmcnt(0)
	s_delay_alu instid0(VALU_DEP_1) | instskip(NEXT) | instid1(VALU_DEP_1)
	v_dual_fmac_f32 v13, v20, v45 :: v_dual_fmac_f32 v10, v39, v2
	v_fmac_f32_e32 v13, v24, v46
	v_fmac_f32_e32 v12, v41, v2
	;; [unrolled: 1-line block ×3, first 2 shown]
	s_delay_alu instid0(VALU_DEP_3) | instskip(NEXT) | instid1(VALU_DEP_2)
	v_fmac_f32_e32 v13, v28, v47
	v_fmac_f32_e32 v11, v30, v47
	s_delay_alu instid0(VALU_DEP_2) | instskip(NEXT) | instid1(VALU_DEP_2)
	v_fmac_f32_e32 v13, v32, v48
	v_fmac_f32_e32 v11, v34, v48
	s_delay_alu instid0(VALU_DEP_2) | instskip(NEXT) | instid1(VALU_DEP_2)
	;; [unrolled: 3-line block ×3, first 2 shown]
	v_fmac_f32_e32 v13, v40, v2
	v_fmac_f32_e32 v11, v42, v2
	s_and_not1_b32 exec_lo, exec_lo, s5
	s_cbranch_execnz .LBB26_9
; %bb.10:
	s_or_b32 exec_lo, exec_lo, s5
.LBB26_11:
	s_delay_alu instid0(SALU_CYCLE_1) | instskip(NEXT) | instid1(SALU_CYCLE_1)
	s_or_b32 exec_lo, exec_lo, s4
	s_and_not1_b32 vcc_lo, exec_lo, s3
	s_cbranch_vccz .LBB26_13
	s_branch .LBB26_18
.LBB26_12:
                                        ; implicit-def: $vgpr10
                                        ; implicit-def: $vgpr11
                                        ; implicit-def: $vgpr12
                                        ; implicit-def: $vgpr13
.LBB26_13:
	v_dual_mov_b32 v10, 0 :: v_dual_mov_b32 v11, 0
	v_dual_mov_b32 v12, 0 :: v_dual_mov_b32 v13, 0
	s_delay_alu instid0(VALU_DEP_3)
	s_and_saveexec_b32 s3, s2
	s_cbranch_execz .LBB26_17
; %bb.14:
	v_mad_u64_u32 v[2:3], null, v0, 28, 27
	v_dual_mov_b32 v6, 0 :: v_dual_mov_b32 v11, 0
	v_dual_mov_b32 v10, 0 :: v_dual_mov_b32 v13, 0
	v_mov_b32_e32 v12, 0
	s_mov_b32 s2, 0
.LBB26_15:                              ; =>This Inner Loop Header: Depth=1
	v_ashrrev_i32_e32 v1, 31, v0
	v_subrev_nc_u32_e32 v5, 27, v2
	v_add_nc_u32_e32 v17, -6, v2
	v_dual_mov_b32 v20, v6 :: v_dual_add_nc_u32 v15, -13, v2
	s_delay_alu instid0(VALU_DEP_4) | instskip(NEXT) | instid1(VALU_DEP_4)
	v_lshlrev_b64 v[7:8], 2, v[0:1]
	v_lshlrev_b64 v[21:22], 2, v[5:6]
	v_mov_b32_e32 v18, v6
	v_dual_mov_b32 v3, v6 :: v_dual_add_nc_u32 v0, 8, v0
	s_delay_alu instid0(VALU_DEP_4)
	v_add_co_u32 v7, vcc_lo, s6, v7
	v_add_co_ci_u32_e32 v8, vcc_lo, s7, v8, vcc_lo
	v_add_co_u32 v21, vcc_lo, s8, v21
	v_add_co_ci_u32_e32 v22, vcc_lo, s9, v22, vcc_lo
	global_load_b32 v1, v[7:8], off
	v_subrev_nc_u32_e32 v7, 20, v2
	v_mov_b32_e32 v8, v6
	v_lshlrev_b64 v[17:18], 2, v[17:18]
	v_lshlrev_b64 v[23:24], 2, v[2:3]
	s_delay_alu instid0(VALU_DEP_3) | instskip(NEXT) | instid1(VALU_DEP_1)
	v_lshlrev_b64 v[7:8], 2, v[7:8]
	v_add_co_u32 v7, vcc_lo, s8, v7
	s_delay_alu instid0(VALU_DEP_2) | instskip(SKIP_2) | instid1(VALU_DEP_1)
	v_add_co_ci_u32_e32 v8, vcc_lo, s9, v8, vcc_lo
	s_waitcnt vmcnt(0)
	v_subrev_nc_u32_e32 v1, s18, v1
	v_mul_lo_u32 v19, v1, 7
	s_delay_alu instid0(VALU_DEP_1) | instskip(NEXT) | instid1(VALU_DEP_1)
	v_dual_mov_b32 v16, v6 :: v_dual_add_nc_u32 v5, 1, v19
	v_lshlrev_b64 v[15:16], 2, v[15:16]
	s_delay_alu instid0(VALU_DEP_1) | instskip(NEXT) | instid1(VALU_DEP_2)
	v_add_co_u32 v25, vcc_lo, s8, v15
	v_add_co_ci_u32_e32 v26, vcc_lo, s9, v16, vcc_lo
	v_add_co_u32 v27, vcc_lo, s8, v17
	v_add_co_ci_u32_e32 v28, vcc_lo, s9, v18, vcc_lo
	s_clause 0x3
	global_load_b128 v[15:18], v[21:22], off
	global_load_b32 v3, v[7:8], off
	global_load_b32 v29, v[25:26], off
	global_load_b32 v27, v[27:28], off
	v_lshlrev_b64 v[7:8], 2, v[19:20]
	v_add_co_u32 v23, vcc_lo, s8, v23
	v_add_co_ci_u32_e32 v24, vcc_lo, s9, v24, vcc_lo
	v_lshlrev_b64 v[20:21], 2, v[5:6]
	s_delay_alu instid0(VALU_DEP_4)
	v_add_co_u32 v7, vcc_lo, s10, v7
	v_add_co_ci_u32_e32 v8, vcc_lo, s11, v8, vcc_lo
	v_subrev_nc_u32_e32 v5, 19, v2
	global_load_b32 v1, v[7:8], off
	v_add_co_u32 v7, vcc_lo, s10, v20
	v_add_co_ci_u32_e32 v8, vcc_lo, s11, v21, vcc_lo
	v_lshlrev_b64 v[25:26], 2, v[5:6]
	v_add_nc_u32_e32 v5, -12, v2
	global_load_b32 v28, v[7:8], off
	v_lshlrev_b64 v[20:21], 2, v[5:6]
	v_add_co_u32 v25, vcc_lo, s8, v25
	v_add_co_ci_u32_e32 v26, vcc_lo, s9, v26, vcc_lo
	v_add_nc_u32_e32 v5, -5, v2
	s_delay_alu instid0(VALU_DEP_4)
	v_add_co_u32 v20, vcc_lo, s8, v20
	v_add_co_ci_u32_e32 v21, vcc_lo, s9, v21, vcc_lo
	s_clause 0x1
	global_load_b32 v30, v[25:26], off
	global_load_b32 v31, v[20:21], off
	s_waitcnt vmcnt(3)
	v_fmac_f32_e32 v12, v29, v1
	v_lshlrev_b64 v[7:8], 2, v[5:6]
	v_dual_fmac_f32 v10, v15, v1 :: v_dual_add_nc_u32 v5, 2, v19
	v_fmac_f32_e32 v13, v3, v1
	v_fmac_f32_e32 v11, v27, v1
	s_delay_alu instid0(VALU_DEP_4)
	v_add_co_u32 v7, vcc_lo, s8, v7
	s_waitcnt vmcnt(2)
	v_fmac_f32_e32 v10, v16, v28
	v_lshlrev_b64 v[25:26], 2, v[5:6]
	v_add_co_ci_u32_e32 v8, vcc_lo, s9, v8, vcc_lo
	v_subrev_nc_u32_e32 v5, 18, v2
	global_load_b32 v32, v[7:8], off
	v_add_co_u32 v7, vcc_lo, s10, v25
	v_add_co_ci_u32_e32 v8, vcc_lo, s11, v26, vcc_lo
	v_lshlrev_b64 v[20:21], 2, v[5:6]
	s_waitcnt vmcnt(1)
	v_dual_fmac_f32 v12, v31, v28 :: v_dual_add_nc_u32 v5, -11, v2
	global_load_b32 v33, v[7:8], off
	v_add_co_u32 v20, vcc_lo, s8, v20
	v_lshlrev_b64 v[25:26], 2, v[5:6]
	v_add_co_ci_u32_e32 v21, vcc_lo, s9, v21, vcc_lo
	v_add_nc_u32_e32 v5, -4, v2
	global_load_b32 v34, v[20:21], off
	v_add_co_u32 v20, vcc_lo, s8, v25
	v_add_co_ci_u32_e32 v21, vcc_lo, s9, v26, vcc_lo
	global_load_b32 v35, v[20:21], off
	s_waitcnt vmcnt(2)
	v_fmac_f32_e32 v10, v17, v33
	v_lshlrev_b64 v[7:8], 2, v[5:6]
	s_delay_alu instid0(VALU_DEP_1) | instskip(NEXT) | instid1(VALU_DEP_2)
	v_add_co_u32 v7, vcc_lo, s8, v7
	v_add_co_ci_u32_e32 v8, vcc_lo, s9, v8, vcc_lo
	global_load_b32 v36, v[7:8], off
	s_waitcnt vmcnt(1)
	v_dual_fmac_f32 v12, v35, v33 :: v_dual_add_nc_u32 v5, 3, v19
	s_delay_alu instid0(VALU_DEP_1) | instskip(SKIP_1) | instid1(VALU_DEP_2)
	v_lshlrev_b64 v[25:26], 2, v[5:6]
	v_subrev_nc_u32_e32 v5, 17, v2
	v_add_co_u32 v7, vcc_lo, s10, v25
	s_delay_alu instid0(VALU_DEP_3) | instskip(NEXT) | instid1(VALU_DEP_3)
	v_add_co_ci_u32_e32 v8, vcc_lo, s11, v26, vcc_lo
	v_lshlrev_b64 v[20:21], 2, v[5:6]
	global_load_b32 v37, v[7:8], off
	v_add_nc_u32_e32 v5, -10, v2
	v_add_co_u32 v20, vcc_lo, s8, v20
	v_add_co_ci_u32_e32 v21, vcc_lo, s9, v21, vcc_lo
	global_load_b32 v38, v[20:21], off
	s_waitcnt vmcnt(1)
	v_fmac_f32_e32 v10, v18, v37
	v_lshlrev_b64 v[25:26], 2, v[5:6]
	s_delay_alu instid0(VALU_DEP_1) | instskip(NEXT) | instid1(VALU_DEP_2)
	v_add_co_u32 v20, vcc_lo, s8, v25
	v_add_co_ci_u32_e32 v21, vcc_lo, s9, v26, vcc_lo
	global_load_b32 v39, v[20:21], off
	v_add_nc_u32_e32 v5, -3, v2
	s_delay_alu instid0(VALU_DEP_1) | instskip(SKIP_1) | instid1(VALU_DEP_2)
	v_lshlrev_b64 v[7:8], 2, v[5:6]
	v_subrev_nc_u32_e32 v5, 23, v2
	v_add_co_u32 v7, vcc_lo, s8, v7
	s_delay_alu instid0(VALU_DEP_2) | instskip(NEXT) | instid1(VALU_DEP_4)
	v_lshlrev_b64 v[25:26], 2, v[5:6]
	v_add_co_ci_u32_e32 v8, vcc_lo, s9, v8, vcc_lo
	global_load_b32 v40, v[7:8], off
	v_add_co_u32 v7, vcc_lo, s8, v25
	v_add_co_ci_u32_e32 v8, vcc_lo, s9, v26, vcc_lo
	global_load_b32 v41, v[7:8], off
	v_add_nc_u32_e32 v5, 4, v19
	s_delay_alu instid0(VALU_DEP_1) | instskip(NEXT) | instid1(VALU_DEP_1)
	v_lshlrev_b64 v[20:21], 2, v[5:6]
	v_add_co_u32 v20, vcc_lo, s10, v20
	s_delay_alu instid0(VALU_DEP_2)
	v_add_co_ci_u32_e32 v21, vcc_lo, s11, v21, vcc_lo
	global_load_b32 v42, v[20:21], off
	s_waitcnt vmcnt(3)
	v_fmac_f32_e32 v12, v39, v37
	s_waitcnt vmcnt(0)
	v_fmac_f32_e32 v10, v41, v42
	v_add_nc_u32_e32 v5, -16, v2
	s_delay_alu instid0(VALU_DEP_1) | instskip(SKIP_1) | instid1(VALU_DEP_1)
	v_lshlrev_b64 v[25:26], 2, v[5:6]
	v_add_nc_u32_e32 v5, -9, v2
	v_lshlrev_b64 v[7:8], 2, v[5:6]
	s_delay_alu instid0(VALU_DEP_3) | instskip(NEXT) | instid1(VALU_DEP_4)
	v_add_co_u32 v20, vcc_lo, s8, v25
	v_add_co_ci_u32_e32 v21, vcc_lo, s9, v26, vcc_lo
	v_add_nc_u32_e32 v5, -2, v2
	s_delay_alu instid0(VALU_DEP_4)
	v_add_co_u32 v7, vcc_lo, s8, v7
	v_add_co_ci_u32_e32 v8, vcc_lo, s9, v8, vcc_lo
	global_load_b32 v43, v[20:21], off
	v_lshlrev_b64 v[25:26], 2, v[5:6]
	v_subrev_nc_u32_e32 v5, 22, v2
	global_load_b32 v44, v[7:8], off
	v_lshlrev_b64 v[20:21], 2, v[5:6]
	v_add_nc_u32_e32 v5, 5, v19
	v_add_co_u32 v7, vcc_lo, s8, v25
	v_add_co_ci_u32_e32 v8, vcc_lo, s9, v26, vcc_lo
	s_delay_alu instid0(VALU_DEP_4)
	v_add_co_u32 v20, vcc_lo, s8, v20
	v_add_co_ci_u32_e32 v21, vcc_lo, s9, v21, vcc_lo
	s_clause 0x1
	global_load_b32 v45, v[7:8], off
	global_load_b32 v46, v[20:21], off
	s_waitcnt vmcnt(2)
	v_fmac_f32_e32 v12, v44, v42
	v_lshlrev_b64 v[25:26], 2, v[5:6]
	v_add_nc_u32_e32 v5, -15, v2
	s_delay_alu instid0(VALU_DEP_1) | instskip(SKIP_1) | instid1(VALU_DEP_4)
	v_lshlrev_b64 v[7:8], 2, v[5:6]
	v_add_nc_u32_e32 v5, -8, v2
	v_add_co_u32 v20, vcc_lo, s10, v25
	v_add_co_ci_u32_e32 v21, vcc_lo, s11, v26, vcc_lo
	s_delay_alu instid0(VALU_DEP_3)
	v_lshlrev_b64 v[25:26], 2, v[5:6]
	v_add_nc_u32_e32 v5, -1, v2
	v_add_co_u32 v7, vcc_lo, s8, v7
	v_add_co_ci_u32_e32 v8, vcc_lo, s9, v8, vcc_lo
	global_load_b32 v47, v[20:21], off
	v_lshlrev_b64 v[20:21], 2, v[5:6]
	v_subrev_nc_u32_e32 v5, 21, v2
	global_load_b32 v48, v[7:8], off
	v_add_co_u32 v7, vcc_lo, s8, v25
	v_add_co_ci_u32_e32 v8, vcc_lo, s9, v26, vcc_lo
	v_lshlrev_b64 v[25:26], 2, v[5:6]
	v_add_nc_u32_e32 v5, 6, v19
	v_add_co_u32 v19, vcc_lo, s8, v20
	v_add_co_ci_u32_e32 v20, vcc_lo, s9, v21, vcc_lo
	s_clause 0x1
	global_load_b32 v49, v[7:8], off
	global_load_b32 v50, v[19:20], off
	v_lshlrev_b64 v[7:8], 2, v[5:6]
	v_add_nc_u32_e32 v5, -14, v2
	v_add_co_u32 v19, vcc_lo, s8, v25
	v_add_co_ci_u32_e32 v20, vcc_lo, s9, v26, vcc_lo
	s_delay_alu instid0(VALU_DEP_3) | instskip(SKIP_3) | instid1(VALU_DEP_3)
	v_lshlrev_b64 v[21:22], 2, v[5:6]
	v_add_nc_u32_e32 v5, -7, v2
	v_add_co_u32 v7, vcc_lo, s10, v7
	v_add_co_ci_u32_e32 v8, vcc_lo, s11, v8, vcc_lo
	v_lshlrev_b64 v[25:26], 2, v[5:6]
	v_add_co_u32 v21, vcc_lo, s8, v21
	v_add_co_ci_u32_e32 v22, vcc_lo, s9, v22, vcc_lo
	v_add_nc_u32_e32 v2, 0xe0, v2
	s_delay_alu instid0(VALU_DEP_4)
	v_add_co_u32 v25, vcc_lo, s8, v25
	v_add_co_ci_u32_e32 v26, vcc_lo, s9, v26, vcc_lo
	global_load_b32 v5, v[19:20], off
	global_load_b32 v7, v[7:8], off
	s_clause 0x2
	global_load_b32 v8, v[21:22], off
	global_load_b32 v19, v[25:26], off
	;; [unrolled: 1-line block ×3, first 2 shown]
	v_fmac_f32_e32 v11, v32, v28
	v_cmp_ge_i32_e32 vcc_lo, v0, v14
	s_delay_alu instid0(VALU_DEP_2) | instskip(SKIP_1) | instid1(VALU_DEP_1)
	v_fmac_f32_e32 v11, v36, v33
	s_or_b32 s2, vcc_lo, s2
	v_fmac_f32_e32 v11, v40, v37
	s_waitcnt vmcnt(8)
	s_delay_alu instid0(VALU_DEP_1) | instskip(SKIP_3) | instid1(VALU_DEP_2)
	v_dual_fmac_f32 v11, v45, v42 :: v_dual_fmac_f32 v10, v46, v47
	s_waitcnt vmcnt(6)
	v_dual_fmac_f32 v13, v30, v28 :: v_dual_fmac_f32 v12, v49, v47
	s_waitcnt vmcnt(5)
	v_fmac_f32_e32 v11, v50, v47
	s_waitcnt vmcnt(3)
	s_delay_alu instid0(VALU_DEP_2)
	v_dual_fmac_f32 v10, v5, v7 :: v_dual_fmac_f32 v13, v34, v33
	s_waitcnt vmcnt(1)
	v_fmac_f32_e32 v12, v19, v7
	s_waitcnt vmcnt(0)
	v_fmac_f32_e32 v11, v20, v7
	v_fmac_f32_e32 v13, v38, v37
	s_delay_alu instid0(VALU_DEP_1) | instskip(NEXT) | instid1(VALU_DEP_1)
	v_fmac_f32_e32 v13, v43, v42
	v_fmac_f32_e32 v13, v48, v47
	s_delay_alu instid0(VALU_DEP_1)
	v_fmac_f32_e32 v13, v8, v7
	s_and_not1_b32 exec_lo, exec_lo, s2
	s_cbranch_execnz .LBB26_15
; %bb.16:
	s_or_b32 exec_lo, exec_lo, s2
.LBB26_17:
	s_delay_alu instid0(SALU_CYCLE_1)
	s_or_b32 exec_lo, exec_lo, s3
.LBB26_18:
	v_mbcnt_lo_u32_b32 v0, -1, 0
	s_mov_b32 s2, -1
	s_delay_alu instid0(VALU_DEP_1) | instskip(SKIP_1) | instid1(VALU_DEP_2)
	v_xor_b32_e32 v1, 4, v0
	v_xor_b32_e32 v6, 2, v0
	v_cmp_gt_i32_e32 vcc_lo, 32, v1
	v_cndmask_b32_e32 v1, v0, v1, vcc_lo
	s_delay_alu instid0(VALU_DEP_3) | instskip(SKIP_1) | instid1(VALU_DEP_1)
	v_cmp_gt_i32_e32 vcc_lo, 32, v6
	v_cndmask_b32_e32 v6, v0, v6, vcc_lo
	v_lshlrev_b32_e32 v6, 2, v6
	s_delay_alu instid0(VALU_DEP_4)
	v_lshlrev_b32_e32 v1, 2, v1
	ds_bpermute_b32 v2, v1, v10
	s_waitcnt lgkmcnt(0)
	v_add_f32_e32 v2, v10, v2
	ds_bpermute_b32 v3, v1, v13
	ds_bpermute_b32 v5, v1, v12
	;; [unrolled: 1-line block ×3, first 2 shown]
	s_waitcnt lgkmcnt(2)
	v_add_f32_e32 v3, v13, v3
	s_waitcnt lgkmcnt(1)
	v_add_f32_e32 v5, v12, v5
	s_waitcnt lgkmcnt(0)
	v_add_f32_e32 v7, v11, v1
	v_xor_b32_e32 v11, 1, v0
	ds_bpermute_b32 v1, v6, v2
	ds_bpermute_b32 v8, v6, v3
	;; [unrolled: 1-line block ×3, first 2 shown]
	v_cmp_gt_i32_e32 vcc_lo, 32, v11
	v_cndmask_b32_e32 v0, v0, v11, vcc_lo
	ds_bpermute_b32 v6, v6, v7
	v_cmp_eq_u32_e32 vcc_lo, 7, v9
	s_waitcnt lgkmcnt(3)
	v_dual_add_f32 v0, v2, v1 :: v_dual_lshlrev_b32 v11, 2, v0
	s_waitcnt lgkmcnt(1)
	v_dual_add_f32 v1, v3, v8 :: v_dual_add_f32 v2, v5, v10
	ds_bpermute_b32 v5, v11, v0
	s_waitcnt lgkmcnt(1)
	v_add_f32_e32 v3, v7, v6
	ds_bpermute_b32 v6, v11, v1
	ds_bpermute_b32 v7, v11, v2
	ds_bpermute_b32 v8, v11, v3
	s_and_b32 exec_lo, exec_lo, vcc_lo
	s_cbranch_execz .LBB26_23
; %bb.19:
	s_load_b64 s[0:1], s[0:1], 0x38
	s_waitcnt lgkmcnt(0)
	v_dual_add_f32 v0, v0, v5 :: v_dual_add_f32 v1, v1, v6
	v_dual_add_f32 v2, v2, v7 :: v_dual_add_f32 v3, v3, v8
	v_cmp_eq_f32_e64 s3, s12, 0
	s_delay_alu instid0(VALU_DEP_3) | instskip(NEXT) | instid1(VALU_DEP_3)
	v_dual_mul_f32 v0, s16, v0 :: v_dual_mul_f32 v1, s16, v1
	v_dual_mul_f32 v2, s16, v2 :: v_dual_mul_f32 v3, s16, v3
	v_lshlrev_b32_e32 v4, 2, v4
	s_delay_alu instid0(VALU_DEP_4)
	s_and_b32 vcc_lo, exec_lo, s3
	s_cbranch_vccz .LBB26_21
; %bb.20:
	s_delay_alu instid0(VALU_DEP_1) | instskip(SKIP_1) | instid1(VALU_DEP_1)
	v_ashrrev_i32_e32 v5, 31, v4
	s_mov_b32 s2, 0
	v_lshlrev_b64 v[5:6], 2, v[4:5]
	s_delay_alu instid0(VALU_DEP_1) | instskip(NEXT) | instid1(VALU_DEP_2)
	v_add_co_u32 v5, vcc_lo, s0, v5
	v_add_co_ci_u32_e32 v6, vcc_lo, s1, v6, vcc_lo
	global_store_b128 v[5:6], v[0:3], off
.LBB26_21:
	s_and_not1_b32 vcc_lo, exec_lo, s2
	s_cbranch_vccnz .LBB26_23
; %bb.22:
	v_ashrrev_i32_e32 v5, 31, v4
	s_delay_alu instid0(VALU_DEP_1) | instskip(NEXT) | instid1(VALU_DEP_1)
	v_lshlrev_b64 v[4:5], 2, v[4:5]
	v_add_co_u32 v8, vcc_lo, s0, v4
	s_delay_alu instid0(VALU_DEP_2)
	v_add_co_ci_u32_e32 v9, vcc_lo, s1, v5, vcc_lo
	global_load_b128 v[4:7], v[8:9], off
	s_waitcnt vmcnt(0)
	v_dual_fmac_f32 v0, s12, v4 :: v_dual_fmac_f32 v1, s12, v5
	v_dual_fmac_f32 v2, s12, v6 :: v_dual_fmac_f32 v3, s12, v7
	global_store_b128 v[8:9], v[0:3], off
.LBB26_23:
	s_nop 0
	s_sendmsg sendmsg(MSG_DEALLOC_VGPRS)
	s_endpgm
	.section	.rodata,"a",@progbits
	.p2align	6, 0x0
	.amdhsa_kernel _ZN9rocsparseL19gebsrmvn_4xn_kernelILj128ELj7ELj8EfEEvi20rocsparse_direction_NS_24const_host_device_scalarIT2_EEPKiS6_PKS3_S8_S4_PS3_21rocsparse_index_base_b
		.amdhsa_group_segment_fixed_size 0
		.amdhsa_private_segment_fixed_size 0
		.amdhsa_kernarg_size 72
		.amdhsa_user_sgpr_count 15
		.amdhsa_user_sgpr_dispatch_ptr 0
		.amdhsa_user_sgpr_queue_ptr 0
		.amdhsa_user_sgpr_kernarg_segment_ptr 1
		.amdhsa_user_sgpr_dispatch_id 0
		.amdhsa_user_sgpr_private_segment_size 0
		.amdhsa_wavefront_size32 1
		.amdhsa_uses_dynamic_stack 0
		.amdhsa_enable_private_segment 0
		.amdhsa_system_sgpr_workgroup_id_x 1
		.amdhsa_system_sgpr_workgroup_id_y 0
		.amdhsa_system_sgpr_workgroup_id_z 0
		.amdhsa_system_sgpr_workgroup_info 0
		.amdhsa_system_vgpr_workitem_id 0
		.amdhsa_next_free_vgpr 51
		.amdhsa_next_free_sgpr 20
		.amdhsa_reserve_vcc 1
		.amdhsa_float_round_mode_32 0
		.amdhsa_float_round_mode_16_64 0
		.amdhsa_float_denorm_mode_32 3
		.amdhsa_float_denorm_mode_16_64 3
		.amdhsa_dx10_clamp 1
		.amdhsa_ieee_mode 1
		.amdhsa_fp16_overflow 0
		.amdhsa_workgroup_processor_mode 1
		.amdhsa_memory_ordered 1
		.amdhsa_forward_progress 0
		.amdhsa_shared_vgpr_count 0
		.amdhsa_exception_fp_ieee_invalid_op 0
		.amdhsa_exception_fp_denorm_src 0
		.amdhsa_exception_fp_ieee_div_zero 0
		.amdhsa_exception_fp_ieee_overflow 0
		.amdhsa_exception_fp_ieee_underflow 0
		.amdhsa_exception_fp_ieee_inexact 0
		.amdhsa_exception_int_div_zero 0
	.end_amdhsa_kernel
	.section	.text._ZN9rocsparseL19gebsrmvn_4xn_kernelILj128ELj7ELj8EfEEvi20rocsparse_direction_NS_24const_host_device_scalarIT2_EEPKiS6_PKS3_S8_S4_PS3_21rocsparse_index_base_b,"axG",@progbits,_ZN9rocsparseL19gebsrmvn_4xn_kernelILj128ELj7ELj8EfEEvi20rocsparse_direction_NS_24const_host_device_scalarIT2_EEPKiS6_PKS3_S8_S4_PS3_21rocsparse_index_base_b,comdat
.Lfunc_end26:
	.size	_ZN9rocsparseL19gebsrmvn_4xn_kernelILj128ELj7ELj8EfEEvi20rocsparse_direction_NS_24const_host_device_scalarIT2_EEPKiS6_PKS3_S8_S4_PS3_21rocsparse_index_base_b, .Lfunc_end26-_ZN9rocsparseL19gebsrmvn_4xn_kernelILj128ELj7ELj8EfEEvi20rocsparse_direction_NS_24const_host_device_scalarIT2_EEPKiS6_PKS3_S8_S4_PS3_21rocsparse_index_base_b
                                        ; -- End function
	.section	.AMDGPU.csdata,"",@progbits
; Kernel info:
; codeLenInByte = 3036
; NumSgprs: 22
; NumVgprs: 51
; ScratchSize: 0
; MemoryBound: 0
; FloatMode: 240
; IeeeMode: 1
; LDSByteSize: 0 bytes/workgroup (compile time only)
; SGPRBlocks: 2
; VGPRBlocks: 6
; NumSGPRsForWavesPerEU: 22
; NumVGPRsForWavesPerEU: 51
; Occupancy: 16
; WaveLimiterHint : 1
; COMPUTE_PGM_RSRC2:SCRATCH_EN: 0
; COMPUTE_PGM_RSRC2:USER_SGPR: 15
; COMPUTE_PGM_RSRC2:TRAP_HANDLER: 0
; COMPUTE_PGM_RSRC2:TGID_X_EN: 1
; COMPUTE_PGM_RSRC2:TGID_Y_EN: 0
; COMPUTE_PGM_RSRC2:TGID_Z_EN: 0
; COMPUTE_PGM_RSRC2:TIDIG_COMP_CNT: 0
	.section	.text._ZN9rocsparseL19gebsrmvn_4xn_kernelILj128ELj7ELj16EfEEvi20rocsparse_direction_NS_24const_host_device_scalarIT2_EEPKiS6_PKS3_S8_S4_PS3_21rocsparse_index_base_b,"axG",@progbits,_ZN9rocsparseL19gebsrmvn_4xn_kernelILj128ELj7ELj16EfEEvi20rocsparse_direction_NS_24const_host_device_scalarIT2_EEPKiS6_PKS3_S8_S4_PS3_21rocsparse_index_base_b,comdat
	.globl	_ZN9rocsparseL19gebsrmvn_4xn_kernelILj128ELj7ELj16EfEEvi20rocsparse_direction_NS_24const_host_device_scalarIT2_EEPKiS6_PKS3_S8_S4_PS3_21rocsparse_index_base_b ; -- Begin function _ZN9rocsparseL19gebsrmvn_4xn_kernelILj128ELj7ELj16EfEEvi20rocsparse_direction_NS_24const_host_device_scalarIT2_EEPKiS6_PKS3_S8_S4_PS3_21rocsparse_index_base_b
	.p2align	8
	.type	_ZN9rocsparseL19gebsrmvn_4xn_kernelILj128ELj7ELj16EfEEvi20rocsparse_direction_NS_24const_host_device_scalarIT2_EEPKiS6_PKS3_S8_S4_PS3_21rocsparse_index_base_b,@function
_ZN9rocsparseL19gebsrmvn_4xn_kernelILj128ELj7ELj16EfEEvi20rocsparse_direction_NS_24const_host_device_scalarIT2_EEPKiS6_PKS3_S8_S4_PS3_21rocsparse_index_base_b: ; @_ZN9rocsparseL19gebsrmvn_4xn_kernelILj128ELj7ELj16EfEEvi20rocsparse_direction_NS_24const_host_device_scalarIT2_EEPKiS6_PKS3_S8_S4_PS3_21rocsparse_index_base_b
; %bb.0:
	s_clause 0x2
	s_load_b64 s[18:19], s[0:1], 0x40
	s_load_b64 s[16:17], s[0:1], 0x8
	;; [unrolled: 1-line block ×3, first 2 shown]
	s_waitcnt lgkmcnt(0)
	s_bitcmp1_b32 s19, 0
	s_cselect_b32 s2, -1, 0
	s_delay_alu instid0(SALU_CYCLE_1)
	s_and_b32 vcc_lo, exec_lo, s2
	s_xor_b32 s2, s2, -1
	s_cbranch_vccnz .LBB27_2
; %bb.1:
	s_load_b32 s16, s[16:17], 0x0
.LBB27_2:
	s_and_not1_b32 vcc_lo, exec_lo, s2
	s_cbranch_vccnz .LBB27_4
; %bb.3:
	s_load_b32 s12, s[12:13], 0x0
.LBB27_4:
	s_waitcnt lgkmcnt(0)
	v_cmp_eq_f32_e64 s2, s16, 0
	v_cmp_eq_f32_e64 s3, s12, 1.0
	s_delay_alu instid0(VALU_DEP_1) | instskip(NEXT) | instid1(SALU_CYCLE_1)
	s_and_b32 s2, s2, s3
	s_and_b32 vcc_lo, exec_lo, s2
	s_cbranch_vccnz .LBB27_23
; %bb.5:
	s_load_b64 s[2:3], s[0:1], 0x0
	v_lshrrev_b32_e32 v1, 4, v0
	s_delay_alu instid0(VALU_DEP_1) | instskip(SKIP_1) | instid1(VALU_DEP_1)
	v_lshl_or_b32 v4, s15, 3, v1
	s_waitcnt lgkmcnt(0)
	v_cmp_gt_i32_e32 vcc_lo, s2, v4
	s_and_saveexec_b32 s2, vcc_lo
	s_cbranch_execz .LBB27_23
; %bb.6:
	s_load_b256 s[4:11], s[0:1], 0x10
	v_ashrrev_i32_e32 v5, 31, v4
	v_and_b32_e32 v9, 15, v0
	s_cmp_lg_u32 s3, 0
	s_delay_alu instid0(VALU_DEP_2) | instskip(SKIP_1) | instid1(VALU_DEP_1)
	v_lshlrev_b64 v[1:2], 2, v[4:5]
	s_waitcnt lgkmcnt(0)
	v_add_co_u32 v1, vcc_lo, s4, v1
	s_delay_alu instid0(VALU_DEP_2) | instskip(SKIP_4) | instid1(VALU_DEP_2)
	v_add_co_ci_u32_e32 v2, vcc_lo, s5, v2, vcc_lo
	global_load_b64 v[1:2], v[1:2], off
	s_waitcnt vmcnt(0)
	v_subrev_nc_u32_e32 v0, s18, v1
	v_subrev_nc_u32_e32 v14, s18, v2
	v_add_nc_u32_e32 v0, v0, v9
	s_delay_alu instid0(VALU_DEP_1)
	v_cmp_lt_i32_e64 s2, v0, v14
	s_cbranch_scc0 .LBB27_12
; %bb.7:
	v_dual_mov_b32 v10, 0 :: v_dual_mov_b32 v11, 0
	v_dual_mov_b32 v12, 0 :: v_dual_mov_b32 v13, 0
	s_mov_b32 s3, 0
	s_and_saveexec_b32 s4, s2
	s_cbranch_execz .LBB27_11
; %bb.8:
	v_mad_u64_u32 v[1:2], null, v0, 28, 24
	v_dual_mov_b32 v6, 0 :: v_dual_mov_b32 v7, v0
	v_dual_mov_b32 v10, 0 :: v_dual_mov_b32 v11, 0
	;; [unrolled: 1-line block ×3, first 2 shown]
	s_mov_b32 s5, 0
.LBB27_9:                               ; =>This Inner Loop Header: Depth=1
	s_delay_alu instid0(VALU_DEP_3) | instskip(SKIP_1) | instid1(VALU_DEP_2)
	v_ashrrev_i32_e32 v8, 31, v7
	v_subrev_nc_u32_e32 v5, 24, v1
	v_lshlrev_b64 v[2:3], 2, v[7:8]
	s_delay_alu instid0(VALU_DEP_2) | instskip(SKIP_2) | instid1(VALU_DEP_4)
	v_lshlrev_b64 v[15:16], 2, v[5:6]
	v_subrev_nc_u32_e32 v5, 20, v1
	v_add_nc_u32_e32 v7, 16, v7
	v_add_co_u32 v2, vcc_lo, s6, v2
	v_add_co_ci_u32_e32 v3, vcc_lo, s7, v3, vcc_lo
	s_delay_alu instid0(VALU_DEP_4) | instskip(SKIP_4) | instid1(VALU_DEP_2)
	v_lshlrev_b64 v[19:20], 2, v[5:6]
	v_add_co_u32 v15, vcc_lo, s8, v15
	global_load_b32 v8, v[2:3], off
	v_mov_b32_e32 v2, v6
	v_add_co_ci_u32_e32 v16, vcc_lo, s9, v16, vcc_lo
	v_lshlrev_b64 v[17:18], 2, v[1:2]
	s_delay_alu instid0(VALU_DEP_1) | instskip(NEXT) | instid1(VALU_DEP_2)
	v_add_co_u32 v39, vcc_lo, s8, v17
	v_add_co_ci_u32_e32 v40, vcc_lo, s9, v18, vcc_lo
	v_add_co_u32 v19, vcc_lo, s8, v19
	v_add_co_ci_u32_e32 v20, vcc_lo, s9, v20, vcc_lo
	s_clause 0x1
	global_load_b128 v[15:18], v[15:16], off
	global_load_b128 v[19:22], v[19:20], off
	v_mov_b32_e32 v3, v6
	s_waitcnt vmcnt(2)
	v_subrev_nc_u32_e32 v2, s18, v8
	s_delay_alu instid0(VALU_DEP_1) | instskip(NEXT) | instid1(VALU_DEP_1)
	v_mul_lo_u32 v2, v2, 7
	v_lshlrev_b64 v[23:24], 2, v[2:3]
	s_delay_alu instid0(VALU_DEP_1) | instskip(NEXT) | instid1(VALU_DEP_2)
	v_add_co_u32 v23, vcc_lo, s10, v23
	v_add_co_ci_u32_e32 v24, vcc_lo, s11, v24, vcc_lo
	global_load_b32 v8, v[23:24], off
	v_add_nc_u32_e32 v5, 1, v2
	s_delay_alu instid0(VALU_DEP_1) | instskip(SKIP_1) | instid1(VALU_DEP_1)
	v_lshlrev_b64 v[25:26], 2, v[5:6]
	v_add_nc_u32_e32 v5, -16, v1
	v_lshlrev_b64 v[27:28], 2, v[5:6]
	s_delay_alu instid0(VALU_DEP_3) | instskip(NEXT) | instid1(VALU_DEP_4)
	v_add_co_u32 v25, vcc_lo, s10, v25
	v_add_co_ci_u32_e32 v26, vcc_lo, s11, v26, vcc_lo
	global_load_b32 v45, v[25:26], off
	v_add_co_u32 v25, vcc_lo, s8, v27
	v_add_co_ci_u32_e32 v26, vcc_lo, s9, v28, vcc_lo
	s_waitcnt vmcnt(1)
	v_fmac_f32_e32 v12, v17, v8
	v_dual_fmac_f32 v10, v15, v8 :: v_dual_add_nc_u32 v5, 2, v2
	s_waitcnt vmcnt(0)
	s_delay_alu instid0(VALU_DEP_1) | instskip(NEXT) | instid1(VALU_DEP_2)
	v_fmac_f32_e32 v10, v19, v45
	v_lshlrev_b64 v[23:24], 2, v[5:6]
	v_fmac_f32_e32 v12, v21, v45
	s_delay_alu instid0(VALU_DEP_2) | instskip(NEXT) | instid1(VALU_DEP_3)
	v_add_co_u32 v29, vcc_lo, s10, v23
	v_add_co_ci_u32_e32 v30, vcc_lo, s11, v24, vcc_lo
	global_load_b128 v[23:26], v[25:26], off
	global_load_b32 v46, v[29:30], off
	v_add_nc_u32_e32 v5, -12, v1
	s_delay_alu instid0(VALU_DEP_1) | instskip(SKIP_1) | instid1(VALU_DEP_1)
	v_lshlrev_b64 v[27:28], 2, v[5:6]
	v_add_nc_u32_e32 v5, 3, v2
	v_lshlrev_b64 v[31:32], 2, v[5:6]
	s_delay_alu instid0(VALU_DEP_3) | instskip(NEXT) | instid1(VALU_DEP_4)
	v_add_co_u32 v27, vcc_lo, s8, v27
	v_add_co_ci_u32_e32 v28, vcc_lo, s9, v28, vcc_lo
	s_delay_alu instid0(VALU_DEP_3) | instskip(NEXT) | instid1(VALU_DEP_4)
	v_add_co_u32 v31, vcc_lo, s10, v31
	v_add_co_ci_u32_e32 v32, vcc_lo, s11, v32, vcc_lo
	global_load_b32 v47, v[31:32], off
	global_load_b128 v[27:30], v[27:28], off
	s_waitcnt vmcnt(2)
	v_dual_fmac_f32 v12, v25, v46 :: v_dual_add_nc_u32 v5, -8, v1
	s_delay_alu instid0(VALU_DEP_1) | instskip(SKIP_2) | instid1(VALU_DEP_3)
	v_lshlrev_b64 v[33:34], 2, v[5:6]
	v_fmac_f32_e32 v10, v23, v46
	v_add_nc_u32_e32 v5, 4, v2
	v_add_co_u32 v31, vcc_lo, s8, v33
	s_delay_alu instid0(VALU_DEP_4)
	v_add_co_ci_u32_e32 v32, vcc_lo, s9, v34, vcc_lo
	global_load_b128 v[31:34], v[31:32], off
	s_waitcnt vmcnt(1)
	v_fmac_f32_e32 v10, v27, v47
	v_lshlrev_b64 v[35:36], 2, v[5:6]
	v_dual_fmac_f32 v12, v29, v47 :: v_dual_add_nc_u32 v5, -4, v1
	v_add_nc_u32_e32 v1, 0x1c0, v1
	s_delay_alu instid0(VALU_DEP_3) | instskip(NEXT) | instid1(VALU_DEP_4)
	v_add_co_u32 v35, vcc_lo, s10, v35
	v_add_co_ci_u32_e32 v36, vcc_lo, s11, v36, vcc_lo
	s_delay_alu instid0(VALU_DEP_4) | instskip(SKIP_3) | instid1(VALU_DEP_1)
	v_lshlrev_b64 v[37:38], 2, v[5:6]
	global_load_b32 v48, v[35:36], off
	s_waitcnt vmcnt(0)
	v_dual_fmac_f32 v10, v31, v48 :: v_dual_add_nc_u32 v5, 5, v2
	v_lshlrev_b64 v[41:42], 2, v[5:6]
	v_dual_fmac_f32 v12, v33, v48 :: v_dual_add_nc_u32 v5, 6, v2
	v_add_co_u32 v2, vcc_lo, s8, v37
	v_add_co_ci_u32_e32 v3, vcc_lo, s9, v38, vcc_lo
	s_delay_alu instid0(VALU_DEP_3)
	v_lshlrev_b64 v[43:44], 2, v[5:6]
	v_add_co_u32 v41, vcc_lo, s10, v41
	v_add_co_ci_u32_e32 v42, vcc_lo, s11, v42, vcc_lo
	global_load_b128 v[35:38], v[2:3], off
	global_load_b32 v5, v[41:42], off
	v_add_co_u32 v2, vcc_lo, s10, v43
	v_add_co_ci_u32_e32 v3, vcc_lo, s11, v44, vcc_lo
	global_load_b128 v[39:42], v[39:40], off
	global_load_b32 v2, v[2:3], off
	v_fmac_f32_e32 v13, v16, v8
	v_fmac_f32_e32 v11, v18, v8
	v_cmp_ge_i32_e32 vcc_lo, v7, v14
	s_or_b32 s5, vcc_lo, s5
	s_waitcnt vmcnt(2)
	v_fmac_f32_e32 v12, v37, v5
	v_fmac_f32_e32 v11, v22, v45
	;; [unrolled: 1-line block ×3, first 2 shown]
	s_waitcnt vmcnt(0)
	s_delay_alu instid0(VALU_DEP_1) | instskip(NEXT) | instid1(VALU_DEP_1)
	v_dual_fmac_f32 v13, v20, v45 :: v_dual_fmac_f32 v10, v39, v2
	v_fmac_f32_e32 v13, v24, v46
	v_fmac_f32_e32 v12, v41, v2
	;; [unrolled: 1-line block ×3, first 2 shown]
	s_delay_alu instid0(VALU_DEP_3) | instskip(NEXT) | instid1(VALU_DEP_2)
	v_fmac_f32_e32 v13, v28, v47
	v_fmac_f32_e32 v11, v30, v47
	s_delay_alu instid0(VALU_DEP_2) | instskip(NEXT) | instid1(VALU_DEP_2)
	v_fmac_f32_e32 v13, v32, v48
	v_fmac_f32_e32 v11, v34, v48
	s_delay_alu instid0(VALU_DEP_2) | instskip(NEXT) | instid1(VALU_DEP_2)
	;; [unrolled: 3-line block ×3, first 2 shown]
	v_fmac_f32_e32 v13, v40, v2
	v_fmac_f32_e32 v11, v42, v2
	s_and_not1_b32 exec_lo, exec_lo, s5
	s_cbranch_execnz .LBB27_9
; %bb.10:
	s_or_b32 exec_lo, exec_lo, s5
.LBB27_11:
	s_delay_alu instid0(SALU_CYCLE_1) | instskip(NEXT) | instid1(SALU_CYCLE_1)
	s_or_b32 exec_lo, exec_lo, s4
	s_and_not1_b32 vcc_lo, exec_lo, s3
	s_cbranch_vccz .LBB27_13
	s_branch .LBB27_18
.LBB27_12:
                                        ; implicit-def: $vgpr10
                                        ; implicit-def: $vgpr11
                                        ; implicit-def: $vgpr12
                                        ; implicit-def: $vgpr13
.LBB27_13:
	v_dual_mov_b32 v10, 0 :: v_dual_mov_b32 v11, 0
	v_dual_mov_b32 v12, 0 :: v_dual_mov_b32 v13, 0
	s_delay_alu instid0(VALU_DEP_3)
	s_and_saveexec_b32 s3, s2
	s_cbranch_execz .LBB27_17
; %bb.14:
	v_mad_u64_u32 v[2:3], null, v0, 28, 27
	v_dual_mov_b32 v6, 0 :: v_dual_mov_b32 v11, 0
	v_dual_mov_b32 v10, 0 :: v_dual_mov_b32 v13, 0
	v_mov_b32_e32 v12, 0
	s_mov_b32 s2, 0
.LBB27_15:                              ; =>This Inner Loop Header: Depth=1
	v_ashrrev_i32_e32 v1, 31, v0
	v_subrev_nc_u32_e32 v5, 27, v2
	v_add_nc_u32_e32 v17, -6, v2
	v_dual_mov_b32 v20, v6 :: v_dual_add_nc_u32 v15, -13, v2
	s_delay_alu instid0(VALU_DEP_4) | instskip(NEXT) | instid1(VALU_DEP_4)
	v_lshlrev_b64 v[7:8], 2, v[0:1]
	v_lshlrev_b64 v[21:22], 2, v[5:6]
	v_mov_b32_e32 v18, v6
	v_dual_mov_b32 v3, v6 :: v_dual_add_nc_u32 v0, 16, v0
	s_delay_alu instid0(VALU_DEP_4)
	v_add_co_u32 v7, vcc_lo, s6, v7
	v_add_co_ci_u32_e32 v8, vcc_lo, s7, v8, vcc_lo
	v_add_co_u32 v21, vcc_lo, s8, v21
	v_add_co_ci_u32_e32 v22, vcc_lo, s9, v22, vcc_lo
	global_load_b32 v1, v[7:8], off
	v_subrev_nc_u32_e32 v7, 20, v2
	v_mov_b32_e32 v8, v6
	v_lshlrev_b64 v[17:18], 2, v[17:18]
	v_lshlrev_b64 v[23:24], 2, v[2:3]
	s_delay_alu instid0(VALU_DEP_3) | instskip(NEXT) | instid1(VALU_DEP_1)
	v_lshlrev_b64 v[7:8], 2, v[7:8]
	v_add_co_u32 v7, vcc_lo, s8, v7
	s_delay_alu instid0(VALU_DEP_2) | instskip(SKIP_2) | instid1(VALU_DEP_1)
	v_add_co_ci_u32_e32 v8, vcc_lo, s9, v8, vcc_lo
	s_waitcnt vmcnt(0)
	v_subrev_nc_u32_e32 v1, s18, v1
	v_mul_lo_u32 v19, v1, 7
	s_delay_alu instid0(VALU_DEP_1) | instskip(NEXT) | instid1(VALU_DEP_1)
	v_dual_mov_b32 v16, v6 :: v_dual_add_nc_u32 v5, 1, v19
	v_lshlrev_b64 v[15:16], 2, v[15:16]
	s_delay_alu instid0(VALU_DEP_1) | instskip(NEXT) | instid1(VALU_DEP_2)
	v_add_co_u32 v25, vcc_lo, s8, v15
	v_add_co_ci_u32_e32 v26, vcc_lo, s9, v16, vcc_lo
	v_add_co_u32 v27, vcc_lo, s8, v17
	v_add_co_ci_u32_e32 v28, vcc_lo, s9, v18, vcc_lo
	s_clause 0x3
	global_load_b128 v[15:18], v[21:22], off
	global_load_b32 v3, v[7:8], off
	global_load_b32 v29, v[25:26], off
	;; [unrolled: 1-line block ×3, first 2 shown]
	v_lshlrev_b64 v[7:8], 2, v[19:20]
	v_add_co_u32 v23, vcc_lo, s8, v23
	v_add_co_ci_u32_e32 v24, vcc_lo, s9, v24, vcc_lo
	v_lshlrev_b64 v[20:21], 2, v[5:6]
	s_delay_alu instid0(VALU_DEP_4)
	v_add_co_u32 v7, vcc_lo, s10, v7
	v_add_co_ci_u32_e32 v8, vcc_lo, s11, v8, vcc_lo
	v_subrev_nc_u32_e32 v5, 19, v2
	global_load_b32 v1, v[7:8], off
	v_add_co_u32 v7, vcc_lo, s10, v20
	v_add_co_ci_u32_e32 v8, vcc_lo, s11, v21, vcc_lo
	v_lshlrev_b64 v[25:26], 2, v[5:6]
	v_add_nc_u32_e32 v5, -12, v2
	global_load_b32 v28, v[7:8], off
	v_lshlrev_b64 v[20:21], 2, v[5:6]
	v_add_co_u32 v25, vcc_lo, s8, v25
	v_add_co_ci_u32_e32 v26, vcc_lo, s9, v26, vcc_lo
	v_add_nc_u32_e32 v5, -5, v2
	s_delay_alu instid0(VALU_DEP_4)
	v_add_co_u32 v20, vcc_lo, s8, v20
	v_add_co_ci_u32_e32 v21, vcc_lo, s9, v21, vcc_lo
	s_clause 0x1
	global_load_b32 v30, v[25:26], off
	global_load_b32 v31, v[20:21], off
	s_waitcnt vmcnt(3)
	v_fmac_f32_e32 v12, v29, v1
	v_lshlrev_b64 v[7:8], 2, v[5:6]
	v_dual_fmac_f32 v10, v15, v1 :: v_dual_add_nc_u32 v5, 2, v19
	v_fmac_f32_e32 v13, v3, v1
	v_fmac_f32_e32 v11, v27, v1
	s_delay_alu instid0(VALU_DEP_4)
	v_add_co_u32 v7, vcc_lo, s8, v7
	s_waitcnt vmcnt(2)
	v_fmac_f32_e32 v10, v16, v28
	v_lshlrev_b64 v[25:26], 2, v[5:6]
	v_add_co_ci_u32_e32 v8, vcc_lo, s9, v8, vcc_lo
	v_subrev_nc_u32_e32 v5, 18, v2
	global_load_b32 v32, v[7:8], off
	v_add_co_u32 v7, vcc_lo, s10, v25
	v_add_co_ci_u32_e32 v8, vcc_lo, s11, v26, vcc_lo
	v_lshlrev_b64 v[20:21], 2, v[5:6]
	s_waitcnt vmcnt(1)
	v_dual_fmac_f32 v12, v31, v28 :: v_dual_add_nc_u32 v5, -11, v2
	global_load_b32 v33, v[7:8], off
	v_add_co_u32 v20, vcc_lo, s8, v20
	v_lshlrev_b64 v[25:26], 2, v[5:6]
	v_add_co_ci_u32_e32 v21, vcc_lo, s9, v21, vcc_lo
	v_add_nc_u32_e32 v5, -4, v2
	global_load_b32 v34, v[20:21], off
	v_add_co_u32 v20, vcc_lo, s8, v25
	v_add_co_ci_u32_e32 v21, vcc_lo, s9, v26, vcc_lo
	global_load_b32 v35, v[20:21], off
	s_waitcnt vmcnt(2)
	v_fmac_f32_e32 v10, v17, v33
	v_lshlrev_b64 v[7:8], 2, v[5:6]
	s_delay_alu instid0(VALU_DEP_1) | instskip(NEXT) | instid1(VALU_DEP_2)
	v_add_co_u32 v7, vcc_lo, s8, v7
	v_add_co_ci_u32_e32 v8, vcc_lo, s9, v8, vcc_lo
	global_load_b32 v36, v[7:8], off
	s_waitcnt vmcnt(1)
	v_dual_fmac_f32 v12, v35, v33 :: v_dual_add_nc_u32 v5, 3, v19
	s_delay_alu instid0(VALU_DEP_1) | instskip(SKIP_1) | instid1(VALU_DEP_2)
	v_lshlrev_b64 v[25:26], 2, v[5:6]
	v_subrev_nc_u32_e32 v5, 17, v2
	v_add_co_u32 v7, vcc_lo, s10, v25
	s_delay_alu instid0(VALU_DEP_3) | instskip(NEXT) | instid1(VALU_DEP_3)
	v_add_co_ci_u32_e32 v8, vcc_lo, s11, v26, vcc_lo
	v_lshlrev_b64 v[20:21], 2, v[5:6]
	global_load_b32 v37, v[7:8], off
	v_add_nc_u32_e32 v5, -10, v2
	v_add_co_u32 v20, vcc_lo, s8, v20
	v_add_co_ci_u32_e32 v21, vcc_lo, s9, v21, vcc_lo
	global_load_b32 v38, v[20:21], off
	s_waitcnt vmcnt(1)
	v_fmac_f32_e32 v10, v18, v37
	v_lshlrev_b64 v[25:26], 2, v[5:6]
	s_delay_alu instid0(VALU_DEP_1) | instskip(NEXT) | instid1(VALU_DEP_2)
	v_add_co_u32 v20, vcc_lo, s8, v25
	v_add_co_ci_u32_e32 v21, vcc_lo, s9, v26, vcc_lo
	global_load_b32 v39, v[20:21], off
	v_add_nc_u32_e32 v5, -3, v2
	s_delay_alu instid0(VALU_DEP_1) | instskip(SKIP_1) | instid1(VALU_DEP_2)
	v_lshlrev_b64 v[7:8], 2, v[5:6]
	v_subrev_nc_u32_e32 v5, 23, v2
	v_add_co_u32 v7, vcc_lo, s8, v7
	s_delay_alu instid0(VALU_DEP_2) | instskip(NEXT) | instid1(VALU_DEP_4)
	v_lshlrev_b64 v[25:26], 2, v[5:6]
	v_add_co_ci_u32_e32 v8, vcc_lo, s9, v8, vcc_lo
	global_load_b32 v40, v[7:8], off
	v_add_co_u32 v7, vcc_lo, s8, v25
	v_add_co_ci_u32_e32 v8, vcc_lo, s9, v26, vcc_lo
	global_load_b32 v41, v[7:8], off
	v_add_nc_u32_e32 v5, 4, v19
	s_delay_alu instid0(VALU_DEP_1) | instskip(NEXT) | instid1(VALU_DEP_1)
	v_lshlrev_b64 v[20:21], 2, v[5:6]
	v_add_co_u32 v20, vcc_lo, s10, v20
	s_delay_alu instid0(VALU_DEP_2)
	v_add_co_ci_u32_e32 v21, vcc_lo, s11, v21, vcc_lo
	global_load_b32 v42, v[20:21], off
	s_waitcnt vmcnt(3)
	v_fmac_f32_e32 v12, v39, v37
	s_waitcnt vmcnt(0)
	v_fmac_f32_e32 v10, v41, v42
	v_add_nc_u32_e32 v5, -16, v2
	s_delay_alu instid0(VALU_DEP_1) | instskip(SKIP_1) | instid1(VALU_DEP_1)
	v_lshlrev_b64 v[25:26], 2, v[5:6]
	v_add_nc_u32_e32 v5, -9, v2
	v_lshlrev_b64 v[7:8], 2, v[5:6]
	s_delay_alu instid0(VALU_DEP_3) | instskip(NEXT) | instid1(VALU_DEP_4)
	v_add_co_u32 v20, vcc_lo, s8, v25
	v_add_co_ci_u32_e32 v21, vcc_lo, s9, v26, vcc_lo
	v_add_nc_u32_e32 v5, -2, v2
	s_delay_alu instid0(VALU_DEP_4)
	v_add_co_u32 v7, vcc_lo, s8, v7
	v_add_co_ci_u32_e32 v8, vcc_lo, s9, v8, vcc_lo
	global_load_b32 v43, v[20:21], off
	v_lshlrev_b64 v[25:26], 2, v[5:6]
	v_subrev_nc_u32_e32 v5, 22, v2
	global_load_b32 v44, v[7:8], off
	v_lshlrev_b64 v[20:21], 2, v[5:6]
	v_add_nc_u32_e32 v5, 5, v19
	v_add_co_u32 v7, vcc_lo, s8, v25
	v_add_co_ci_u32_e32 v8, vcc_lo, s9, v26, vcc_lo
	s_delay_alu instid0(VALU_DEP_4)
	v_add_co_u32 v20, vcc_lo, s8, v20
	v_add_co_ci_u32_e32 v21, vcc_lo, s9, v21, vcc_lo
	s_clause 0x1
	global_load_b32 v45, v[7:8], off
	global_load_b32 v46, v[20:21], off
	s_waitcnt vmcnt(2)
	v_fmac_f32_e32 v12, v44, v42
	v_lshlrev_b64 v[25:26], 2, v[5:6]
	v_add_nc_u32_e32 v5, -15, v2
	s_delay_alu instid0(VALU_DEP_1) | instskip(SKIP_1) | instid1(VALU_DEP_4)
	v_lshlrev_b64 v[7:8], 2, v[5:6]
	v_add_nc_u32_e32 v5, -8, v2
	v_add_co_u32 v20, vcc_lo, s10, v25
	v_add_co_ci_u32_e32 v21, vcc_lo, s11, v26, vcc_lo
	s_delay_alu instid0(VALU_DEP_3)
	v_lshlrev_b64 v[25:26], 2, v[5:6]
	v_add_nc_u32_e32 v5, -1, v2
	v_add_co_u32 v7, vcc_lo, s8, v7
	v_add_co_ci_u32_e32 v8, vcc_lo, s9, v8, vcc_lo
	global_load_b32 v47, v[20:21], off
	v_lshlrev_b64 v[20:21], 2, v[5:6]
	v_subrev_nc_u32_e32 v5, 21, v2
	global_load_b32 v48, v[7:8], off
	v_add_co_u32 v7, vcc_lo, s8, v25
	v_add_co_ci_u32_e32 v8, vcc_lo, s9, v26, vcc_lo
	v_lshlrev_b64 v[25:26], 2, v[5:6]
	v_add_nc_u32_e32 v5, 6, v19
	v_add_co_u32 v19, vcc_lo, s8, v20
	v_add_co_ci_u32_e32 v20, vcc_lo, s9, v21, vcc_lo
	s_clause 0x1
	global_load_b32 v49, v[7:8], off
	global_load_b32 v50, v[19:20], off
	v_lshlrev_b64 v[7:8], 2, v[5:6]
	v_add_nc_u32_e32 v5, -14, v2
	v_add_co_u32 v19, vcc_lo, s8, v25
	v_add_co_ci_u32_e32 v20, vcc_lo, s9, v26, vcc_lo
	s_delay_alu instid0(VALU_DEP_3) | instskip(SKIP_3) | instid1(VALU_DEP_3)
	v_lshlrev_b64 v[21:22], 2, v[5:6]
	v_add_nc_u32_e32 v5, -7, v2
	v_add_co_u32 v7, vcc_lo, s10, v7
	v_add_co_ci_u32_e32 v8, vcc_lo, s11, v8, vcc_lo
	v_lshlrev_b64 v[25:26], 2, v[5:6]
	v_add_co_u32 v21, vcc_lo, s8, v21
	v_add_co_ci_u32_e32 v22, vcc_lo, s9, v22, vcc_lo
	v_add_nc_u32_e32 v2, 0x1c0, v2
	s_delay_alu instid0(VALU_DEP_4)
	v_add_co_u32 v25, vcc_lo, s8, v25
	v_add_co_ci_u32_e32 v26, vcc_lo, s9, v26, vcc_lo
	global_load_b32 v5, v[19:20], off
	global_load_b32 v7, v[7:8], off
	s_clause 0x2
	global_load_b32 v8, v[21:22], off
	global_load_b32 v19, v[25:26], off
	;; [unrolled: 1-line block ×3, first 2 shown]
	v_fmac_f32_e32 v11, v32, v28
	v_cmp_ge_i32_e32 vcc_lo, v0, v14
	s_delay_alu instid0(VALU_DEP_2) | instskip(SKIP_1) | instid1(VALU_DEP_1)
	v_fmac_f32_e32 v11, v36, v33
	s_or_b32 s2, vcc_lo, s2
	v_fmac_f32_e32 v11, v40, v37
	s_waitcnt vmcnt(8)
	s_delay_alu instid0(VALU_DEP_1) | instskip(SKIP_3) | instid1(VALU_DEP_2)
	v_dual_fmac_f32 v11, v45, v42 :: v_dual_fmac_f32 v10, v46, v47
	s_waitcnt vmcnt(6)
	v_dual_fmac_f32 v13, v30, v28 :: v_dual_fmac_f32 v12, v49, v47
	s_waitcnt vmcnt(5)
	v_fmac_f32_e32 v11, v50, v47
	s_waitcnt vmcnt(3)
	s_delay_alu instid0(VALU_DEP_2)
	v_dual_fmac_f32 v10, v5, v7 :: v_dual_fmac_f32 v13, v34, v33
	s_waitcnt vmcnt(1)
	v_fmac_f32_e32 v12, v19, v7
	s_waitcnt vmcnt(0)
	v_fmac_f32_e32 v11, v20, v7
	v_fmac_f32_e32 v13, v38, v37
	s_delay_alu instid0(VALU_DEP_1) | instskip(NEXT) | instid1(VALU_DEP_1)
	v_fmac_f32_e32 v13, v43, v42
	v_fmac_f32_e32 v13, v48, v47
	s_delay_alu instid0(VALU_DEP_1)
	v_fmac_f32_e32 v13, v8, v7
	s_and_not1_b32 exec_lo, exec_lo, s2
	s_cbranch_execnz .LBB27_15
; %bb.16:
	s_or_b32 exec_lo, exec_lo, s2
.LBB27_17:
	s_delay_alu instid0(SALU_CYCLE_1)
	s_or_b32 exec_lo, exec_lo, s3
.LBB27_18:
	v_mbcnt_lo_u32_b32 v0, -1, 0
	s_mov_b32 s2, -1
	s_delay_alu instid0(VALU_DEP_1) | instskip(SKIP_1) | instid1(VALU_DEP_2)
	v_xor_b32_e32 v1, 8, v0
	v_xor_b32_e32 v6, 4, v0
	v_cmp_gt_i32_e32 vcc_lo, 32, v1
	v_cndmask_b32_e32 v1, v0, v1, vcc_lo
	s_delay_alu instid0(VALU_DEP_3) | instskip(SKIP_1) | instid1(VALU_DEP_1)
	v_cmp_gt_i32_e32 vcc_lo, 32, v6
	v_cndmask_b32_e32 v6, v0, v6, vcc_lo
	v_lshlrev_b32_e32 v6, 2, v6
	s_delay_alu instid0(VALU_DEP_4)
	v_lshlrev_b32_e32 v1, 2, v1
	ds_bpermute_b32 v2, v1, v10
	s_waitcnt lgkmcnt(0)
	v_add_f32_e32 v2, v10, v2
	ds_bpermute_b32 v3, v1, v13
	ds_bpermute_b32 v5, v1, v12
	;; [unrolled: 1-line block ×4, first 2 shown]
	s_waitcnt lgkmcnt(3)
	v_add_f32_e32 v3, v13, v3
	s_waitcnt lgkmcnt(2)
	v_add_f32_e32 v5, v12, v5
	;; [unrolled: 2-line block ×3, first 2 shown]
	v_xor_b32_e32 v11, 2, v0
	s_waitcnt lgkmcnt(0)
	v_add_f32_e32 v2, v2, v7
	ds_bpermute_b32 v8, v6, v3
	ds_bpermute_b32 v10, v6, v5
	;; [unrolled: 1-line block ×3, first 2 shown]
	v_cmp_gt_i32_e32 vcc_lo, 32, v11
	v_cndmask_b32_e32 v11, v0, v11, vcc_lo
	s_waitcnt lgkmcnt(2)
	v_add_f32_e32 v3, v3, v8
	s_waitcnt lgkmcnt(1)
	v_add_f32_e32 v5, v5, v10
	s_waitcnt lgkmcnt(0)
	v_dual_add_f32 v6, v1, v6 :: v_dual_lshlrev_b32 v11, 2, v11
	ds_bpermute_b32 v1, v11, v2
	ds_bpermute_b32 v7, v11, v3
	ds_bpermute_b32 v8, v11, v5
	ds_bpermute_b32 v10, v11, v6
	v_xor_b32_e32 v11, 1, v0
	s_delay_alu instid0(VALU_DEP_1) | instskip(SKIP_3) | instid1(VALU_DEP_2)
	v_cmp_gt_i32_e32 vcc_lo, 32, v11
	v_cndmask_b32_e32 v0, v0, v11, vcc_lo
	v_cmp_eq_u32_e32 vcc_lo, 15, v9
	s_waitcnt lgkmcnt(3)
	v_dual_add_f32 v0, v2, v1 :: v_dual_lshlrev_b32 v11, 2, v0
	s_waitcnt lgkmcnt(1)
	v_dual_add_f32 v1, v3, v7 :: v_dual_add_f32 v2, v5, v8
	s_waitcnt lgkmcnt(0)
	v_add_f32_e32 v3, v6, v10
	ds_bpermute_b32 v5, v11, v0
	ds_bpermute_b32 v6, v11, v1
	;; [unrolled: 1-line block ×4, first 2 shown]
	s_and_b32 exec_lo, exec_lo, vcc_lo
	s_cbranch_execz .LBB27_23
; %bb.19:
	s_load_b64 s[0:1], s[0:1], 0x38
	s_waitcnt lgkmcnt(0)
	v_dual_add_f32 v0, v0, v5 :: v_dual_add_f32 v1, v1, v6
	v_dual_add_f32 v2, v2, v7 :: v_dual_add_f32 v3, v3, v8
	v_cmp_eq_f32_e64 s3, s12, 0
	s_delay_alu instid0(VALU_DEP_3) | instskip(NEXT) | instid1(VALU_DEP_3)
	v_dual_mul_f32 v0, s16, v0 :: v_dual_mul_f32 v1, s16, v1
	v_dual_mul_f32 v2, s16, v2 :: v_dual_mul_f32 v3, s16, v3
	v_lshlrev_b32_e32 v4, 2, v4
	s_delay_alu instid0(VALU_DEP_4)
	s_and_b32 vcc_lo, exec_lo, s3
	s_cbranch_vccz .LBB27_21
; %bb.20:
	s_delay_alu instid0(VALU_DEP_1) | instskip(SKIP_1) | instid1(VALU_DEP_1)
	v_ashrrev_i32_e32 v5, 31, v4
	s_mov_b32 s2, 0
	v_lshlrev_b64 v[5:6], 2, v[4:5]
	s_delay_alu instid0(VALU_DEP_1) | instskip(NEXT) | instid1(VALU_DEP_2)
	v_add_co_u32 v5, vcc_lo, s0, v5
	v_add_co_ci_u32_e32 v6, vcc_lo, s1, v6, vcc_lo
	global_store_b128 v[5:6], v[0:3], off
.LBB27_21:
	s_and_not1_b32 vcc_lo, exec_lo, s2
	s_cbranch_vccnz .LBB27_23
; %bb.22:
	v_ashrrev_i32_e32 v5, 31, v4
	s_delay_alu instid0(VALU_DEP_1) | instskip(NEXT) | instid1(VALU_DEP_1)
	v_lshlrev_b64 v[4:5], 2, v[4:5]
	v_add_co_u32 v8, vcc_lo, s0, v4
	s_delay_alu instid0(VALU_DEP_2)
	v_add_co_ci_u32_e32 v9, vcc_lo, s1, v5, vcc_lo
	global_load_b128 v[4:7], v[8:9], off
	s_waitcnt vmcnt(0)
	v_dual_fmac_f32 v0, s12, v4 :: v_dual_fmac_f32 v1, s12, v5
	v_dual_fmac_f32 v2, s12, v6 :: v_dual_fmac_f32 v3, s12, v7
	global_store_b128 v[8:9], v[0:3], off
.LBB27_23:
	s_nop 0
	s_sendmsg sendmsg(MSG_DEALLOC_VGPRS)
	s_endpgm
	.section	.rodata,"a",@progbits
	.p2align	6, 0x0
	.amdhsa_kernel _ZN9rocsparseL19gebsrmvn_4xn_kernelILj128ELj7ELj16EfEEvi20rocsparse_direction_NS_24const_host_device_scalarIT2_EEPKiS6_PKS3_S8_S4_PS3_21rocsparse_index_base_b
		.amdhsa_group_segment_fixed_size 0
		.amdhsa_private_segment_fixed_size 0
		.amdhsa_kernarg_size 72
		.amdhsa_user_sgpr_count 15
		.amdhsa_user_sgpr_dispatch_ptr 0
		.amdhsa_user_sgpr_queue_ptr 0
		.amdhsa_user_sgpr_kernarg_segment_ptr 1
		.amdhsa_user_sgpr_dispatch_id 0
		.amdhsa_user_sgpr_private_segment_size 0
		.amdhsa_wavefront_size32 1
		.amdhsa_uses_dynamic_stack 0
		.amdhsa_enable_private_segment 0
		.amdhsa_system_sgpr_workgroup_id_x 1
		.amdhsa_system_sgpr_workgroup_id_y 0
		.amdhsa_system_sgpr_workgroup_id_z 0
		.amdhsa_system_sgpr_workgroup_info 0
		.amdhsa_system_vgpr_workitem_id 0
		.amdhsa_next_free_vgpr 51
		.amdhsa_next_free_sgpr 20
		.amdhsa_reserve_vcc 1
		.amdhsa_float_round_mode_32 0
		.amdhsa_float_round_mode_16_64 0
		.amdhsa_float_denorm_mode_32 3
		.amdhsa_float_denorm_mode_16_64 3
		.amdhsa_dx10_clamp 1
		.amdhsa_ieee_mode 1
		.amdhsa_fp16_overflow 0
		.amdhsa_workgroup_processor_mode 1
		.amdhsa_memory_ordered 1
		.amdhsa_forward_progress 0
		.amdhsa_shared_vgpr_count 0
		.amdhsa_exception_fp_ieee_invalid_op 0
		.amdhsa_exception_fp_denorm_src 0
		.amdhsa_exception_fp_ieee_div_zero 0
		.amdhsa_exception_fp_ieee_overflow 0
		.amdhsa_exception_fp_ieee_underflow 0
		.amdhsa_exception_fp_ieee_inexact 0
		.amdhsa_exception_int_div_zero 0
	.end_amdhsa_kernel
	.section	.text._ZN9rocsparseL19gebsrmvn_4xn_kernelILj128ELj7ELj16EfEEvi20rocsparse_direction_NS_24const_host_device_scalarIT2_EEPKiS6_PKS3_S8_S4_PS3_21rocsparse_index_base_b,"axG",@progbits,_ZN9rocsparseL19gebsrmvn_4xn_kernelILj128ELj7ELj16EfEEvi20rocsparse_direction_NS_24const_host_device_scalarIT2_EEPKiS6_PKS3_S8_S4_PS3_21rocsparse_index_base_b,comdat
.Lfunc_end27:
	.size	_ZN9rocsparseL19gebsrmvn_4xn_kernelILj128ELj7ELj16EfEEvi20rocsparse_direction_NS_24const_host_device_scalarIT2_EEPKiS6_PKS3_S8_S4_PS3_21rocsparse_index_base_b, .Lfunc_end27-_ZN9rocsparseL19gebsrmvn_4xn_kernelILj128ELj7ELj16EfEEvi20rocsparse_direction_NS_24const_host_device_scalarIT2_EEPKiS6_PKS3_S8_S4_PS3_21rocsparse_index_base_b
                                        ; -- End function
	.section	.AMDGPU.csdata,"",@progbits
; Kernel info:
; codeLenInByte = 3120
; NumSgprs: 22
; NumVgprs: 51
; ScratchSize: 0
; MemoryBound: 0
; FloatMode: 240
; IeeeMode: 1
; LDSByteSize: 0 bytes/workgroup (compile time only)
; SGPRBlocks: 2
; VGPRBlocks: 6
; NumSGPRsForWavesPerEU: 22
; NumVGPRsForWavesPerEU: 51
; Occupancy: 16
; WaveLimiterHint : 1
; COMPUTE_PGM_RSRC2:SCRATCH_EN: 0
; COMPUTE_PGM_RSRC2:USER_SGPR: 15
; COMPUTE_PGM_RSRC2:TRAP_HANDLER: 0
; COMPUTE_PGM_RSRC2:TGID_X_EN: 1
; COMPUTE_PGM_RSRC2:TGID_Y_EN: 0
; COMPUTE_PGM_RSRC2:TGID_Z_EN: 0
; COMPUTE_PGM_RSRC2:TIDIG_COMP_CNT: 0
	.section	.text._ZN9rocsparseL19gebsrmvn_4xn_kernelILj128ELj7ELj32EfEEvi20rocsparse_direction_NS_24const_host_device_scalarIT2_EEPKiS6_PKS3_S8_S4_PS3_21rocsparse_index_base_b,"axG",@progbits,_ZN9rocsparseL19gebsrmvn_4xn_kernelILj128ELj7ELj32EfEEvi20rocsparse_direction_NS_24const_host_device_scalarIT2_EEPKiS6_PKS3_S8_S4_PS3_21rocsparse_index_base_b,comdat
	.globl	_ZN9rocsparseL19gebsrmvn_4xn_kernelILj128ELj7ELj32EfEEvi20rocsparse_direction_NS_24const_host_device_scalarIT2_EEPKiS6_PKS3_S8_S4_PS3_21rocsparse_index_base_b ; -- Begin function _ZN9rocsparseL19gebsrmvn_4xn_kernelILj128ELj7ELj32EfEEvi20rocsparse_direction_NS_24const_host_device_scalarIT2_EEPKiS6_PKS3_S8_S4_PS3_21rocsparse_index_base_b
	.p2align	8
	.type	_ZN9rocsparseL19gebsrmvn_4xn_kernelILj128ELj7ELj32EfEEvi20rocsparse_direction_NS_24const_host_device_scalarIT2_EEPKiS6_PKS3_S8_S4_PS3_21rocsparse_index_base_b,@function
_ZN9rocsparseL19gebsrmvn_4xn_kernelILj128ELj7ELj32EfEEvi20rocsparse_direction_NS_24const_host_device_scalarIT2_EEPKiS6_PKS3_S8_S4_PS3_21rocsparse_index_base_b: ; @_ZN9rocsparseL19gebsrmvn_4xn_kernelILj128ELj7ELj32EfEEvi20rocsparse_direction_NS_24const_host_device_scalarIT2_EEPKiS6_PKS3_S8_S4_PS3_21rocsparse_index_base_b
; %bb.0:
	s_clause 0x2
	s_load_b64 s[18:19], s[0:1], 0x40
	s_load_b64 s[16:17], s[0:1], 0x8
	;; [unrolled: 1-line block ×3, first 2 shown]
	s_waitcnt lgkmcnt(0)
	s_bitcmp1_b32 s19, 0
	s_cselect_b32 s2, -1, 0
	s_delay_alu instid0(SALU_CYCLE_1)
	s_and_b32 vcc_lo, exec_lo, s2
	s_xor_b32 s2, s2, -1
	s_cbranch_vccnz .LBB28_2
; %bb.1:
	s_load_b32 s16, s[16:17], 0x0
.LBB28_2:
	s_and_not1_b32 vcc_lo, exec_lo, s2
	s_cbranch_vccnz .LBB28_4
; %bb.3:
	s_load_b32 s12, s[12:13], 0x0
.LBB28_4:
	s_waitcnt lgkmcnt(0)
	v_cmp_eq_f32_e64 s2, s16, 0
	v_cmp_eq_f32_e64 s3, s12, 1.0
	s_delay_alu instid0(VALU_DEP_1) | instskip(NEXT) | instid1(SALU_CYCLE_1)
	s_and_b32 s2, s2, s3
	s_and_b32 vcc_lo, exec_lo, s2
	s_cbranch_vccnz .LBB28_23
; %bb.5:
	s_load_b64 s[2:3], s[0:1], 0x0
	v_lshrrev_b32_e32 v1, 5, v0
	s_delay_alu instid0(VALU_DEP_1) | instskip(SKIP_1) | instid1(VALU_DEP_1)
	v_lshl_or_b32 v4, s15, 2, v1
	s_waitcnt lgkmcnt(0)
	v_cmp_gt_i32_e32 vcc_lo, s2, v4
	s_and_saveexec_b32 s2, vcc_lo
	s_cbranch_execz .LBB28_23
; %bb.6:
	s_load_b256 s[4:11], s[0:1], 0x10
	v_ashrrev_i32_e32 v5, 31, v4
	v_and_b32_e32 v9, 31, v0
	s_cmp_lg_u32 s3, 0
	s_delay_alu instid0(VALU_DEP_2) | instskip(SKIP_1) | instid1(VALU_DEP_1)
	v_lshlrev_b64 v[1:2], 2, v[4:5]
	s_waitcnt lgkmcnt(0)
	v_add_co_u32 v1, vcc_lo, s4, v1
	s_delay_alu instid0(VALU_DEP_2) | instskip(SKIP_4) | instid1(VALU_DEP_2)
	v_add_co_ci_u32_e32 v2, vcc_lo, s5, v2, vcc_lo
	global_load_b64 v[1:2], v[1:2], off
	s_waitcnt vmcnt(0)
	v_subrev_nc_u32_e32 v0, s18, v1
	v_subrev_nc_u32_e32 v14, s18, v2
	v_add_nc_u32_e32 v0, v0, v9
	s_delay_alu instid0(VALU_DEP_1)
	v_cmp_lt_i32_e64 s2, v0, v14
	s_cbranch_scc0 .LBB28_12
; %bb.7:
	v_dual_mov_b32 v10, 0 :: v_dual_mov_b32 v11, 0
	v_dual_mov_b32 v12, 0 :: v_dual_mov_b32 v13, 0
	s_mov_b32 s3, 0
	s_and_saveexec_b32 s4, s2
	s_cbranch_execz .LBB28_11
; %bb.8:
	v_mad_u64_u32 v[1:2], null, v0, 28, 24
	v_dual_mov_b32 v6, 0 :: v_dual_mov_b32 v7, v0
	v_dual_mov_b32 v10, 0 :: v_dual_mov_b32 v11, 0
	;; [unrolled: 1-line block ×3, first 2 shown]
	s_mov_b32 s5, 0
.LBB28_9:                               ; =>This Inner Loop Header: Depth=1
	s_delay_alu instid0(VALU_DEP_3) | instskip(SKIP_1) | instid1(VALU_DEP_2)
	v_ashrrev_i32_e32 v8, 31, v7
	v_subrev_nc_u32_e32 v5, 24, v1
	v_lshlrev_b64 v[2:3], 2, v[7:8]
	s_delay_alu instid0(VALU_DEP_2) | instskip(SKIP_2) | instid1(VALU_DEP_4)
	v_lshlrev_b64 v[15:16], 2, v[5:6]
	v_subrev_nc_u32_e32 v5, 20, v1
	v_add_nc_u32_e32 v7, 32, v7
	v_add_co_u32 v2, vcc_lo, s6, v2
	v_add_co_ci_u32_e32 v3, vcc_lo, s7, v3, vcc_lo
	s_delay_alu instid0(VALU_DEP_4) | instskip(SKIP_4) | instid1(VALU_DEP_2)
	v_lshlrev_b64 v[19:20], 2, v[5:6]
	v_add_co_u32 v15, vcc_lo, s8, v15
	global_load_b32 v8, v[2:3], off
	v_mov_b32_e32 v2, v6
	v_add_co_ci_u32_e32 v16, vcc_lo, s9, v16, vcc_lo
	v_lshlrev_b64 v[17:18], 2, v[1:2]
	s_delay_alu instid0(VALU_DEP_1) | instskip(NEXT) | instid1(VALU_DEP_2)
	v_add_co_u32 v39, vcc_lo, s8, v17
	v_add_co_ci_u32_e32 v40, vcc_lo, s9, v18, vcc_lo
	v_add_co_u32 v19, vcc_lo, s8, v19
	v_add_co_ci_u32_e32 v20, vcc_lo, s9, v20, vcc_lo
	s_clause 0x1
	global_load_b128 v[15:18], v[15:16], off
	global_load_b128 v[19:22], v[19:20], off
	v_mov_b32_e32 v3, v6
	s_waitcnt vmcnt(2)
	v_subrev_nc_u32_e32 v2, s18, v8
	s_delay_alu instid0(VALU_DEP_1) | instskip(NEXT) | instid1(VALU_DEP_1)
	v_mul_lo_u32 v2, v2, 7
	v_lshlrev_b64 v[23:24], 2, v[2:3]
	s_delay_alu instid0(VALU_DEP_1) | instskip(NEXT) | instid1(VALU_DEP_2)
	v_add_co_u32 v23, vcc_lo, s10, v23
	v_add_co_ci_u32_e32 v24, vcc_lo, s11, v24, vcc_lo
	global_load_b32 v8, v[23:24], off
	v_add_nc_u32_e32 v5, 1, v2
	s_delay_alu instid0(VALU_DEP_1) | instskip(SKIP_1) | instid1(VALU_DEP_1)
	v_lshlrev_b64 v[25:26], 2, v[5:6]
	v_add_nc_u32_e32 v5, -16, v1
	v_lshlrev_b64 v[27:28], 2, v[5:6]
	s_delay_alu instid0(VALU_DEP_3) | instskip(NEXT) | instid1(VALU_DEP_4)
	v_add_co_u32 v25, vcc_lo, s10, v25
	v_add_co_ci_u32_e32 v26, vcc_lo, s11, v26, vcc_lo
	global_load_b32 v45, v[25:26], off
	v_add_co_u32 v25, vcc_lo, s8, v27
	v_add_co_ci_u32_e32 v26, vcc_lo, s9, v28, vcc_lo
	s_waitcnt vmcnt(1)
	v_fmac_f32_e32 v12, v17, v8
	v_dual_fmac_f32 v10, v15, v8 :: v_dual_add_nc_u32 v5, 2, v2
	s_waitcnt vmcnt(0)
	s_delay_alu instid0(VALU_DEP_1) | instskip(NEXT) | instid1(VALU_DEP_2)
	v_fmac_f32_e32 v10, v19, v45
	v_lshlrev_b64 v[23:24], 2, v[5:6]
	v_fmac_f32_e32 v12, v21, v45
	s_delay_alu instid0(VALU_DEP_2) | instskip(NEXT) | instid1(VALU_DEP_3)
	v_add_co_u32 v29, vcc_lo, s10, v23
	v_add_co_ci_u32_e32 v30, vcc_lo, s11, v24, vcc_lo
	global_load_b128 v[23:26], v[25:26], off
	global_load_b32 v46, v[29:30], off
	v_add_nc_u32_e32 v5, -12, v1
	s_delay_alu instid0(VALU_DEP_1) | instskip(SKIP_1) | instid1(VALU_DEP_1)
	v_lshlrev_b64 v[27:28], 2, v[5:6]
	v_add_nc_u32_e32 v5, 3, v2
	v_lshlrev_b64 v[31:32], 2, v[5:6]
	s_delay_alu instid0(VALU_DEP_3) | instskip(NEXT) | instid1(VALU_DEP_4)
	v_add_co_u32 v27, vcc_lo, s8, v27
	v_add_co_ci_u32_e32 v28, vcc_lo, s9, v28, vcc_lo
	s_delay_alu instid0(VALU_DEP_3) | instskip(NEXT) | instid1(VALU_DEP_4)
	v_add_co_u32 v31, vcc_lo, s10, v31
	v_add_co_ci_u32_e32 v32, vcc_lo, s11, v32, vcc_lo
	global_load_b32 v47, v[31:32], off
	global_load_b128 v[27:30], v[27:28], off
	s_waitcnt vmcnt(2)
	v_dual_fmac_f32 v12, v25, v46 :: v_dual_add_nc_u32 v5, -8, v1
	s_delay_alu instid0(VALU_DEP_1) | instskip(SKIP_2) | instid1(VALU_DEP_3)
	v_lshlrev_b64 v[33:34], 2, v[5:6]
	v_fmac_f32_e32 v10, v23, v46
	v_add_nc_u32_e32 v5, 4, v2
	v_add_co_u32 v31, vcc_lo, s8, v33
	s_delay_alu instid0(VALU_DEP_4)
	v_add_co_ci_u32_e32 v32, vcc_lo, s9, v34, vcc_lo
	global_load_b128 v[31:34], v[31:32], off
	s_waitcnt vmcnt(1)
	v_fmac_f32_e32 v10, v27, v47
	v_lshlrev_b64 v[35:36], 2, v[5:6]
	v_dual_fmac_f32 v12, v29, v47 :: v_dual_add_nc_u32 v5, -4, v1
	v_add_nc_u32_e32 v1, 0x380, v1
	s_delay_alu instid0(VALU_DEP_3) | instskip(NEXT) | instid1(VALU_DEP_4)
	v_add_co_u32 v35, vcc_lo, s10, v35
	v_add_co_ci_u32_e32 v36, vcc_lo, s11, v36, vcc_lo
	s_delay_alu instid0(VALU_DEP_4) | instskip(SKIP_3) | instid1(VALU_DEP_1)
	v_lshlrev_b64 v[37:38], 2, v[5:6]
	global_load_b32 v48, v[35:36], off
	s_waitcnt vmcnt(0)
	v_dual_fmac_f32 v10, v31, v48 :: v_dual_add_nc_u32 v5, 5, v2
	v_lshlrev_b64 v[41:42], 2, v[5:6]
	v_dual_fmac_f32 v12, v33, v48 :: v_dual_add_nc_u32 v5, 6, v2
	v_add_co_u32 v2, vcc_lo, s8, v37
	v_add_co_ci_u32_e32 v3, vcc_lo, s9, v38, vcc_lo
	s_delay_alu instid0(VALU_DEP_3)
	v_lshlrev_b64 v[43:44], 2, v[5:6]
	v_add_co_u32 v41, vcc_lo, s10, v41
	v_add_co_ci_u32_e32 v42, vcc_lo, s11, v42, vcc_lo
	global_load_b128 v[35:38], v[2:3], off
	global_load_b32 v5, v[41:42], off
	v_add_co_u32 v2, vcc_lo, s10, v43
	v_add_co_ci_u32_e32 v3, vcc_lo, s11, v44, vcc_lo
	global_load_b128 v[39:42], v[39:40], off
	global_load_b32 v2, v[2:3], off
	v_fmac_f32_e32 v13, v16, v8
	v_fmac_f32_e32 v11, v18, v8
	v_cmp_ge_i32_e32 vcc_lo, v7, v14
	s_or_b32 s5, vcc_lo, s5
	s_waitcnt vmcnt(2)
	v_fmac_f32_e32 v12, v37, v5
	v_fmac_f32_e32 v11, v22, v45
	;; [unrolled: 1-line block ×3, first 2 shown]
	s_waitcnt vmcnt(0)
	s_delay_alu instid0(VALU_DEP_1) | instskip(NEXT) | instid1(VALU_DEP_1)
	v_dual_fmac_f32 v13, v20, v45 :: v_dual_fmac_f32 v10, v39, v2
	v_fmac_f32_e32 v13, v24, v46
	v_fmac_f32_e32 v12, v41, v2
	;; [unrolled: 1-line block ×3, first 2 shown]
	s_delay_alu instid0(VALU_DEP_3) | instskip(NEXT) | instid1(VALU_DEP_2)
	v_fmac_f32_e32 v13, v28, v47
	v_fmac_f32_e32 v11, v30, v47
	s_delay_alu instid0(VALU_DEP_2) | instskip(NEXT) | instid1(VALU_DEP_2)
	v_fmac_f32_e32 v13, v32, v48
	v_fmac_f32_e32 v11, v34, v48
	s_delay_alu instid0(VALU_DEP_2) | instskip(NEXT) | instid1(VALU_DEP_2)
	;; [unrolled: 3-line block ×3, first 2 shown]
	v_fmac_f32_e32 v13, v40, v2
	v_fmac_f32_e32 v11, v42, v2
	s_and_not1_b32 exec_lo, exec_lo, s5
	s_cbranch_execnz .LBB28_9
; %bb.10:
	s_or_b32 exec_lo, exec_lo, s5
.LBB28_11:
	s_delay_alu instid0(SALU_CYCLE_1) | instskip(NEXT) | instid1(SALU_CYCLE_1)
	s_or_b32 exec_lo, exec_lo, s4
	s_and_not1_b32 vcc_lo, exec_lo, s3
	s_cbranch_vccz .LBB28_13
	s_branch .LBB28_18
.LBB28_12:
                                        ; implicit-def: $vgpr10
                                        ; implicit-def: $vgpr11
                                        ; implicit-def: $vgpr12
                                        ; implicit-def: $vgpr13
.LBB28_13:
	v_dual_mov_b32 v10, 0 :: v_dual_mov_b32 v11, 0
	v_dual_mov_b32 v12, 0 :: v_dual_mov_b32 v13, 0
	s_delay_alu instid0(VALU_DEP_3)
	s_and_saveexec_b32 s3, s2
	s_cbranch_execz .LBB28_17
; %bb.14:
	v_mad_u64_u32 v[2:3], null, v0, 28, 27
	v_dual_mov_b32 v6, 0 :: v_dual_mov_b32 v11, 0
	v_dual_mov_b32 v10, 0 :: v_dual_mov_b32 v13, 0
	v_mov_b32_e32 v12, 0
	s_mov_b32 s2, 0
.LBB28_15:                              ; =>This Inner Loop Header: Depth=1
	v_ashrrev_i32_e32 v1, 31, v0
	v_subrev_nc_u32_e32 v5, 27, v2
	v_add_nc_u32_e32 v17, -6, v2
	v_dual_mov_b32 v20, v6 :: v_dual_add_nc_u32 v15, -13, v2
	s_delay_alu instid0(VALU_DEP_4) | instskip(NEXT) | instid1(VALU_DEP_4)
	v_lshlrev_b64 v[7:8], 2, v[0:1]
	v_lshlrev_b64 v[21:22], 2, v[5:6]
	v_mov_b32_e32 v18, v6
	v_dual_mov_b32 v3, v6 :: v_dual_add_nc_u32 v0, 32, v0
	s_delay_alu instid0(VALU_DEP_4)
	v_add_co_u32 v7, vcc_lo, s6, v7
	v_add_co_ci_u32_e32 v8, vcc_lo, s7, v8, vcc_lo
	v_add_co_u32 v21, vcc_lo, s8, v21
	v_add_co_ci_u32_e32 v22, vcc_lo, s9, v22, vcc_lo
	global_load_b32 v1, v[7:8], off
	v_subrev_nc_u32_e32 v7, 20, v2
	v_mov_b32_e32 v8, v6
	v_lshlrev_b64 v[17:18], 2, v[17:18]
	v_lshlrev_b64 v[23:24], 2, v[2:3]
	s_delay_alu instid0(VALU_DEP_3) | instskip(NEXT) | instid1(VALU_DEP_1)
	v_lshlrev_b64 v[7:8], 2, v[7:8]
	v_add_co_u32 v7, vcc_lo, s8, v7
	s_delay_alu instid0(VALU_DEP_2) | instskip(SKIP_2) | instid1(VALU_DEP_1)
	v_add_co_ci_u32_e32 v8, vcc_lo, s9, v8, vcc_lo
	s_waitcnt vmcnt(0)
	v_subrev_nc_u32_e32 v1, s18, v1
	v_mul_lo_u32 v19, v1, 7
	s_delay_alu instid0(VALU_DEP_1) | instskip(NEXT) | instid1(VALU_DEP_1)
	v_dual_mov_b32 v16, v6 :: v_dual_add_nc_u32 v5, 1, v19
	v_lshlrev_b64 v[15:16], 2, v[15:16]
	s_delay_alu instid0(VALU_DEP_1) | instskip(NEXT) | instid1(VALU_DEP_2)
	v_add_co_u32 v25, vcc_lo, s8, v15
	v_add_co_ci_u32_e32 v26, vcc_lo, s9, v16, vcc_lo
	v_add_co_u32 v27, vcc_lo, s8, v17
	v_add_co_ci_u32_e32 v28, vcc_lo, s9, v18, vcc_lo
	s_clause 0x3
	global_load_b128 v[15:18], v[21:22], off
	global_load_b32 v3, v[7:8], off
	global_load_b32 v29, v[25:26], off
	;; [unrolled: 1-line block ×3, first 2 shown]
	v_lshlrev_b64 v[7:8], 2, v[19:20]
	v_add_co_u32 v23, vcc_lo, s8, v23
	v_add_co_ci_u32_e32 v24, vcc_lo, s9, v24, vcc_lo
	v_lshlrev_b64 v[20:21], 2, v[5:6]
	s_delay_alu instid0(VALU_DEP_4)
	v_add_co_u32 v7, vcc_lo, s10, v7
	v_add_co_ci_u32_e32 v8, vcc_lo, s11, v8, vcc_lo
	v_subrev_nc_u32_e32 v5, 19, v2
	global_load_b32 v1, v[7:8], off
	v_add_co_u32 v7, vcc_lo, s10, v20
	v_add_co_ci_u32_e32 v8, vcc_lo, s11, v21, vcc_lo
	v_lshlrev_b64 v[25:26], 2, v[5:6]
	v_add_nc_u32_e32 v5, -12, v2
	global_load_b32 v28, v[7:8], off
	v_lshlrev_b64 v[20:21], 2, v[5:6]
	v_add_co_u32 v25, vcc_lo, s8, v25
	v_add_co_ci_u32_e32 v26, vcc_lo, s9, v26, vcc_lo
	v_add_nc_u32_e32 v5, -5, v2
	s_delay_alu instid0(VALU_DEP_4)
	v_add_co_u32 v20, vcc_lo, s8, v20
	v_add_co_ci_u32_e32 v21, vcc_lo, s9, v21, vcc_lo
	s_clause 0x1
	global_load_b32 v30, v[25:26], off
	global_load_b32 v31, v[20:21], off
	s_waitcnt vmcnt(3)
	v_fmac_f32_e32 v12, v29, v1
	v_lshlrev_b64 v[7:8], 2, v[5:6]
	v_dual_fmac_f32 v10, v15, v1 :: v_dual_add_nc_u32 v5, 2, v19
	v_fmac_f32_e32 v13, v3, v1
	v_fmac_f32_e32 v11, v27, v1
	s_delay_alu instid0(VALU_DEP_4)
	v_add_co_u32 v7, vcc_lo, s8, v7
	s_waitcnt vmcnt(2)
	v_fmac_f32_e32 v10, v16, v28
	v_lshlrev_b64 v[25:26], 2, v[5:6]
	v_add_co_ci_u32_e32 v8, vcc_lo, s9, v8, vcc_lo
	v_subrev_nc_u32_e32 v5, 18, v2
	global_load_b32 v32, v[7:8], off
	v_add_co_u32 v7, vcc_lo, s10, v25
	v_add_co_ci_u32_e32 v8, vcc_lo, s11, v26, vcc_lo
	v_lshlrev_b64 v[20:21], 2, v[5:6]
	s_waitcnt vmcnt(1)
	v_dual_fmac_f32 v12, v31, v28 :: v_dual_add_nc_u32 v5, -11, v2
	global_load_b32 v33, v[7:8], off
	v_add_co_u32 v20, vcc_lo, s8, v20
	v_lshlrev_b64 v[25:26], 2, v[5:6]
	v_add_co_ci_u32_e32 v21, vcc_lo, s9, v21, vcc_lo
	v_add_nc_u32_e32 v5, -4, v2
	global_load_b32 v34, v[20:21], off
	v_add_co_u32 v20, vcc_lo, s8, v25
	v_add_co_ci_u32_e32 v21, vcc_lo, s9, v26, vcc_lo
	global_load_b32 v35, v[20:21], off
	s_waitcnt vmcnt(2)
	v_fmac_f32_e32 v10, v17, v33
	v_lshlrev_b64 v[7:8], 2, v[5:6]
	s_delay_alu instid0(VALU_DEP_1) | instskip(NEXT) | instid1(VALU_DEP_2)
	v_add_co_u32 v7, vcc_lo, s8, v7
	v_add_co_ci_u32_e32 v8, vcc_lo, s9, v8, vcc_lo
	global_load_b32 v36, v[7:8], off
	s_waitcnt vmcnt(1)
	v_dual_fmac_f32 v12, v35, v33 :: v_dual_add_nc_u32 v5, 3, v19
	s_delay_alu instid0(VALU_DEP_1) | instskip(SKIP_1) | instid1(VALU_DEP_2)
	v_lshlrev_b64 v[25:26], 2, v[5:6]
	v_subrev_nc_u32_e32 v5, 17, v2
	v_add_co_u32 v7, vcc_lo, s10, v25
	s_delay_alu instid0(VALU_DEP_3) | instskip(NEXT) | instid1(VALU_DEP_3)
	v_add_co_ci_u32_e32 v8, vcc_lo, s11, v26, vcc_lo
	v_lshlrev_b64 v[20:21], 2, v[5:6]
	global_load_b32 v37, v[7:8], off
	v_add_nc_u32_e32 v5, -10, v2
	v_add_co_u32 v20, vcc_lo, s8, v20
	v_add_co_ci_u32_e32 v21, vcc_lo, s9, v21, vcc_lo
	global_load_b32 v38, v[20:21], off
	s_waitcnt vmcnt(1)
	v_fmac_f32_e32 v10, v18, v37
	v_lshlrev_b64 v[25:26], 2, v[5:6]
	s_delay_alu instid0(VALU_DEP_1) | instskip(NEXT) | instid1(VALU_DEP_2)
	v_add_co_u32 v20, vcc_lo, s8, v25
	v_add_co_ci_u32_e32 v21, vcc_lo, s9, v26, vcc_lo
	global_load_b32 v39, v[20:21], off
	v_add_nc_u32_e32 v5, -3, v2
	s_delay_alu instid0(VALU_DEP_1) | instskip(SKIP_1) | instid1(VALU_DEP_2)
	v_lshlrev_b64 v[7:8], 2, v[5:6]
	v_subrev_nc_u32_e32 v5, 23, v2
	v_add_co_u32 v7, vcc_lo, s8, v7
	s_delay_alu instid0(VALU_DEP_2) | instskip(NEXT) | instid1(VALU_DEP_4)
	v_lshlrev_b64 v[25:26], 2, v[5:6]
	v_add_co_ci_u32_e32 v8, vcc_lo, s9, v8, vcc_lo
	global_load_b32 v40, v[7:8], off
	v_add_co_u32 v7, vcc_lo, s8, v25
	v_add_co_ci_u32_e32 v8, vcc_lo, s9, v26, vcc_lo
	global_load_b32 v41, v[7:8], off
	v_add_nc_u32_e32 v5, 4, v19
	s_delay_alu instid0(VALU_DEP_1) | instskip(NEXT) | instid1(VALU_DEP_1)
	v_lshlrev_b64 v[20:21], 2, v[5:6]
	v_add_co_u32 v20, vcc_lo, s10, v20
	s_delay_alu instid0(VALU_DEP_2)
	v_add_co_ci_u32_e32 v21, vcc_lo, s11, v21, vcc_lo
	global_load_b32 v42, v[20:21], off
	s_waitcnt vmcnt(3)
	v_fmac_f32_e32 v12, v39, v37
	s_waitcnt vmcnt(0)
	v_fmac_f32_e32 v10, v41, v42
	v_add_nc_u32_e32 v5, -16, v2
	s_delay_alu instid0(VALU_DEP_1) | instskip(SKIP_1) | instid1(VALU_DEP_1)
	v_lshlrev_b64 v[25:26], 2, v[5:6]
	v_add_nc_u32_e32 v5, -9, v2
	v_lshlrev_b64 v[7:8], 2, v[5:6]
	s_delay_alu instid0(VALU_DEP_3) | instskip(NEXT) | instid1(VALU_DEP_4)
	v_add_co_u32 v20, vcc_lo, s8, v25
	v_add_co_ci_u32_e32 v21, vcc_lo, s9, v26, vcc_lo
	v_add_nc_u32_e32 v5, -2, v2
	s_delay_alu instid0(VALU_DEP_4)
	v_add_co_u32 v7, vcc_lo, s8, v7
	v_add_co_ci_u32_e32 v8, vcc_lo, s9, v8, vcc_lo
	global_load_b32 v43, v[20:21], off
	v_lshlrev_b64 v[25:26], 2, v[5:6]
	v_subrev_nc_u32_e32 v5, 22, v2
	global_load_b32 v44, v[7:8], off
	v_lshlrev_b64 v[20:21], 2, v[5:6]
	v_add_nc_u32_e32 v5, 5, v19
	v_add_co_u32 v7, vcc_lo, s8, v25
	v_add_co_ci_u32_e32 v8, vcc_lo, s9, v26, vcc_lo
	s_delay_alu instid0(VALU_DEP_4)
	v_add_co_u32 v20, vcc_lo, s8, v20
	v_add_co_ci_u32_e32 v21, vcc_lo, s9, v21, vcc_lo
	s_clause 0x1
	global_load_b32 v45, v[7:8], off
	global_load_b32 v46, v[20:21], off
	s_waitcnt vmcnt(2)
	v_fmac_f32_e32 v12, v44, v42
	v_lshlrev_b64 v[25:26], 2, v[5:6]
	v_add_nc_u32_e32 v5, -15, v2
	s_delay_alu instid0(VALU_DEP_1) | instskip(SKIP_1) | instid1(VALU_DEP_4)
	v_lshlrev_b64 v[7:8], 2, v[5:6]
	v_add_nc_u32_e32 v5, -8, v2
	v_add_co_u32 v20, vcc_lo, s10, v25
	v_add_co_ci_u32_e32 v21, vcc_lo, s11, v26, vcc_lo
	s_delay_alu instid0(VALU_DEP_3)
	v_lshlrev_b64 v[25:26], 2, v[5:6]
	v_add_nc_u32_e32 v5, -1, v2
	v_add_co_u32 v7, vcc_lo, s8, v7
	v_add_co_ci_u32_e32 v8, vcc_lo, s9, v8, vcc_lo
	global_load_b32 v47, v[20:21], off
	v_lshlrev_b64 v[20:21], 2, v[5:6]
	v_subrev_nc_u32_e32 v5, 21, v2
	global_load_b32 v48, v[7:8], off
	v_add_co_u32 v7, vcc_lo, s8, v25
	v_add_co_ci_u32_e32 v8, vcc_lo, s9, v26, vcc_lo
	v_lshlrev_b64 v[25:26], 2, v[5:6]
	v_add_nc_u32_e32 v5, 6, v19
	v_add_co_u32 v19, vcc_lo, s8, v20
	v_add_co_ci_u32_e32 v20, vcc_lo, s9, v21, vcc_lo
	s_clause 0x1
	global_load_b32 v49, v[7:8], off
	global_load_b32 v50, v[19:20], off
	v_lshlrev_b64 v[7:8], 2, v[5:6]
	v_add_nc_u32_e32 v5, -14, v2
	v_add_co_u32 v19, vcc_lo, s8, v25
	v_add_co_ci_u32_e32 v20, vcc_lo, s9, v26, vcc_lo
	s_delay_alu instid0(VALU_DEP_3) | instskip(SKIP_3) | instid1(VALU_DEP_3)
	v_lshlrev_b64 v[21:22], 2, v[5:6]
	v_add_nc_u32_e32 v5, -7, v2
	v_add_co_u32 v7, vcc_lo, s10, v7
	v_add_co_ci_u32_e32 v8, vcc_lo, s11, v8, vcc_lo
	v_lshlrev_b64 v[25:26], 2, v[5:6]
	v_add_co_u32 v21, vcc_lo, s8, v21
	v_add_co_ci_u32_e32 v22, vcc_lo, s9, v22, vcc_lo
	v_add_nc_u32_e32 v2, 0x380, v2
	s_delay_alu instid0(VALU_DEP_4)
	v_add_co_u32 v25, vcc_lo, s8, v25
	v_add_co_ci_u32_e32 v26, vcc_lo, s9, v26, vcc_lo
	global_load_b32 v5, v[19:20], off
	global_load_b32 v7, v[7:8], off
	s_clause 0x2
	global_load_b32 v8, v[21:22], off
	global_load_b32 v19, v[25:26], off
	;; [unrolled: 1-line block ×3, first 2 shown]
	v_fmac_f32_e32 v11, v32, v28
	v_cmp_ge_i32_e32 vcc_lo, v0, v14
	s_delay_alu instid0(VALU_DEP_2) | instskip(SKIP_1) | instid1(VALU_DEP_1)
	v_fmac_f32_e32 v11, v36, v33
	s_or_b32 s2, vcc_lo, s2
	v_fmac_f32_e32 v11, v40, v37
	s_waitcnt vmcnt(8)
	s_delay_alu instid0(VALU_DEP_1) | instskip(SKIP_3) | instid1(VALU_DEP_2)
	v_dual_fmac_f32 v11, v45, v42 :: v_dual_fmac_f32 v10, v46, v47
	s_waitcnt vmcnt(6)
	v_dual_fmac_f32 v13, v30, v28 :: v_dual_fmac_f32 v12, v49, v47
	s_waitcnt vmcnt(5)
	v_fmac_f32_e32 v11, v50, v47
	s_waitcnt vmcnt(3)
	s_delay_alu instid0(VALU_DEP_2)
	v_dual_fmac_f32 v10, v5, v7 :: v_dual_fmac_f32 v13, v34, v33
	s_waitcnt vmcnt(1)
	v_fmac_f32_e32 v12, v19, v7
	s_waitcnt vmcnt(0)
	v_fmac_f32_e32 v11, v20, v7
	v_fmac_f32_e32 v13, v38, v37
	s_delay_alu instid0(VALU_DEP_1) | instskip(NEXT) | instid1(VALU_DEP_1)
	v_fmac_f32_e32 v13, v43, v42
	v_fmac_f32_e32 v13, v48, v47
	s_delay_alu instid0(VALU_DEP_1)
	v_fmac_f32_e32 v13, v8, v7
	s_and_not1_b32 exec_lo, exec_lo, s2
	s_cbranch_execnz .LBB28_15
; %bb.16:
	s_or_b32 exec_lo, exec_lo, s2
.LBB28_17:
	s_delay_alu instid0(SALU_CYCLE_1)
	s_or_b32 exec_lo, exec_lo, s3
.LBB28_18:
	v_mbcnt_lo_u32_b32 v0, -1, 0
	s_mov_b32 s2, -1
	s_delay_alu instid0(VALU_DEP_1) | instskip(SKIP_1) | instid1(VALU_DEP_2)
	v_xor_b32_e32 v1, 16, v0
	v_xor_b32_e32 v6, 8, v0
	v_cmp_gt_i32_e32 vcc_lo, 32, v1
	v_cndmask_b32_e32 v1, v0, v1, vcc_lo
	s_delay_alu instid0(VALU_DEP_3) | instskip(SKIP_1) | instid1(VALU_DEP_1)
	v_cmp_gt_i32_e32 vcc_lo, 32, v6
	v_cndmask_b32_e32 v6, v0, v6, vcc_lo
	v_lshlrev_b32_e32 v6, 2, v6
	s_delay_alu instid0(VALU_DEP_4)
	v_lshlrev_b32_e32 v1, 2, v1
	ds_bpermute_b32 v2, v1, v10
	s_waitcnt lgkmcnt(0)
	v_add_f32_e32 v2, v10, v2
	ds_bpermute_b32 v3, v1, v13
	ds_bpermute_b32 v5, v1, v12
	;; [unrolled: 1-line block ×4, first 2 shown]
	s_waitcnt lgkmcnt(3)
	v_add_f32_e32 v3, v13, v3
	s_waitcnt lgkmcnt(0)
	v_dual_add_f32 v5, v12, v5 :: v_dual_add_f32 v2, v2, v7
	v_add_f32_e32 v1, v11, v1
	ds_bpermute_b32 v8, v6, v3
	ds_bpermute_b32 v10, v6, v5
	v_xor_b32_e32 v11, 4, v0
	ds_bpermute_b32 v6, v6, v1
	v_cmp_gt_i32_e32 vcc_lo, 32, v11
	s_waitcnt lgkmcnt(2)
	v_add_f32_e32 v3, v3, v8
	s_waitcnt lgkmcnt(1)
	v_add_f32_e32 v5, v5, v10
	s_waitcnt lgkmcnt(0)
	v_add_f32_e32 v1, v1, v6
	v_cndmask_b32_e32 v11, v0, v11, vcc_lo
	s_delay_alu instid0(VALU_DEP_1)
	v_lshlrev_b32_e32 v11, 2, v11
	ds_bpermute_b32 v8, v11, v5
	ds_bpermute_b32 v6, v11, v2
	;; [unrolled: 1-line block ×4, first 2 shown]
	v_xor_b32_e32 v11, 2, v0
	s_delay_alu instid0(VALU_DEP_1)
	v_cmp_gt_i32_e32 vcc_lo, 32, v11
	s_waitcnt lgkmcnt(3)
	v_add_f32_e32 v5, v5, v8
	s_waitcnt lgkmcnt(2)
	v_dual_cndmask_b32 v11, v0, v11 :: v_dual_add_f32 v2, v2, v6
	s_waitcnt lgkmcnt(0)
	v_dual_add_f32 v3, v3, v7 :: v_dual_add_f32 v6, v1, v10
	s_delay_alu instid0(VALU_DEP_2)
	v_lshlrev_b32_e32 v11, 2, v11
	ds_bpermute_b32 v1, v11, v2
	ds_bpermute_b32 v7, v11, v3
	;; [unrolled: 1-line block ×4, first 2 shown]
	v_xor_b32_e32 v11, 1, v0
	s_delay_alu instid0(VALU_DEP_1) | instskip(SKIP_3) | instid1(VALU_DEP_2)
	v_cmp_gt_i32_e32 vcc_lo, 32, v11
	v_cndmask_b32_e32 v0, v0, v11, vcc_lo
	v_cmp_eq_u32_e32 vcc_lo, 31, v9
	s_waitcnt lgkmcnt(3)
	v_dual_add_f32 v0, v2, v1 :: v_dual_lshlrev_b32 v11, 2, v0
	s_waitcnt lgkmcnt(1)
	v_dual_add_f32 v1, v3, v7 :: v_dual_add_f32 v2, v5, v8
	s_waitcnt lgkmcnt(0)
	v_add_f32_e32 v3, v6, v10
	ds_bpermute_b32 v5, v11, v0
	ds_bpermute_b32 v6, v11, v1
	;; [unrolled: 1-line block ×4, first 2 shown]
	s_and_b32 exec_lo, exec_lo, vcc_lo
	s_cbranch_execz .LBB28_23
; %bb.19:
	s_load_b64 s[0:1], s[0:1], 0x38
	s_waitcnt lgkmcnt(0)
	v_dual_add_f32 v0, v0, v5 :: v_dual_add_f32 v1, v1, v6
	v_dual_add_f32 v2, v2, v7 :: v_dual_add_f32 v3, v3, v8
	v_cmp_eq_f32_e64 s3, s12, 0
	s_delay_alu instid0(VALU_DEP_3) | instskip(NEXT) | instid1(VALU_DEP_3)
	v_dual_mul_f32 v0, s16, v0 :: v_dual_mul_f32 v1, s16, v1
	v_dual_mul_f32 v2, s16, v2 :: v_dual_mul_f32 v3, s16, v3
	v_lshlrev_b32_e32 v4, 2, v4
	s_delay_alu instid0(VALU_DEP_4)
	s_and_b32 vcc_lo, exec_lo, s3
	s_cbranch_vccz .LBB28_21
; %bb.20:
	s_delay_alu instid0(VALU_DEP_1) | instskip(SKIP_1) | instid1(VALU_DEP_1)
	v_ashrrev_i32_e32 v5, 31, v4
	s_mov_b32 s2, 0
	v_lshlrev_b64 v[5:6], 2, v[4:5]
	s_delay_alu instid0(VALU_DEP_1) | instskip(NEXT) | instid1(VALU_DEP_2)
	v_add_co_u32 v5, vcc_lo, s0, v5
	v_add_co_ci_u32_e32 v6, vcc_lo, s1, v6, vcc_lo
	global_store_b128 v[5:6], v[0:3], off
.LBB28_21:
	s_and_not1_b32 vcc_lo, exec_lo, s2
	s_cbranch_vccnz .LBB28_23
; %bb.22:
	v_ashrrev_i32_e32 v5, 31, v4
	s_delay_alu instid0(VALU_DEP_1) | instskip(NEXT) | instid1(VALU_DEP_1)
	v_lshlrev_b64 v[4:5], 2, v[4:5]
	v_add_co_u32 v8, vcc_lo, s0, v4
	s_delay_alu instid0(VALU_DEP_2)
	v_add_co_ci_u32_e32 v9, vcc_lo, s1, v5, vcc_lo
	global_load_b128 v[4:7], v[8:9], off
	s_waitcnt vmcnt(0)
	v_dual_fmac_f32 v0, s12, v4 :: v_dual_fmac_f32 v1, s12, v5
	v_dual_fmac_f32 v2, s12, v6 :: v_dual_fmac_f32 v3, s12, v7
	global_store_b128 v[8:9], v[0:3], off
.LBB28_23:
	s_nop 0
	s_sendmsg sendmsg(MSG_DEALLOC_VGPRS)
	s_endpgm
	.section	.rodata,"a",@progbits
	.p2align	6, 0x0
	.amdhsa_kernel _ZN9rocsparseL19gebsrmvn_4xn_kernelILj128ELj7ELj32EfEEvi20rocsparse_direction_NS_24const_host_device_scalarIT2_EEPKiS6_PKS3_S8_S4_PS3_21rocsparse_index_base_b
		.amdhsa_group_segment_fixed_size 0
		.amdhsa_private_segment_fixed_size 0
		.amdhsa_kernarg_size 72
		.amdhsa_user_sgpr_count 15
		.amdhsa_user_sgpr_dispatch_ptr 0
		.amdhsa_user_sgpr_queue_ptr 0
		.amdhsa_user_sgpr_kernarg_segment_ptr 1
		.amdhsa_user_sgpr_dispatch_id 0
		.amdhsa_user_sgpr_private_segment_size 0
		.amdhsa_wavefront_size32 1
		.amdhsa_uses_dynamic_stack 0
		.amdhsa_enable_private_segment 0
		.amdhsa_system_sgpr_workgroup_id_x 1
		.amdhsa_system_sgpr_workgroup_id_y 0
		.amdhsa_system_sgpr_workgroup_id_z 0
		.amdhsa_system_sgpr_workgroup_info 0
		.amdhsa_system_vgpr_workitem_id 0
		.amdhsa_next_free_vgpr 51
		.amdhsa_next_free_sgpr 20
		.amdhsa_reserve_vcc 1
		.amdhsa_float_round_mode_32 0
		.amdhsa_float_round_mode_16_64 0
		.amdhsa_float_denorm_mode_32 3
		.amdhsa_float_denorm_mode_16_64 3
		.amdhsa_dx10_clamp 1
		.amdhsa_ieee_mode 1
		.amdhsa_fp16_overflow 0
		.amdhsa_workgroup_processor_mode 1
		.amdhsa_memory_ordered 1
		.amdhsa_forward_progress 0
		.amdhsa_shared_vgpr_count 0
		.amdhsa_exception_fp_ieee_invalid_op 0
		.amdhsa_exception_fp_denorm_src 0
		.amdhsa_exception_fp_ieee_div_zero 0
		.amdhsa_exception_fp_ieee_overflow 0
		.amdhsa_exception_fp_ieee_underflow 0
		.amdhsa_exception_fp_ieee_inexact 0
		.amdhsa_exception_int_div_zero 0
	.end_amdhsa_kernel
	.section	.text._ZN9rocsparseL19gebsrmvn_4xn_kernelILj128ELj7ELj32EfEEvi20rocsparse_direction_NS_24const_host_device_scalarIT2_EEPKiS6_PKS3_S8_S4_PS3_21rocsparse_index_base_b,"axG",@progbits,_ZN9rocsparseL19gebsrmvn_4xn_kernelILj128ELj7ELj32EfEEvi20rocsparse_direction_NS_24const_host_device_scalarIT2_EEPKiS6_PKS3_S8_S4_PS3_21rocsparse_index_base_b,comdat
.Lfunc_end28:
	.size	_ZN9rocsparseL19gebsrmvn_4xn_kernelILj128ELj7ELj32EfEEvi20rocsparse_direction_NS_24const_host_device_scalarIT2_EEPKiS6_PKS3_S8_S4_PS3_21rocsparse_index_base_b, .Lfunc_end28-_ZN9rocsparseL19gebsrmvn_4xn_kernelILj128ELj7ELj32EfEEvi20rocsparse_direction_NS_24const_host_device_scalarIT2_EEPKiS6_PKS3_S8_S4_PS3_21rocsparse_index_base_b
                                        ; -- End function
	.section	.AMDGPU.csdata,"",@progbits
; Kernel info:
; codeLenInByte = 3200
; NumSgprs: 22
; NumVgprs: 51
; ScratchSize: 0
; MemoryBound: 0
; FloatMode: 240
; IeeeMode: 1
; LDSByteSize: 0 bytes/workgroup (compile time only)
; SGPRBlocks: 2
; VGPRBlocks: 6
; NumSGPRsForWavesPerEU: 22
; NumVGPRsForWavesPerEU: 51
; Occupancy: 16
; WaveLimiterHint : 1
; COMPUTE_PGM_RSRC2:SCRATCH_EN: 0
; COMPUTE_PGM_RSRC2:USER_SGPR: 15
; COMPUTE_PGM_RSRC2:TRAP_HANDLER: 0
; COMPUTE_PGM_RSRC2:TGID_X_EN: 1
; COMPUTE_PGM_RSRC2:TGID_Y_EN: 0
; COMPUTE_PGM_RSRC2:TGID_Z_EN: 0
; COMPUTE_PGM_RSRC2:TIDIG_COMP_CNT: 0
	.section	.text._ZN9rocsparseL19gebsrmvn_4xn_kernelILj128ELj7ELj64EfEEvi20rocsparse_direction_NS_24const_host_device_scalarIT2_EEPKiS6_PKS3_S8_S4_PS3_21rocsparse_index_base_b,"axG",@progbits,_ZN9rocsparseL19gebsrmvn_4xn_kernelILj128ELj7ELj64EfEEvi20rocsparse_direction_NS_24const_host_device_scalarIT2_EEPKiS6_PKS3_S8_S4_PS3_21rocsparse_index_base_b,comdat
	.globl	_ZN9rocsparseL19gebsrmvn_4xn_kernelILj128ELj7ELj64EfEEvi20rocsparse_direction_NS_24const_host_device_scalarIT2_EEPKiS6_PKS3_S8_S4_PS3_21rocsparse_index_base_b ; -- Begin function _ZN9rocsparseL19gebsrmvn_4xn_kernelILj128ELj7ELj64EfEEvi20rocsparse_direction_NS_24const_host_device_scalarIT2_EEPKiS6_PKS3_S8_S4_PS3_21rocsparse_index_base_b
	.p2align	8
	.type	_ZN9rocsparseL19gebsrmvn_4xn_kernelILj128ELj7ELj64EfEEvi20rocsparse_direction_NS_24const_host_device_scalarIT2_EEPKiS6_PKS3_S8_S4_PS3_21rocsparse_index_base_b,@function
_ZN9rocsparseL19gebsrmvn_4xn_kernelILj128ELj7ELj64EfEEvi20rocsparse_direction_NS_24const_host_device_scalarIT2_EEPKiS6_PKS3_S8_S4_PS3_21rocsparse_index_base_b: ; @_ZN9rocsparseL19gebsrmvn_4xn_kernelILj128ELj7ELj64EfEEvi20rocsparse_direction_NS_24const_host_device_scalarIT2_EEPKiS6_PKS3_S8_S4_PS3_21rocsparse_index_base_b
; %bb.0:
	s_clause 0x2
	s_load_b64 s[18:19], s[0:1], 0x40
	s_load_b64 s[16:17], s[0:1], 0x8
	;; [unrolled: 1-line block ×3, first 2 shown]
	s_waitcnt lgkmcnt(0)
	s_bitcmp1_b32 s19, 0
	s_cselect_b32 s2, -1, 0
	s_delay_alu instid0(SALU_CYCLE_1)
	s_and_b32 vcc_lo, exec_lo, s2
	s_xor_b32 s2, s2, -1
	s_cbranch_vccnz .LBB29_2
; %bb.1:
	s_load_b32 s16, s[16:17], 0x0
.LBB29_2:
	s_and_not1_b32 vcc_lo, exec_lo, s2
	s_cbranch_vccnz .LBB29_4
; %bb.3:
	s_load_b32 s12, s[12:13], 0x0
.LBB29_4:
	s_waitcnt lgkmcnt(0)
	v_cmp_eq_f32_e64 s2, s16, 0
	v_cmp_eq_f32_e64 s3, s12, 1.0
	s_delay_alu instid0(VALU_DEP_1) | instskip(NEXT) | instid1(SALU_CYCLE_1)
	s_and_b32 s2, s2, s3
	s_and_b32 vcc_lo, exec_lo, s2
	s_cbranch_vccnz .LBB29_23
; %bb.5:
	s_load_b64 s[2:3], s[0:1], 0x0
	v_lshrrev_b32_e32 v1, 6, v0
	s_delay_alu instid0(VALU_DEP_1) | instskip(SKIP_1) | instid1(VALU_DEP_1)
	v_lshl_or_b32 v4, s15, 1, v1
	s_waitcnt lgkmcnt(0)
	v_cmp_gt_i32_e32 vcc_lo, s2, v4
	s_and_saveexec_b32 s2, vcc_lo
	s_cbranch_execz .LBB29_23
; %bb.6:
	s_load_b256 s[4:11], s[0:1], 0x10
	v_ashrrev_i32_e32 v5, 31, v4
	v_and_b32_e32 v9, 63, v0
	s_cmp_lg_u32 s3, 0
	s_delay_alu instid0(VALU_DEP_2) | instskip(SKIP_1) | instid1(VALU_DEP_1)
	v_lshlrev_b64 v[1:2], 2, v[4:5]
	s_waitcnt lgkmcnt(0)
	v_add_co_u32 v1, vcc_lo, s4, v1
	s_delay_alu instid0(VALU_DEP_2) | instskip(SKIP_4) | instid1(VALU_DEP_2)
	v_add_co_ci_u32_e32 v2, vcc_lo, s5, v2, vcc_lo
	global_load_b64 v[1:2], v[1:2], off
	s_waitcnt vmcnt(0)
	v_subrev_nc_u32_e32 v0, s18, v1
	v_subrev_nc_u32_e32 v14, s18, v2
	v_add_nc_u32_e32 v0, v0, v9
	s_delay_alu instid0(VALU_DEP_1)
	v_cmp_lt_i32_e64 s2, v0, v14
	s_cbranch_scc0 .LBB29_12
; %bb.7:
	v_dual_mov_b32 v10, 0 :: v_dual_mov_b32 v11, 0
	v_dual_mov_b32 v12, 0 :: v_dual_mov_b32 v13, 0
	s_mov_b32 s3, 0
	s_and_saveexec_b32 s4, s2
	s_cbranch_execz .LBB29_11
; %bb.8:
	v_mad_u64_u32 v[1:2], null, v0, 28, 24
	v_dual_mov_b32 v6, 0 :: v_dual_mov_b32 v7, v0
	v_dual_mov_b32 v10, 0 :: v_dual_mov_b32 v11, 0
	v_dual_mov_b32 v12, 0 :: v_dual_mov_b32 v13, 0
	s_mov_b32 s5, 0
.LBB29_9:                               ; =>This Inner Loop Header: Depth=1
	s_delay_alu instid0(VALU_DEP_3) | instskip(SKIP_1) | instid1(VALU_DEP_2)
	v_ashrrev_i32_e32 v8, 31, v7
	v_subrev_nc_u32_e32 v5, 24, v1
	v_lshlrev_b64 v[2:3], 2, v[7:8]
	s_delay_alu instid0(VALU_DEP_2) | instskip(SKIP_2) | instid1(VALU_DEP_4)
	v_lshlrev_b64 v[15:16], 2, v[5:6]
	v_subrev_nc_u32_e32 v5, 20, v1
	v_add_nc_u32_e32 v7, 64, v7
	v_add_co_u32 v2, vcc_lo, s6, v2
	v_add_co_ci_u32_e32 v3, vcc_lo, s7, v3, vcc_lo
	s_delay_alu instid0(VALU_DEP_4) | instskip(SKIP_4) | instid1(VALU_DEP_2)
	v_lshlrev_b64 v[19:20], 2, v[5:6]
	v_add_co_u32 v15, vcc_lo, s8, v15
	global_load_b32 v8, v[2:3], off
	v_mov_b32_e32 v2, v6
	v_add_co_ci_u32_e32 v16, vcc_lo, s9, v16, vcc_lo
	v_lshlrev_b64 v[17:18], 2, v[1:2]
	s_delay_alu instid0(VALU_DEP_1) | instskip(NEXT) | instid1(VALU_DEP_2)
	v_add_co_u32 v39, vcc_lo, s8, v17
	v_add_co_ci_u32_e32 v40, vcc_lo, s9, v18, vcc_lo
	v_add_co_u32 v19, vcc_lo, s8, v19
	v_add_co_ci_u32_e32 v20, vcc_lo, s9, v20, vcc_lo
	s_clause 0x1
	global_load_b128 v[15:18], v[15:16], off
	global_load_b128 v[19:22], v[19:20], off
	v_mov_b32_e32 v3, v6
	s_waitcnt vmcnt(2)
	v_subrev_nc_u32_e32 v2, s18, v8
	s_delay_alu instid0(VALU_DEP_1) | instskip(NEXT) | instid1(VALU_DEP_1)
	v_mul_lo_u32 v2, v2, 7
	v_lshlrev_b64 v[23:24], 2, v[2:3]
	s_delay_alu instid0(VALU_DEP_1) | instskip(NEXT) | instid1(VALU_DEP_2)
	v_add_co_u32 v23, vcc_lo, s10, v23
	v_add_co_ci_u32_e32 v24, vcc_lo, s11, v24, vcc_lo
	global_load_b32 v8, v[23:24], off
	v_add_nc_u32_e32 v5, 1, v2
	s_delay_alu instid0(VALU_DEP_1) | instskip(SKIP_1) | instid1(VALU_DEP_1)
	v_lshlrev_b64 v[25:26], 2, v[5:6]
	v_add_nc_u32_e32 v5, -16, v1
	v_lshlrev_b64 v[27:28], 2, v[5:6]
	s_delay_alu instid0(VALU_DEP_3) | instskip(NEXT) | instid1(VALU_DEP_4)
	v_add_co_u32 v25, vcc_lo, s10, v25
	v_add_co_ci_u32_e32 v26, vcc_lo, s11, v26, vcc_lo
	global_load_b32 v45, v[25:26], off
	v_add_co_u32 v25, vcc_lo, s8, v27
	v_add_co_ci_u32_e32 v26, vcc_lo, s9, v28, vcc_lo
	s_waitcnt vmcnt(1)
	v_fmac_f32_e32 v12, v17, v8
	v_dual_fmac_f32 v10, v15, v8 :: v_dual_add_nc_u32 v5, 2, v2
	s_waitcnt vmcnt(0)
	s_delay_alu instid0(VALU_DEP_1) | instskip(NEXT) | instid1(VALU_DEP_2)
	v_fmac_f32_e32 v10, v19, v45
	v_lshlrev_b64 v[23:24], 2, v[5:6]
	v_fmac_f32_e32 v12, v21, v45
	s_delay_alu instid0(VALU_DEP_2) | instskip(NEXT) | instid1(VALU_DEP_3)
	v_add_co_u32 v29, vcc_lo, s10, v23
	v_add_co_ci_u32_e32 v30, vcc_lo, s11, v24, vcc_lo
	global_load_b128 v[23:26], v[25:26], off
	global_load_b32 v46, v[29:30], off
	v_add_nc_u32_e32 v5, -12, v1
	s_delay_alu instid0(VALU_DEP_1) | instskip(SKIP_1) | instid1(VALU_DEP_1)
	v_lshlrev_b64 v[27:28], 2, v[5:6]
	v_add_nc_u32_e32 v5, 3, v2
	v_lshlrev_b64 v[31:32], 2, v[5:6]
	s_delay_alu instid0(VALU_DEP_3) | instskip(NEXT) | instid1(VALU_DEP_4)
	v_add_co_u32 v27, vcc_lo, s8, v27
	v_add_co_ci_u32_e32 v28, vcc_lo, s9, v28, vcc_lo
	s_delay_alu instid0(VALU_DEP_3) | instskip(NEXT) | instid1(VALU_DEP_4)
	v_add_co_u32 v31, vcc_lo, s10, v31
	v_add_co_ci_u32_e32 v32, vcc_lo, s11, v32, vcc_lo
	global_load_b32 v47, v[31:32], off
	global_load_b128 v[27:30], v[27:28], off
	s_waitcnt vmcnt(2)
	v_dual_fmac_f32 v12, v25, v46 :: v_dual_add_nc_u32 v5, -8, v1
	s_delay_alu instid0(VALU_DEP_1) | instskip(SKIP_2) | instid1(VALU_DEP_3)
	v_lshlrev_b64 v[33:34], 2, v[5:6]
	v_fmac_f32_e32 v10, v23, v46
	v_add_nc_u32_e32 v5, 4, v2
	v_add_co_u32 v31, vcc_lo, s8, v33
	s_delay_alu instid0(VALU_DEP_4)
	v_add_co_ci_u32_e32 v32, vcc_lo, s9, v34, vcc_lo
	global_load_b128 v[31:34], v[31:32], off
	s_waitcnt vmcnt(1)
	v_fmac_f32_e32 v10, v27, v47
	v_lshlrev_b64 v[35:36], 2, v[5:6]
	v_dual_fmac_f32 v12, v29, v47 :: v_dual_add_nc_u32 v5, -4, v1
	v_add_nc_u32_e32 v1, 0x700, v1
	s_delay_alu instid0(VALU_DEP_3) | instskip(NEXT) | instid1(VALU_DEP_4)
	v_add_co_u32 v35, vcc_lo, s10, v35
	v_add_co_ci_u32_e32 v36, vcc_lo, s11, v36, vcc_lo
	s_delay_alu instid0(VALU_DEP_4) | instskip(SKIP_3) | instid1(VALU_DEP_1)
	v_lshlrev_b64 v[37:38], 2, v[5:6]
	global_load_b32 v48, v[35:36], off
	s_waitcnt vmcnt(0)
	v_dual_fmac_f32 v10, v31, v48 :: v_dual_add_nc_u32 v5, 5, v2
	v_lshlrev_b64 v[41:42], 2, v[5:6]
	v_dual_fmac_f32 v12, v33, v48 :: v_dual_add_nc_u32 v5, 6, v2
	v_add_co_u32 v2, vcc_lo, s8, v37
	v_add_co_ci_u32_e32 v3, vcc_lo, s9, v38, vcc_lo
	s_delay_alu instid0(VALU_DEP_3)
	v_lshlrev_b64 v[43:44], 2, v[5:6]
	v_add_co_u32 v41, vcc_lo, s10, v41
	v_add_co_ci_u32_e32 v42, vcc_lo, s11, v42, vcc_lo
	global_load_b128 v[35:38], v[2:3], off
	global_load_b32 v5, v[41:42], off
	v_add_co_u32 v2, vcc_lo, s10, v43
	v_add_co_ci_u32_e32 v3, vcc_lo, s11, v44, vcc_lo
	global_load_b128 v[39:42], v[39:40], off
	global_load_b32 v2, v[2:3], off
	v_fmac_f32_e32 v13, v16, v8
	v_fmac_f32_e32 v11, v18, v8
	v_cmp_ge_i32_e32 vcc_lo, v7, v14
	s_or_b32 s5, vcc_lo, s5
	s_waitcnt vmcnt(2)
	v_fmac_f32_e32 v12, v37, v5
	v_fmac_f32_e32 v11, v22, v45
	;; [unrolled: 1-line block ×3, first 2 shown]
	s_waitcnt vmcnt(0)
	s_delay_alu instid0(VALU_DEP_1) | instskip(NEXT) | instid1(VALU_DEP_1)
	v_dual_fmac_f32 v13, v20, v45 :: v_dual_fmac_f32 v10, v39, v2
	v_fmac_f32_e32 v13, v24, v46
	v_fmac_f32_e32 v12, v41, v2
	;; [unrolled: 1-line block ×3, first 2 shown]
	s_delay_alu instid0(VALU_DEP_3) | instskip(NEXT) | instid1(VALU_DEP_2)
	v_fmac_f32_e32 v13, v28, v47
	v_fmac_f32_e32 v11, v30, v47
	s_delay_alu instid0(VALU_DEP_2) | instskip(NEXT) | instid1(VALU_DEP_2)
	v_fmac_f32_e32 v13, v32, v48
	v_fmac_f32_e32 v11, v34, v48
	s_delay_alu instid0(VALU_DEP_2) | instskip(NEXT) | instid1(VALU_DEP_2)
	v_fmac_f32_e32 v13, v36, v5
	v_fmac_f32_e32 v11, v38, v5
	s_delay_alu instid0(VALU_DEP_2) | instskip(NEXT) | instid1(VALU_DEP_2)
	v_fmac_f32_e32 v13, v40, v2
	v_fmac_f32_e32 v11, v42, v2
	s_and_not1_b32 exec_lo, exec_lo, s5
	s_cbranch_execnz .LBB29_9
; %bb.10:
	s_or_b32 exec_lo, exec_lo, s5
.LBB29_11:
	s_delay_alu instid0(SALU_CYCLE_1) | instskip(NEXT) | instid1(SALU_CYCLE_1)
	s_or_b32 exec_lo, exec_lo, s4
	s_and_not1_b32 vcc_lo, exec_lo, s3
	s_cbranch_vccz .LBB29_13
	s_branch .LBB29_18
.LBB29_12:
                                        ; implicit-def: $vgpr10
                                        ; implicit-def: $vgpr11
                                        ; implicit-def: $vgpr12
                                        ; implicit-def: $vgpr13
.LBB29_13:
	v_dual_mov_b32 v10, 0 :: v_dual_mov_b32 v11, 0
	v_dual_mov_b32 v12, 0 :: v_dual_mov_b32 v13, 0
	s_delay_alu instid0(VALU_DEP_3)
	s_and_saveexec_b32 s3, s2
	s_cbranch_execz .LBB29_17
; %bb.14:
	v_mad_u64_u32 v[2:3], null, v0, 28, 27
	v_dual_mov_b32 v6, 0 :: v_dual_mov_b32 v11, 0
	v_dual_mov_b32 v10, 0 :: v_dual_mov_b32 v13, 0
	v_mov_b32_e32 v12, 0
	s_mov_b32 s2, 0
.LBB29_15:                              ; =>This Inner Loop Header: Depth=1
	v_ashrrev_i32_e32 v1, 31, v0
	v_subrev_nc_u32_e32 v5, 27, v2
	v_add_nc_u32_e32 v17, -6, v2
	v_dual_mov_b32 v20, v6 :: v_dual_add_nc_u32 v15, -13, v2
	s_delay_alu instid0(VALU_DEP_4) | instskip(NEXT) | instid1(VALU_DEP_4)
	v_lshlrev_b64 v[7:8], 2, v[0:1]
	v_lshlrev_b64 v[21:22], 2, v[5:6]
	v_mov_b32_e32 v18, v6
	v_dual_mov_b32 v3, v6 :: v_dual_add_nc_u32 v0, 64, v0
	s_delay_alu instid0(VALU_DEP_4)
	v_add_co_u32 v7, vcc_lo, s6, v7
	v_add_co_ci_u32_e32 v8, vcc_lo, s7, v8, vcc_lo
	v_add_co_u32 v21, vcc_lo, s8, v21
	v_add_co_ci_u32_e32 v22, vcc_lo, s9, v22, vcc_lo
	global_load_b32 v1, v[7:8], off
	v_subrev_nc_u32_e32 v7, 20, v2
	v_mov_b32_e32 v8, v6
	v_lshlrev_b64 v[17:18], 2, v[17:18]
	v_lshlrev_b64 v[23:24], 2, v[2:3]
	s_delay_alu instid0(VALU_DEP_3) | instskip(NEXT) | instid1(VALU_DEP_1)
	v_lshlrev_b64 v[7:8], 2, v[7:8]
	v_add_co_u32 v7, vcc_lo, s8, v7
	s_delay_alu instid0(VALU_DEP_2) | instskip(SKIP_2) | instid1(VALU_DEP_1)
	v_add_co_ci_u32_e32 v8, vcc_lo, s9, v8, vcc_lo
	s_waitcnt vmcnt(0)
	v_subrev_nc_u32_e32 v1, s18, v1
	v_mul_lo_u32 v19, v1, 7
	s_delay_alu instid0(VALU_DEP_1) | instskip(NEXT) | instid1(VALU_DEP_1)
	v_dual_mov_b32 v16, v6 :: v_dual_add_nc_u32 v5, 1, v19
	v_lshlrev_b64 v[15:16], 2, v[15:16]
	s_delay_alu instid0(VALU_DEP_1) | instskip(NEXT) | instid1(VALU_DEP_2)
	v_add_co_u32 v25, vcc_lo, s8, v15
	v_add_co_ci_u32_e32 v26, vcc_lo, s9, v16, vcc_lo
	v_add_co_u32 v27, vcc_lo, s8, v17
	v_add_co_ci_u32_e32 v28, vcc_lo, s9, v18, vcc_lo
	s_clause 0x3
	global_load_b128 v[15:18], v[21:22], off
	global_load_b32 v3, v[7:8], off
	global_load_b32 v29, v[25:26], off
	;; [unrolled: 1-line block ×3, first 2 shown]
	v_lshlrev_b64 v[7:8], 2, v[19:20]
	v_add_co_u32 v23, vcc_lo, s8, v23
	v_add_co_ci_u32_e32 v24, vcc_lo, s9, v24, vcc_lo
	v_lshlrev_b64 v[20:21], 2, v[5:6]
	s_delay_alu instid0(VALU_DEP_4)
	v_add_co_u32 v7, vcc_lo, s10, v7
	v_add_co_ci_u32_e32 v8, vcc_lo, s11, v8, vcc_lo
	v_subrev_nc_u32_e32 v5, 19, v2
	global_load_b32 v1, v[7:8], off
	v_add_co_u32 v7, vcc_lo, s10, v20
	v_add_co_ci_u32_e32 v8, vcc_lo, s11, v21, vcc_lo
	v_lshlrev_b64 v[25:26], 2, v[5:6]
	v_add_nc_u32_e32 v5, -12, v2
	global_load_b32 v28, v[7:8], off
	v_lshlrev_b64 v[20:21], 2, v[5:6]
	v_add_co_u32 v25, vcc_lo, s8, v25
	v_add_co_ci_u32_e32 v26, vcc_lo, s9, v26, vcc_lo
	v_add_nc_u32_e32 v5, -5, v2
	s_delay_alu instid0(VALU_DEP_4)
	v_add_co_u32 v20, vcc_lo, s8, v20
	v_add_co_ci_u32_e32 v21, vcc_lo, s9, v21, vcc_lo
	s_clause 0x1
	global_load_b32 v30, v[25:26], off
	global_load_b32 v31, v[20:21], off
	s_waitcnt vmcnt(3)
	v_fmac_f32_e32 v12, v29, v1
	v_lshlrev_b64 v[7:8], 2, v[5:6]
	v_dual_fmac_f32 v10, v15, v1 :: v_dual_add_nc_u32 v5, 2, v19
	v_fmac_f32_e32 v13, v3, v1
	v_fmac_f32_e32 v11, v27, v1
	s_delay_alu instid0(VALU_DEP_4)
	v_add_co_u32 v7, vcc_lo, s8, v7
	s_waitcnt vmcnt(2)
	v_fmac_f32_e32 v10, v16, v28
	v_lshlrev_b64 v[25:26], 2, v[5:6]
	v_add_co_ci_u32_e32 v8, vcc_lo, s9, v8, vcc_lo
	v_subrev_nc_u32_e32 v5, 18, v2
	global_load_b32 v32, v[7:8], off
	v_add_co_u32 v7, vcc_lo, s10, v25
	v_add_co_ci_u32_e32 v8, vcc_lo, s11, v26, vcc_lo
	v_lshlrev_b64 v[20:21], 2, v[5:6]
	s_waitcnt vmcnt(1)
	v_dual_fmac_f32 v12, v31, v28 :: v_dual_add_nc_u32 v5, -11, v2
	global_load_b32 v33, v[7:8], off
	v_add_co_u32 v20, vcc_lo, s8, v20
	v_lshlrev_b64 v[25:26], 2, v[5:6]
	v_add_co_ci_u32_e32 v21, vcc_lo, s9, v21, vcc_lo
	v_add_nc_u32_e32 v5, -4, v2
	global_load_b32 v34, v[20:21], off
	v_add_co_u32 v20, vcc_lo, s8, v25
	v_add_co_ci_u32_e32 v21, vcc_lo, s9, v26, vcc_lo
	global_load_b32 v35, v[20:21], off
	s_waitcnt vmcnt(2)
	v_fmac_f32_e32 v10, v17, v33
	v_lshlrev_b64 v[7:8], 2, v[5:6]
	s_delay_alu instid0(VALU_DEP_1) | instskip(NEXT) | instid1(VALU_DEP_2)
	v_add_co_u32 v7, vcc_lo, s8, v7
	v_add_co_ci_u32_e32 v8, vcc_lo, s9, v8, vcc_lo
	global_load_b32 v36, v[7:8], off
	s_waitcnt vmcnt(1)
	v_dual_fmac_f32 v12, v35, v33 :: v_dual_add_nc_u32 v5, 3, v19
	s_delay_alu instid0(VALU_DEP_1) | instskip(SKIP_1) | instid1(VALU_DEP_2)
	v_lshlrev_b64 v[25:26], 2, v[5:6]
	v_subrev_nc_u32_e32 v5, 17, v2
	v_add_co_u32 v7, vcc_lo, s10, v25
	s_delay_alu instid0(VALU_DEP_3) | instskip(NEXT) | instid1(VALU_DEP_3)
	v_add_co_ci_u32_e32 v8, vcc_lo, s11, v26, vcc_lo
	v_lshlrev_b64 v[20:21], 2, v[5:6]
	global_load_b32 v37, v[7:8], off
	v_add_nc_u32_e32 v5, -10, v2
	v_add_co_u32 v20, vcc_lo, s8, v20
	v_add_co_ci_u32_e32 v21, vcc_lo, s9, v21, vcc_lo
	global_load_b32 v38, v[20:21], off
	s_waitcnt vmcnt(1)
	v_fmac_f32_e32 v10, v18, v37
	v_lshlrev_b64 v[25:26], 2, v[5:6]
	s_delay_alu instid0(VALU_DEP_1) | instskip(NEXT) | instid1(VALU_DEP_2)
	v_add_co_u32 v20, vcc_lo, s8, v25
	v_add_co_ci_u32_e32 v21, vcc_lo, s9, v26, vcc_lo
	global_load_b32 v39, v[20:21], off
	v_add_nc_u32_e32 v5, -3, v2
	s_delay_alu instid0(VALU_DEP_1) | instskip(SKIP_1) | instid1(VALU_DEP_2)
	v_lshlrev_b64 v[7:8], 2, v[5:6]
	v_subrev_nc_u32_e32 v5, 23, v2
	v_add_co_u32 v7, vcc_lo, s8, v7
	s_delay_alu instid0(VALU_DEP_2) | instskip(NEXT) | instid1(VALU_DEP_4)
	v_lshlrev_b64 v[25:26], 2, v[5:6]
	v_add_co_ci_u32_e32 v8, vcc_lo, s9, v8, vcc_lo
	global_load_b32 v40, v[7:8], off
	v_add_co_u32 v7, vcc_lo, s8, v25
	v_add_co_ci_u32_e32 v8, vcc_lo, s9, v26, vcc_lo
	global_load_b32 v41, v[7:8], off
	v_add_nc_u32_e32 v5, 4, v19
	s_delay_alu instid0(VALU_DEP_1) | instskip(NEXT) | instid1(VALU_DEP_1)
	v_lshlrev_b64 v[20:21], 2, v[5:6]
	v_add_co_u32 v20, vcc_lo, s10, v20
	s_delay_alu instid0(VALU_DEP_2)
	v_add_co_ci_u32_e32 v21, vcc_lo, s11, v21, vcc_lo
	global_load_b32 v42, v[20:21], off
	s_waitcnt vmcnt(3)
	v_fmac_f32_e32 v12, v39, v37
	s_waitcnt vmcnt(0)
	v_fmac_f32_e32 v10, v41, v42
	v_add_nc_u32_e32 v5, -16, v2
	s_delay_alu instid0(VALU_DEP_1) | instskip(SKIP_1) | instid1(VALU_DEP_1)
	v_lshlrev_b64 v[25:26], 2, v[5:6]
	v_add_nc_u32_e32 v5, -9, v2
	v_lshlrev_b64 v[7:8], 2, v[5:6]
	s_delay_alu instid0(VALU_DEP_3) | instskip(NEXT) | instid1(VALU_DEP_4)
	v_add_co_u32 v20, vcc_lo, s8, v25
	v_add_co_ci_u32_e32 v21, vcc_lo, s9, v26, vcc_lo
	v_add_nc_u32_e32 v5, -2, v2
	s_delay_alu instid0(VALU_DEP_4)
	v_add_co_u32 v7, vcc_lo, s8, v7
	v_add_co_ci_u32_e32 v8, vcc_lo, s9, v8, vcc_lo
	global_load_b32 v43, v[20:21], off
	v_lshlrev_b64 v[25:26], 2, v[5:6]
	v_subrev_nc_u32_e32 v5, 22, v2
	global_load_b32 v44, v[7:8], off
	v_lshlrev_b64 v[20:21], 2, v[5:6]
	v_add_nc_u32_e32 v5, 5, v19
	v_add_co_u32 v7, vcc_lo, s8, v25
	v_add_co_ci_u32_e32 v8, vcc_lo, s9, v26, vcc_lo
	s_delay_alu instid0(VALU_DEP_4)
	v_add_co_u32 v20, vcc_lo, s8, v20
	v_add_co_ci_u32_e32 v21, vcc_lo, s9, v21, vcc_lo
	s_clause 0x1
	global_load_b32 v45, v[7:8], off
	global_load_b32 v46, v[20:21], off
	s_waitcnt vmcnt(2)
	v_fmac_f32_e32 v12, v44, v42
	v_lshlrev_b64 v[25:26], 2, v[5:6]
	v_add_nc_u32_e32 v5, -15, v2
	s_delay_alu instid0(VALU_DEP_1) | instskip(SKIP_1) | instid1(VALU_DEP_4)
	v_lshlrev_b64 v[7:8], 2, v[5:6]
	v_add_nc_u32_e32 v5, -8, v2
	v_add_co_u32 v20, vcc_lo, s10, v25
	v_add_co_ci_u32_e32 v21, vcc_lo, s11, v26, vcc_lo
	s_delay_alu instid0(VALU_DEP_3)
	v_lshlrev_b64 v[25:26], 2, v[5:6]
	v_add_nc_u32_e32 v5, -1, v2
	v_add_co_u32 v7, vcc_lo, s8, v7
	v_add_co_ci_u32_e32 v8, vcc_lo, s9, v8, vcc_lo
	global_load_b32 v47, v[20:21], off
	v_lshlrev_b64 v[20:21], 2, v[5:6]
	v_subrev_nc_u32_e32 v5, 21, v2
	global_load_b32 v48, v[7:8], off
	v_add_co_u32 v7, vcc_lo, s8, v25
	v_add_co_ci_u32_e32 v8, vcc_lo, s9, v26, vcc_lo
	v_lshlrev_b64 v[25:26], 2, v[5:6]
	v_add_nc_u32_e32 v5, 6, v19
	v_add_co_u32 v19, vcc_lo, s8, v20
	v_add_co_ci_u32_e32 v20, vcc_lo, s9, v21, vcc_lo
	s_clause 0x1
	global_load_b32 v49, v[7:8], off
	global_load_b32 v50, v[19:20], off
	v_lshlrev_b64 v[7:8], 2, v[5:6]
	v_add_nc_u32_e32 v5, -14, v2
	v_add_co_u32 v19, vcc_lo, s8, v25
	v_add_co_ci_u32_e32 v20, vcc_lo, s9, v26, vcc_lo
	s_delay_alu instid0(VALU_DEP_3) | instskip(SKIP_3) | instid1(VALU_DEP_3)
	v_lshlrev_b64 v[21:22], 2, v[5:6]
	v_add_nc_u32_e32 v5, -7, v2
	v_add_co_u32 v7, vcc_lo, s10, v7
	v_add_co_ci_u32_e32 v8, vcc_lo, s11, v8, vcc_lo
	v_lshlrev_b64 v[25:26], 2, v[5:6]
	v_add_co_u32 v21, vcc_lo, s8, v21
	v_add_co_ci_u32_e32 v22, vcc_lo, s9, v22, vcc_lo
	v_add_nc_u32_e32 v2, 0x700, v2
	s_delay_alu instid0(VALU_DEP_4)
	v_add_co_u32 v25, vcc_lo, s8, v25
	v_add_co_ci_u32_e32 v26, vcc_lo, s9, v26, vcc_lo
	global_load_b32 v5, v[19:20], off
	global_load_b32 v7, v[7:8], off
	s_clause 0x2
	global_load_b32 v8, v[21:22], off
	global_load_b32 v19, v[25:26], off
	;; [unrolled: 1-line block ×3, first 2 shown]
	v_fmac_f32_e32 v11, v32, v28
	v_cmp_ge_i32_e32 vcc_lo, v0, v14
	s_delay_alu instid0(VALU_DEP_2) | instskip(SKIP_1) | instid1(VALU_DEP_1)
	v_fmac_f32_e32 v11, v36, v33
	s_or_b32 s2, vcc_lo, s2
	v_fmac_f32_e32 v11, v40, v37
	s_waitcnt vmcnt(8)
	s_delay_alu instid0(VALU_DEP_1) | instskip(SKIP_3) | instid1(VALU_DEP_2)
	v_dual_fmac_f32 v11, v45, v42 :: v_dual_fmac_f32 v10, v46, v47
	s_waitcnt vmcnt(6)
	v_dual_fmac_f32 v13, v30, v28 :: v_dual_fmac_f32 v12, v49, v47
	s_waitcnt vmcnt(5)
	v_fmac_f32_e32 v11, v50, v47
	s_waitcnt vmcnt(3)
	s_delay_alu instid0(VALU_DEP_2)
	v_dual_fmac_f32 v10, v5, v7 :: v_dual_fmac_f32 v13, v34, v33
	s_waitcnt vmcnt(1)
	v_fmac_f32_e32 v12, v19, v7
	s_waitcnt vmcnt(0)
	v_fmac_f32_e32 v11, v20, v7
	v_fmac_f32_e32 v13, v38, v37
	s_delay_alu instid0(VALU_DEP_1) | instskip(NEXT) | instid1(VALU_DEP_1)
	v_fmac_f32_e32 v13, v43, v42
	v_fmac_f32_e32 v13, v48, v47
	s_delay_alu instid0(VALU_DEP_1)
	v_fmac_f32_e32 v13, v8, v7
	s_and_not1_b32 exec_lo, exec_lo, s2
	s_cbranch_execnz .LBB29_15
; %bb.16:
	s_or_b32 exec_lo, exec_lo, s2
.LBB29_17:
	s_delay_alu instid0(SALU_CYCLE_1)
	s_or_b32 exec_lo, exec_lo, s3
.LBB29_18:
	v_mbcnt_lo_u32_b32 v0, -1, 0
	s_mov_b32 s2, -1
	s_delay_alu instid0(VALU_DEP_1) | instskip(SKIP_1) | instid1(VALU_DEP_2)
	v_or_b32_e32 v1, 32, v0
	v_xor_b32_e32 v6, 16, v0
	v_cmp_gt_i32_e32 vcc_lo, 32, v1
	v_cndmask_b32_e32 v1, v0, v1, vcc_lo
	s_delay_alu instid0(VALU_DEP_3) | instskip(SKIP_1) | instid1(VALU_DEP_1)
	v_cmp_gt_i32_e32 vcc_lo, 32, v6
	v_cndmask_b32_e32 v6, v0, v6, vcc_lo
	v_lshlrev_b32_e32 v6, 2, v6
	s_delay_alu instid0(VALU_DEP_4)
	v_lshlrev_b32_e32 v1, 2, v1
	ds_bpermute_b32 v2, v1, v10
	s_waitcnt lgkmcnt(0)
	v_add_f32_e32 v2, v10, v2
	ds_bpermute_b32 v3, v1, v13
	ds_bpermute_b32 v5, v1, v12
	;; [unrolled: 1-line block ×4, first 2 shown]
	s_waitcnt lgkmcnt(3)
	v_add_f32_e32 v3, v13, v3
	s_waitcnt lgkmcnt(0)
	v_dual_add_f32 v5, v12, v5 :: v_dual_add_f32 v2, v2, v7
	v_add_f32_e32 v1, v11, v1
	ds_bpermute_b32 v8, v6, v3
	ds_bpermute_b32 v10, v6, v5
	v_xor_b32_e32 v11, 8, v0
	ds_bpermute_b32 v6, v6, v1
	v_cmp_gt_i32_e32 vcc_lo, 32, v11
	v_cndmask_b32_e32 v11, v0, v11, vcc_lo
	s_delay_alu instid0(VALU_DEP_1)
	v_lshlrev_b32_e32 v11, 2, v11
	s_waitcnt lgkmcnt(2)
	v_add_f32_e32 v3, v3, v8
	s_waitcnt lgkmcnt(1)
	v_add_f32_e32 v5, v5, v10
	;; [unrolled: 2-line block ×3, first 2 shown]
	ds_bpermute_b32 v6, v11, v2
	ds_bpermute_b32 v7, v11, v3
	;; [unrolled: 1-line block ×4, first 2 shown]
	v_xor_b32_e32 v11, 4, v0
	s_delay_alu instid0(VALU_DEP_1) | instskip(SKIP_2) | instid1(VALU_DEP_1)
	v_cmp_gt_i32_e32 vcc_lo, 32, v11
	v_cndmask_b32_e32 v11, v0, v11, vcc_lo
	s_waitcnt lgkmcnt(3)
	v_dual_add_f32 v2, v2, v6 :: v_dual_lshlrev_b32 v11, 2, v11
	s_waitcnt lgkmcnt(2)
	v_add_f32_e32 v3, v3, v7
	s_waitcnt lgkmcnt(1)
	v_add_f32_e32 v5, v5, v8
	s_waitcnt lgkmcnt(0)
	v_add_f32_e32 v1, v1, v10
	ds_bpermute_b32 v6, v11, v2
	ds_bpermute_b32 v7, v11, v3
	ds_bpermute_b32 v8, v11, v5
	ds_bpermute_b32 v10, v11, v1
	v_xor_b32_e32 v11, 2, v0
	s_delay_alu instid0(VALU_DEP_1) | instskip(SKIP_2) | instid1(VALU_DEP_1)
	v_cmp_gt_i32_e32 vcc_lo, 32, v11
	v_cndmask_b32_e32 v11, v0, v11, vcc_lo
	s_waitcnt lgkmcnt(3)
	v_dual_add_f32 v2, v2, v6 :: v_dual_lshlrev_b32 v11, 2, v11
	s_waitcnt lgkmcnt(2)
	v_add_f32_e32 v3, v3, v7
	s_waitcnt lgkmcnt(1)
	v_add_f32_e32 v5, v5, v8
	;; [unrolled: 2-line block ×3, first 2 shown]
	ds_bpermute_b32 v1, v11, v2
	ds_bpermute_b32 v7, v11, v3
	;; [unrolled: 1-line block ×4, first 2 shown]
	v_xor_b32_e32 v11, 1, v0
	s_delay_alu instid0(VALU_DEP_1) | instskip(SKIP_3) | instid1(VALU_DEP_2)
	v_cmp_gt_i32_e32 vcc_lo, 32, v11
	v_cndmask_b32_e32 v0, v0, v11, vcc_lo
	v_cmp_eq_u32_e32 vcc_lo, 63, v9
	s_waitcnt lgkmcnt(3)
	v_dual_add_f32 v0, v2, v1 :: v_dual_lshlrev_b32 v11, 2, v0
	s_waitcnt lgkmcnt(1)
	v_dual_add_f32 v1, v3, v7 :: v_dual_add_f32 v2, v5, v8
	s_waitcnt lgkmcnt(0)
	v_add_f32_e32 v3, v6, v10
	ds_bpermute_b32 v5, v11, v0
	ds_bpermute_b32 v6, v11, v1
	;; [unrolled: 1-line block ×4, first 2 shown]
	s_and_b32 exec_lo, exec_lo, vcc_lo
	s_cbranch_execz .LBB29_23
; %bb.19:
	s_load_b64 s[0:1], s[0:1], 0x38
	s_waitcnt lgkmcnt(0)
	v_dual_add_f32 v0, v0, v5 :: v_dual_add_f32 v1, v1, v6
	v_dual_add_f32 v2, v2, v7 :: v_dual_add_f32 v3, v3, v8
	v_cmp_eq_f32_e64 s3, s12, 0
	s_delay_alu instid0(VALU_DEP_3) | instskip(NEXT) | instid1(VALU_DEP_3)
	v_dual_mul_f32 v0, s16, v0 :: v_dual_mul_f32 v1, s16, v1
	v_dual_mul_f32 v2, s16, v2 :: v_dual_mul_f32 v3, s16, v3
	v_lshlrev_b32_e32 v4, 2, v4
	s_delay_alu instid0(VALU_DEP_4)
	s_and_b32 vcc_lo, exec_lo, s3
	s_cbranch_vccz .LBB29_21
; %bb.20:
	s_delay_alu instid0(VALU_DEP_1) | instskip(SKIP_1) | instid1(VALU_DEP_1)
	v_ashrrev_i32_e32 v5, 31, v4
	s_mov_b32 s2, 0
	v_lshlrev_b64 v[5:6], 2, v[4:5]
	s_delay_alu instid0(VALU_DEP_1) | instskip(NEXT) | instid1(VALU_DEP_2)
	v_add_co_u32 v5, vcc_lo, s0, v5
	v_add_co_ci_u32_e32 v6, vcc_lo, s1, v6, vcc_lo
	global_store_b128 v[5:6], v[0:3], off
.LBB29_21:
	s_and_not1_b32 vcc_lo, exec_lo, s2
	s_cbranch_vccnz .LBB29_23
; %bb.22:
	v_ashrrev_i32_e32 v5, 31, v4
	s_delay_alu instid0(VALU_DEP_1) | instskip(NEXT) | instid1(VALU_DEP_1)
	v_lshlrev_b64 v[4:5], 2, v[4:5]
	v_add_co_u32 v8, vcc_lo, s0, v4
	s_delay_alu instid0(VALU_DEP_2)
	v_add_co_ci_u32_e32 v9, vcc_lo, s1, v5, vcc_lo
	global_load_b128 v[4:7], v[8:9], off
	s_waitcnt vmcnt(0)
	v_dual_fmac_f32 v0, s12, v4 :: v_dual_fmac_f32 v1, s12, v5
	v_dual_fmac_f32 v2, s12, v6 :: v_dual_fmac_f32 v3, s12, v7
	global_store_b128 v[8:9], v[0:3], off
.LBB29_23:
	s_nop 0
	s_sendmsg sendmsg(MSG_DEALLOC_VGPRS)
	s_endpgm
	.section	.rodata,"a",@progbits
	.p2align	6, 0x0
	.amdhsa_kernel _ZN9rocsparseL19gebsrmvn_4xn_kernelILj128ELj7ELj64EfEEvi20rocsparse_direction_NS_24const_host_device_scalarIT2_EEPKiS6_PKS3_S8_S4_PS3_21rocsparse_index_base_b
		.amdhsa_group_segment_fixed_size 0
		.amdhsa_private_segment_fixed_size 0
		.amdhsa_kernarg_size 72
		.amdhsa_user_sgpr_count 15
		.amdhsa_user_sgpr_dispatch_ptr 0
		.amdhsa_user_sgpr_queue_ptr 0
		.amdhsa_user_sgpr_kernarg_segment_ptr 1
		.amdhsa_user_sgpr_dispatch_id 0
		.amdhsa_user_sgpr_private_segment_size 0
		.amdhsa_wavefront_size32 1
		.amdhsa_uses_dynamic_stack 0
		.amdhsa_enable_private_segment 0
		.amdhsa_system_sgpr_workgroup_id_x 1
		.amdhsa_system_sgpr_workgroup_id_y 0
		.amdhsa_system_sgpr_workgroup_id_z 0
		.amdhsa_system_sgpr_workgroup_info 0
		.amdhsa_system_vgpr_workitem_id 0
		.amdhsa_next_free_vgpr 51
		.amdhsa_next_free_sgpr 20
		.amdhsa_reserve_vcc 1
		.amdhsa_float_round_mode_32 0
		.amdhsa_float_round_mode_16_64 0
		.amdhsa_float_denorm_mode_32 3
		.amdhsa_float_denorm_mode_16_64 3
		.amdhsa_dx10_clamp 1
		.amdhsa_ieee_mode 1
		.amdhsa_fp16_overflow 0
		.amdhsa_workgroup_processor_mode 1
		.amdhsa_memory_ordered 1
		.amdhsa_forward_progress 0
		.amdhsa_shared_vgpr_count 0
		.amdhsa_exception_fp_ieee_invalid_op 0
		.amdhsa_exception_fp_denorm_src 0
		.amdhsa_exception_fp_ieee_div_zero 0
		.amdhsa_exception_fp_ieee_overflow 0
		.amdhsa_exception_fp_ieee_underflow 0
		.amdhsa_exception_fp_ieee_inexact 0
		.amdhsa_exception_int_div_zero 0
	.end_amdhsa_kernel
	.section	.text._ZN9rocsparseL19gebsrmvn_4xn_kernelILj128ELj7ELj64EfEEvi20rocsparse_direction_NS_24const_host_device_scalarIT2_EEPKiS6_PKS3_S8_S4_PS3_21rocsparse_index_base_b,"axG",@progbits,_ZN9rocsparseL19gebsrmvn_4xn_kernelILj128ELj7ELj64EfEEvi20rocsparse_direction_NS_24const_host_device_scalarIT2_EEPKiS6_PKS3_S8_S4_PS3_21rocsparse_index_base_b,comdat
.Lfunc_end29:
	.size	_ZN9rocsparseL19gebsrmvn_4xn_kernelILj128ELj7ELj64EfEEvi20rocsparse_direction_NS_24const_host_device_scalarIT2_EEPKiS6_PKS3_S8_S4_PS3_21rocsparse_index_base_b, .Lfunc_end29-_ZN9rocsparseL19gebsrmvn_4xn_kernelILj128ELj7ELj64EfEEvi20rocsparse_direction_NS_24const_host_device_scalarIT2_EEPKiS6_PKS3_S8_S4_PS3_21rocsparse_index_base_b
                                        ; -- End function
	.section	.AMDGPU.csdata,"",@progbits
; Kernel info:
; codeLenInByte = 3284
; NumSgprs: 22
; NumVgprs: 51
; ScratchSize: 0
; MemoryBound: 0
; FloatMode: 240
; IeeeMode: 1
; LDSByteSize: 0 bytes/workgroup (compile time only)
; SGPRBlocks: 2
; VGPRBlocks: 6
; NumSGPRsForWavesPerEU: 22
; NumVGPRsForWavesPerEU: 51
; Occupancy: 16
; WaveLimiterHint : 1
; COMPUTE_PGM_RSRC2:SCRATCH_EN: 0
; COMPUTE_PGM_RSRC2:USER_SGPR: 15
; COMPUTE_PGM_RSRC2:TRAP_HANDLER: 0
; COMPUTE_PGM_RSRC2:TGID_X_EN: 1
; COMPUTE_PGM_RSRC2:TGID_Y_EN: 0
; COMPUTE_PGM_RSRC2:TGID_Z_EN: 0
; COMPUTE_PGM_RSRC2:TIDIG_COMP_CNT: 0
	.section	.text._ZN9rocsparseL19gebsrmvn_4xn_kernelILj128ELj8ELj4EfEEvi20rocsparse_direction_NS_24const_host_device_scalarIT2_EEPKiS6_PKS3_S8_S4_PS3_21rocsparse_index_base_b,"axG",@progbits,_ZN9rocsparseL19gebsrmvn_4xn_kernelILj128ELj8ELj4EfEEvi20rocsparse_direction_NS_24const_host_device_scalarIT2_EEPKiS6_PKS3_S8_S4_PS3_21rocsparse_index_base_b,comdat
	.globl	_ZN9rocsparseL19gebsrmvn_4xn_kernelILj128ELj8ELj4EfEEvi20rocsparse_direction_NS_24const_host_device_scalarIT2_EEPKiS6_PKS3_S8_S4_PS3_21rocsparse_index_base_b ; -- Begin function _ZN9rocsparseL19gebsrmvn_4xn_kernelILj128ELj8ELj4EfEEvi20rocsparse_direction_NS_24const_host_device_scalarIT2_EEPKiS6_PKS3_S8_S4_PS3_21rocsparse_index_base_b
	.p2align	8
	.type	_ZN9rocsparseL19gebsrmvn_4xn_kernelILj128ELj8ELj4EfEEvi20rocsparse_direction_NS_24const_host_device_scalarIT2_EEPKiS6_PKS3_S8_S4_PS3_21rocsparse_index_base_b,@function
_ZN9rocsparseL19gebsrmvn_4xn_kernelILj128ELj8ELj4EfEEvi20rocsparse_direction_NS_24const_host_device_scalarIT2_EEPKiS6_PKS3_S8_S4_PS3_21rocsparse_index_base_b: ; @_ZN9rocsparseL19gebsrmvn_4xn_kernelILj128ELj8ELj4EfEEvi20rocsparse_direction_NS_24const_host_device_scalarIT2_EEPKiS6_PKS3_S8_S4_PS3_21rocsparse_index_base_b
; %bb.0:
	s_clause 0x2
	s_load_b64 s[18:19], s[0:1], 0x40
	s_load_b64 s[16:17], s[0:1], 0x8
	;; [unrolled: 1-line block ×3, first 2 shown]
	s_waitcnt lgkmcnt(0)
	s_bitcmp1_b32 s19, 0
	s_cselect_b32 s2, -1, 0
	s_delay_alu instid0(SALU_CYCLE_1)
	s_and_b32 vcc_lo, exec_lo, s2
	s_xor_b32 s2, s2, -1
	s_cbranch_vccnz .LBB30_2
; %bb.1:
	s_load_b32 s16, s[16:17], 0x0
.LBB30_2:
	s_and_not1_b32 vcc_lo, exec_lo, s2
	s_cbranch_vccnz .LBB30_4
; %bb.3:
	s_load_b32 s12, s[12:13], 0x0
.LBB30_4:
	s_waitcnt lgkmcnt(0)
	v_cmp_eq_f32_e64 s2, s16, 0
	v_cmp_eq_f32_e64 s3, s12, 1.0
	s_delay_alu instid0(VALU_DEP_1) | instskip(NEXT) | instid1(SALU_CYCLE_1)
	s_and_b32 s2, s2, s3
	s_and_b32 vcc_lo, exec_lo, s2
	s_cbranch_vccnz .LBB30_23
; %bb.5:
	s_load_b64 s[2:3], s[0:1], 0x0
	v_lshrrev_b32_e32 v1, 2, v0
	s_delay_alu instid0(VALU_DEP_1) | instskip(SKIP_1) | instid1(VALU_DEP_1)
	v_lshl_or_b32 v4, s15, 5, v1
	s_waitcnt lgkmcnt(0)
	v_cmp_gt_i32_e32 vcc_lo, s2, v4
	s_and_saveexec_b32 s2, vcc_lo
	s_cbranch_execz .LBB30_23
; %bb.6:
	s_load_b256 s[4:11], s[0:1], 0x10
	v_ashrrev_i32_e32 v5, 31, v4
	v_and_b32_e32 v7, 3, v0
	s_cmp_lg_u32 s3, 0
	s_delay_alu instid0(VALU_DEP_2) | instskip(SKIP_1) | instid1(VALU_DEP_1)
	v_lshlrev_b64 v[1:2], 2, v[4:5]
	s_waitcnt lgkmcnt(0)
	v_add_co_u32 v1, vcc_lo, s4, v1
	s_delay_alu instid0(VALU_DEP_2) | instskip(SKIP_4) | instid1(VALU_DEP_2)
	v_add_co_ci_u32_e32 v2, vcc_lo, s5, v2, vcc_lo
	global_load_b64 v[1:2], v[1:2], off
	s_waitcnt vmcnt(0)
	v_subrev_nc_u32_e32 v0, s18, v1
	v_subrev_nc_u32_e32 v12, s18, v2
	v_add_nc_u32_e32 v0, v0, v7
	s_delay_alu instid0(VALU_DEP_1)
	v_cmp_lt_i32_e64 s2, v0, v12
	s_cbranch_scc0 .LBB30_12
; %bb.7:
	v_dual_mov_b32 v8, 0 :: v_dual_mov_b32 v9, 0
	v_dual_mov_b32 v10, 0 :: v_dual_mov_b32 v11, 0
	s_mov_b32 s3, 0
	s_and_saveexec_b32 s4, s2
	s_cbranch_execz .LBB30_11
; %bb.8:
	v_dual_mov_b32 v2, 0 :: v_dual_lshlrev_b32 v1, 5, v0
	v_mov_b32_e32 v5, v0
	s_mov_b32 s5, 0
	s_delay_alu instid0(VALU_DEP_2)
	v_mov_b32_e32 v8, v2
	v_mov_b32_e32 v9, v2
	;; [unrolled: 1-line block ×4, first 2 shown]
.LBB30_9:                               ; =>This Inner Loop Header: Depth=1
	v_ashrrev_i32_e32 v6, 31, v5
	s_delay_alu instid0(VALU_DEP_1) | instskip(NEXT) | instid1(VALU_DEP_1)
	v_lshlrev_b64 v[13:14], 2, v[5:6]
	v_add_co_u32 v13, vcc_lo, s6, v13
	s_delay_alu instid0(VALU_DEP_2) | instskip(SKIP_2) | instid1(VALU_DEP_1)
	v_add_co_ci_u32_e32 v14, vcc_lo, s7, v14, vcc_lo
	global_load_b32 v3, v[13:14], off
	v_lshlrev_b64 v[13:14], 2, v[1:2]
	v_add_co_u32 v49, vcc_lo, s8, v13
	s_delay_alu instid0(VALU_DEP_2) | instskip(SKIP_3) | instid1(VALU_DEP_1)
	v_add_co_ci_u32_e32 v50, vcc_lo, s9, v14, vcc_lo
	global_load_b128 v[13:16], v[49:50], off offset:16
	s_waitcnt vmcnt(1)
	v_subrev_nc_u32_e32 v3, s18, v3
	v_dual_mov_b32 v18, v2 :: v_dual_lshlrev_b32 v17, 3, v3
	s_delay_alu instid0(VALU_DEP_1) | instskip(NEXT) | instid1(VALU_DEP_1)
	v_lshlrev_b64 v[17:18], 2, v[17:18]
	v_add_co_u32 v25, vcc_lo, s10, v17
	s_delay_alu instid0(VALU_DEP_2)
	v_add_co_ci_u32_e32 v26, vcc_lo, s11, v18, vcc_lo
	global_load_b128 v[17:20], v[49:50], off
	s_clause 0x1
	global_load_b128 v[21:24], v[25:26], off
	global_load_b128 v[25:28], v[25:26], off offset:16
	s_clause 0x5
	global_load_b128 v[29:32], v[49:50], off offset:32
	global_load_b128 v[33:36], v[49:50], off offset:48
	global_load_b128 v[37:40], v[49:50], off offset:64
	global_load_b128 v[41:44], v[49:50], off offset:80
	global_load_b128 v[45:48], v[49:50], off offset:96
	global_load_b128 v[49:52], v[49:50], off offset:112
	s_waitcnt vmcnt(7)
	v_fmac_f32_e32 v11, v18, v21
	v_fmac_f32_e32 v8, v17, v21
	;; [unrolled: 1-line block ×3, first 2 shown]
	s_delay_alu instid0(VALU_DEP_3) | instskip(NEXT) | instid1(VALU_DEP_3)
	v_dual_fmac_f32 v10, v19, v21 :: v_dual_fmac_f32 v11, v14, v22
	v_fmac_f32_e32 v8, v13, v22
	s_delay_alu instid0(VALU_DEP_3) | instskip(SKIP_1) | instid1(VALU_DEP_3)
	v_fmac_f32_e32 v9, v16, v22
	s_waitcnt vmcnt(5)
	v_dual_fmac_f32 v10, v15, v22 :: v_dual_fmac_f32 v11, v30, v23
	s_delay_alu instid0(VALU_DEP_3) | instskip(NEXT) | instid1(VALU_DEP_3)
	v_fmac_f32_e32 v8, v29, v23
	v_fmac_f32_e32 v9, v32, v23
	s_waitcnt vmcnt(4)
	s_delay_alu instid0(VALU_DEP_3) | instskip(NEXT) | instid1(VALU_DEP_3)
	v_dual_fmac_f32 v10, v31, v23 :: v_dual_fmac_f32 v11, v34, v24
	v_fmac_f32_e32 v8, v33, v24
	s_delay_alu instid0(VALU_DEP_3) | instskip(SKIP_1) | instid1(VALU_DEP_3)
	v_fmac_f32_e32 v9, v36, v24
	s_waitcnt vmcnt(3)
	v_dual_fmac_f32 v10, v35, v24 :: v_dual_fmac_f32 v11, v38, v25
	s_delay_alu instid0(VALU_DEP_3) | instskip(NEXT) | instid1(VALU_DEP_3)
	v_fmac_f32_e32 v8, v37, v25
	v_fmac_f32_e32 v9, v40, v25
	s_waitcnt vmcnt(2)
	s_delay_alu instid0(VALU_DEP_3) | instskip(NEXT) | instid1(VALU_DEP_3)
	v_dual_fmac_f32 v10, v39, v25 :: v_dual_fmac_f32 v11, v42, v26
	v_fmac_f32_e32 v8, v41, v26
	s_delay_alu instid0(VALU_DEP_3) | instskip(NEXT) | instid1(VALU_DEP_3)
	v_fmac_f32_e32 v9, v44, v26
	v_dual_fmac_f32 v10, v43, v26 :: v_dual_add_nc_u32 v5, 4, v5
	s_waitcnt vmcnt(1)
	s_delay_alu instid0(VALU_DEP_3) | instskip(SKIP_1) | instid1(VALU_DEP_3)
	v_dual_fmac_f32 v8, v45, v27 :: v_dual_add_nc_u32 v1, 0x80, v1
	v_fmac_f32_e32 v11, v46, v27
	v_fmac_f32_e32 v10, v47, v27
	;; [unrolled: 1-line block ×3, first 2 shown]
	v_cmp_ge_i32_e32 vcc_lo, v5, v12
	s_waitcnt vmcnt(0)
	v_fmac_f32_e32 v8, v49, v28
	v_fmac_f32_e32 v11, v50, v28
	;; [unrolled: 1-line block ×4, first 2 shown]
	s_or_b32 s5, vcc_lo, s5
	s_delay_alu instid0(SALU_CYCLE_1)
	s_and_not1_b32 exec_lo, exec_lo, s5
	s_cbranch_execnz .LBB30_9
; %bb.10:
	s_or_b32 exec_lo, exec_lo, s5
.LBB30_11:
	s_delay_alu instid0(SALU_CYCLE_1) | instskip(NEXT) | instid1(SALU_CYCLE_1)
	s_or_b32 exec_lo, exec_lo, s4
	s_and_not1_b32 vcc_lo, exec_lo, s3
	s_cbranch_vccz .LBB30_13
	s_branch .LBB30_18
.LBB30_12:
                                        ; implicit-def: $vgpr8
                                        ; implicit-def: $vgpr9
                                        ; implicit-def: $vgpr10
                                        ; implicit-def: $vgpr11
.LBB30_13:
	v_dual_mov_b32 v8, 0 :: v_dual_mov_b32 v9, 0
	v_dual_mov_b32 v10, 0 :: v_dual_mov_b32 v11, 0
	s_delay_alu instid0(VALU_DEP_3)
	s_and_saveexec_b32 s3, s2
	s_cbranch_execz .LBB30_17
; %bb.14:
	v_dual_mov_b32 v3, 0 :: v_dual_lshlrev_b32 v2, 5, v0
	s_mov_b32 s2, 0
	s_delay_alu instid0(VALU_DEP_1)
	v_mov_b32_e32 v8, v3
	v_mov_b32_e32 v9, v3
	;; [unrolled: 1-line block ×4, first 2 shown]
.LBB30_15:                              ; =>This Inner Loop Header: Depth=1
	v_ashrrev_i32_e32 v1, 31, v0
	s_delay_alu instid0(VALU_DEP_1) | instskip(NEXT) | instid1(VALU_DEP_1)
	v_lshlrev_b64 v[5:6], 2, v[0:1]
	v_add_co_u32 v5, vcc_lo, s6, v5
	s_delay_alu instid0(VALU_DEP_2) | instskip(SKIP_3) | instid1(VALU_DEP_2)
	v_add_co_ci_u32_e32 v6, vcc_lo, s7, v6, vcc_lo
	global_load_b32 v1, v[5:6], off
	v_lshlrev_b64 v[5:6], 2, v[2:3]
	v_add_nc_u32_e32 v2, 0x80, v2
	v_add_co_u32 v5, vcc_lo, s8, v5
	s_delay_alu instid0(VALU_DEP_3)
	v_add_co_ci_u32_e32 v6, vcc_lo, s9, v6, vcc_lo
	s_clause 0x6
	global_load_b128 v[13:16], v[5:6], off offset:48
	global_load_b128 v[17:20], v[5:6], off offset:32
	;; [unrolled: 1-line block ×3, first 2 shown]
	global_load_b128 v[25:28], v[5:6], off
	global_load_b128 v[29:32], v[5:6], off offset:80
	global_load_b128 v[33:36], v[5:6], off offset:112
	;; [unrolled: 1-line block ×3, first 2 shown]
	s_waitcnt vmcnt(7)
	v_subrev_nc_u32_e32 v1, s18, v1
	s_delay_alu instid0(VALU_DEP_1) | instskip(NEXT) | instid1(VALU_DEP_1)
	v_dual_mov_b32 v42, v3 :: v_dual_lshlrev_b32 v41, 3, v1
	v_lshlrev_b64 v[41:42], 2, v[41:42]
	s_delay_alu instid0(VALU_DEP_1) | instskip(NEXT) | instid1(VALU_DEP_2)
	v_add_co_u32 v49, vcc_lo, s10, v41
	v_add_co_ci_u32_e32 v50, vcc_lo, s11, v42, vcc_lo
	global_load_b128 v[41:44], v[5:6], off offset:64
	s_clause 0x1
	global_load_b128 v[45:48], v[49:50], off
	global_load_b128 v[49:52], v[49:50], off offset:16
	s_waitcnt vmcnt(1)
	v_fmac_f32_e32 v11, v17, v45
	v_fmac_f32_e32 v8, v25, v45
	;; [unrolled: 1-line block ×3, first 2 shown]
	s_delay_alu instid0(VALU_DEP_3) | instskip(NEXT) | instid1(VALU_DEP_3)
	v_dual_fmac_f32 v10, v41, v45 :: v_dual_fmac_f32 v11, v18, v46
	v_fmac_f32_e32 v8, v26, v46
	s_delay_alu instid0(VALU_DEP_3) | instskip(NEXT) | instid1(VALU_DEP_3)
	v_fmac_f32_e32 v9, v38, v46
	v_dual_fmac_f32 v10, v42, v46 :: v_dual_fmac_f32 v11, v19, v47
	s_delay_alu instid0(VALU_DEP_3) | instskip(NEXT) | instid1(VALU_DEP_3)
	v_fmac_f32_e32 v8, v27, v47
	v_fmac_f32_e32 v9, v39, v47
	s_delay_alu instid0(VALU_DEP_3) | instskip(NEXT) | instid1(VALU_DEP_3)
	v_dual_fmac_f32 v10, v43, v47 :: v_dual_fmac_f32 v11, v20, v48
	v_fmac_f32_e32 v8, v28, v48
	s_delay_alu instid0(VALU_DEP_3) | instskip(SKIP_1) | instid1(VALU_DEP_3)
	v_fmac_f32_e32 v9, v40, v48
	s_waitcnt vmcnt(0)
	v_dual_fmac_f32 v10, v44, v48 :: v_dual_fmac_f32 v11, v13, v49
	s_delay_alu instid0(VALU_DEP_1) | instskip(NEXT) | instid1(VALU_DEP_1)
	v_dual_fmac_f32 v8, v21, v49 :: v_dual_fmac_f32 v11, v14, v50
	v_dual_fmac_f32 v9, v33, v49 :: v_dual_fmac_f32 v8, v22, v50
	s_delay_alu instid0(VALU_DEP_2) | instskip(NEXT) | instid1(VALU_DEP_2)
	v_dual_fmac_f32 v10, v29, v49 :: v_dual_fmac_f32 v11, v15, v51
	v_dual_fmac_f32 v9, v34, v50 :: v_dual_add_nc_u32 v0, 4, v0
	s_delay_alu instid0(VALU_DEP_2) | instskip(NEXT) | instid1(VALU_DEP_3)
	v_fmac_f32_e32 v10, v30, v50
	v_dual_fmac_f32 v8, v23, v51 :: v_dual_fmac_f32 v11, v16, v52
	s_delay_alu instid0(VALU_DEP_3) | instskip(NEXT) | instid1(VALU_DEP_4)
	v_fmac_f32_e32 v9, v35, v51
	v_cmp_ge_i32_e32 vcc_lo, v0, v12
	s_delay_alu instid0(VALU_DEP_4) | instskip(NEXT) | instid1(VALU_DEP_4)
	v_fmac_f32_e32 v10, v31, v51
	v_fmac_f32_e32 v8, v24, v52
	s_delay_alu instid0(VALU_DEP_4) | instskip(SKIP_1) | instid1(VALU_DEP_3)
	v_fmac_f32_e32 v9, v36, v52
	s_or_b32 s2, vcc_lo, s2
	v_fmac_f32_e32 v10, v32, v52
	s_and_not1_b32 exec_lo, exec_lo, s2
	s_cbranch_execnz .LBB30_15
; %bb.16:
	s_or_b32 exec_lo, exec_lo, s2
.LBB30_17:
	s_delay_alu instid0(SALU_CYCLE_1)
	s_or_b32 exec_lo, exec_lo, s3
.LBB30_18:
	v_mbcnt_lo_u32_b32 v0, -1, 0
	s_mov_b32 s2, -1
	s_delay_alu instid0(VALU_DEP_1) | instskip(NEXT) | instid1(VALU_DEP_1)
	v_xor_b32_e32 v1, 2, v0
	v_cmp_gt_i32_e32 vcc_lo, 32, v1
	v_cndmask_b32_e32 v1, v0, v1, vcc_lo
	s_delay_alu instid0(VALU_DEP_1)
	v_lshlrev_b32_e32 v1, 2, v1
	ds_bpermute_b32 v2, v1, v8
	ds_bpermute_b32 v3, v1, v11
	;; [unrolled: 1-line block ×4, first 2 shown]
	v_xor_b32_e32 v1, 1, v0
	s_delay_alu instid0(VALU_DEP_1) | instskip(SKIP_3) | instid1(VALU_DEP_2)
	v_cmp_gt_i32_e32 vcc_lo, 32, v1
	v_cndmask_b32_e32 v0, v0, v1, vcc_lo
	v_cmp_eq_u32_e32 vcc_lo, 3, v7
	s_waitcnt lgkmcnt(2)
	v_dual_add_f32 v1, v11, v3 :: v_dual_lshlrev_b32 v12, 2, v0
	v_add_f32_e32 v0, v8, v2
	s_waitcnt lgkmcnt(0)
	v_dual_add_f32 v2, v10, v5 :: v_dual_add_f32 v3, v9, v6
	ds_bpermute_b32 v6, v12, v1
	ds_bpermute_b32 v5, v12, v0
	;; [unrolled: 1-line block ×4, first 2 shown]
	s_and_b32 exec_lo, exec_lo, vcc_lo
	s_cbranch_execz .LBB30_23
; %bb.19:
	s_load_b64 s[0:1], s[0:1], 0x38
	s_waitcnt lgkmcnt(0)
	v_dual_add_f32 v0, v0, v5 :: v_dual_add_f32 v1, v1, v6
	v_dual_add_f32 v2, v2, v8 :: v_dual_add_f32 v3, v3, v9
	v_cmp_eq_f32_e64 s3, s12, 0
	s_delay_alu instid0(VALU_DEP_3) | instskip(NEXT) | instid1(VALU_DEP_3)
	v_dual_mul_f32 v0, s16, v0 :: v_dual_mul_f32 v1, s16, v1
	v_dual_mul_f32 v2, s16, v2 :: v_dual_mul_f32 v3, s16, v3
	v_lshlrev_b32_e32 v4, 2, v4
	s_delay_alu instid0(VALU_DEP_4)
	s_and_b32 vcc_lo, exec_lo, s3
	s_cbranch_vccz .LBB30_21
; %bb.20:
	s_delay_alu instid0(VALU_DEP_1) | instskip(SKIP_1) | instid1(VALU_DEP_1)
	v_ashrrev_i32_e32 v5, 31, v4
	s_mov_b32 s2, 0
	v_lshlrev_b64 v[5:6], 2, v[4:5]
	s_delay_alu instid0(VALU_DEP_1) | instskip(NEXT) | instid1(VALU_DEP_2)
	v_add_co_u32 v5, vcc_lo, s0, v5
	v_add_co_ci_u32_e32 v6, vcc_lo, s1, v6, vcc_lo
	global_store_b128 v[5:6], v[0:3], off
.LBB30_21:
	s_and_not1_b32 vcc_lo, exec_lo, s2
	s_cbranch_vccnz .LBB30_23
; %bb.22:
	v_ashrrev_i32_e32 v5, 31, v4
	s_delay_alu instid0(VALU_DEP_1) | instskip(NEXT) | instid1(VALU_DEP_1)
	v_lshlrev_b64 v[4:5], 2, v[4:5]
	v_add_co_u32 v8, vcc_lo, s0, v4
	s_delay_alu instid0(VALU_DEP_2)
	v_add_co_ci_u32_e32 v9, vcc_lo, s1, v5, vcc_lo
	global_load_b128 v[4:7], v[8:9], off
	s_waitcnt vmcnt(0)
	v_dual_fmac_f32 v0, s12, v4 :: v_dual_fmac_f32 v1, s12, v5
	v_dual_fmac_f32 v2, s12, v6 :: v_dual_fmac_f32 v3, s12, v7
	global_store_b128 v[8:9], v[0:3], off
.LBB30_23:
	s_nop 0
	s_sendmsg sendmsg(MSG_DEALLOC_VGPRS)
	s_endpgm
	.section	.rodata,"a",@progbits
	.p2align	6, 0x0
	.amdhsa_kernel _ZN9rocsparseL19gebsrmvn_4xn_kernelILj128ELj8ELj4EfEEvi20rocsparse_direction_NS_24const_host_device_scalarIT2_EEPKiS6_PKS3_S8_S4_PS3_21rocsparse_index_base_b
		.amdhsa_group_segment_fixed_size 0
		.amdhsa_private_segment_fixed_size 0
		.amdhsa_kernarg_size 72
		.amdhsa_user_sgpr_count 15
		.amdhsa_user_sgpr_dispatch_ptr 0
		.amdhsa_user_sgpr_queue_ptr 0
		.amdhsa_user_sgpr_kernarg_segment_ptr 1
		.amdhsa_user_sgpr_dispatch_id 0
		.amdhsa_user_sgpr_private_segment_size 0
		.amdhsa_wavefront_size32 1
		.amdhsa_uses_dynamic_stack 0
		.amdhsa_enable_private_segment 0
		.amdhsa_system_sgpr_workgroup_id_x 1
		.amdhsa_system_sgpr_workgroup_id_y 0
		.amdhsa_system_sgpr_workgroup_id_z 0
		.amdhsa_system_sgpr_workgroup_info 0
		.amdhsa_system_vgpr_workitem_id 0
		.amdhsa_next_free_vgpr 53
		.amdhsa_next_free_sgpr 20
		.amdhsa_reserve_vcc 1
		.amdhsa_float_round_mode_32 0
		.amdhsa_float_round_mode_16_64 0
		.amdhsa_float_denorm_mode_32 3
		.amdhsa_float_denorm_mode_16_64 3
		.amdhsa_dx10_clamp 1
		.amdhsa_ieee_mode 1
		.amdhsa_fp16_overflow 0
		.amdhsa_workgroup_processor_mode 1
		.amdhsa_memory_ordered 1
		.amdhsa_forward_progress 0
		.amdhsa_shared_vgpr_count 0
		.amdhsa_exception_fp_ieee_invalid_op 0
		.amdhsa_exception_fp_denorm_src 0
		.amdhsa_exception_fp_ieee_div_zero 0
		.amdhsa_exception_fp_ieee_overflow 0
		.amdhsa_exception_fp_ieee_underflow 0
		.amdhsa_exception_fp_ieee_inexact 0
		.amdhsa_exception_int_div_zero 0
	.end_amdhsa_kernel
	.section	.text._ZN9rocsparseL19gebsrmvn_4xn_kernelILj128ELj8ELj4EfEEvi20rocsparse_direction_NS_24const_host_device_scalarIT2_EEPKiS6_PKS3_S8_S4_PS3_21rocsparse_index_base_b,"axG",@progbits,_ZN9rocsparseL19gebsrmvn_4xn_kernelILj128ELj8ELj4EfEEvi20rocsparse_direction_NS_24const_host_device_scalarIT2_EEPKiS6_PKS3_S8_S4_PS3_21rocsparse_index_base_b,comdat
.Lfunc_end30:
	.size	_ZN9rocsparseL19gebsrmvn_4xn_kernelILj128ELj8ELj4EfEEvi20rocsparse_direction_NS_24const_host_device_scalarIT2_EEPKiS6_PKS3_S8_S4_PS3_21rocsparse_index_base_b, .Lfunc_end30-_ZN9rocsparseL19gebsrmvn_4xn_kernelILj128ELj8ELj4EfEEvi20rocsparse_direction_NS_24const_host_device_scalarIT2_EEPKiS6_PKS3_S8_S4_PS3_21rocsparse_index_base_b
                                        ; -- End function
	.section	.AMDGPU.csdata,"",@progbits
; Kernel info:
; codeLenInByte = 1592
; NumSgprs: 22
; NumVgprs: 53
; ScratchSize: 0
; MemoryBound: 0
; FloatMode: 240
; IeeeMode: 1
; LDSByteSize: 0 bytes/workgroup (compile time only)
; SGPRBlocks: 2
; VGPRBlocks: 6
; NumSGPRsForWavesPerEU: 22
; NumVGPRsForWavesPerEU: 53
; Occupancy: 16
; WaveLimiterHint : 1
; COMPUTE_PGM_RSRC2:SCRATCH_EN: 0
; COMPUTE_PGM_RSRC2:USER_SGPR: 15
; COMPUTE_PGM_RSRC2:TRAP_HANDLER: 0
; COMPUTE_PGM_RSRC2:TGID_X_EN: 1
; COMPUTE_PGM_RSRC2:TGID_Y_EN: 0
; COMPUTE_PGM_RSRC2:TGID_Z_EN: 0
; COMPUTE_PGM_RSRC2:TIDIG_COMP_CNT: 0
	.section	.text._ZN9rocsparseL19gebsrmvn_4xn_kernelILj128ELj8ELj8EfEEvi20rocsparse_direction_NS_24const_host_device_scalarIT2_EEPKiS6_PKS3_S8_S4_PS3_21rocsparse_index_base_b,"axG",@progbits,_ZN9rocsparseL19gebsrmvn_4xn_kernelILj128ELj8ELj8EfEEvi20rocsparse_direction_NS_24const_host_device_scalarIT2_EEPKiS6_PKS3_S8_S4_PS3_21rocsparse_index_base_b,comdat
	.globl	_ZN9rocsparseL19gebsrmvn_4xn_kernelILj128ELj8ELj8EfEEvi20rocsparse_direction_NS_24const_host_device_scalarIT2_EEPKiS6_PKS3_S8_S4_PS3_21rocsparse_index_base_b ; -- Begin function _ZN9rocsparseL19gebsrmvn_4xn_kernelILj128ELj8ELj8EfEEvi20rocsparse_direction_NS_24const_host_device_scalarIT2_EEPKiS6_PKS3_S8_S4_PS3_21rocsparse_index_base_b
	.p2align	8
	.type	_ZN9rocsparseL19gebsrmvn_4xn_kernelILj128ELj8ELj8EfEEvi20rocsparse_direction_NS_24const_host_device_scalarIT2_EEPKiS6_PKS3_S8_S4_PS3_21rocsparse_index_base_b,@function
_ZN9rocsparseL19gebsrmvn_4xn_kernelILj128ELj8ELj8EfEEvi20rocsparse_direction_NS_24const_host_device_scalarIT2_EEPKiS6_PKS3_S8_S4_PS3_21rocsparse_index_base_b: ; @_ZN9rocsparseL19gebsrmvn_4xn_kernelILj128ELj8ELj8EfEEvi20rocsparse_direction_NS_24const_host_device_scalarIT2_EEPKiS6_PKS3_S8_S4_PS3_21rocsparse_index_base_b
; %bb.0:
	s_clause 0x2
	s_load_b64 s[18:19], s[0:1], 0x40
	s_load_b64 s[16:17], s[0:1], 0x8
	;; [unrolled: 1-line block ×3, first 2 shown]
	s_waitcnt lgkmcnt(0)
	s_bitcmp1_b32 s19, 0
	s_cselect_b32 s2, -1, 0
	s_delay_alu instid0(SALU_CYCLE_1)
	s_and_b32 vcc_lo, exec_lo, s2
	s_xor_b32 s2, s2, -1
	s_cbranch_vccnz .LBB31_2
; %bb.1:
	s_load_b32 s16, s[16:17], 0x0
.LBB31_2:
	s_and_not1_b32 vcc_lo, exec_lo, s2
	s_cbranch_vccnz .LBB31_4
; %bb.3:
	s_load_b32 s12, s[12:13], 0x0
.LBB31_4:
	s_waitcnt lgkmcnt(0)
	v_cmp_eq_f32_e64 s2, s16, 0
	v_cmp_eq_f32_e64 s3, s12, 1.0
	s_delay_alu instid0(VALU_DEP_1) | instskip(NEXT) | instid1(SALU_CYCLE_1)
	s_and_b32 s2, s2, s3
	s_and_b32 vcc_lo, exec_lo, s2
	s_cbranch_vccnz .LBB31_23
; %bb.5:
	s_load_b64 s[2:3], s[0:1], 0x0
	v_lshrrev_b32_e32 v1, 3, v0
	s_delay_alu instid0(VALU_DEP_1) | instskip(SKIP_1) | instid1(VALU_DEP_1)
	v_lshl_or_b32 v4, s15, 4, v1
	s_waitcnt lgkmcnt(0)
	v_cmp_gt_i32_e32 vcc_lo, s2, v4
	s_and_saveexec_b32 s2, vcc_lo
	s_cbranch_execz .LBB31_23
; %bb.6:
	s_load_b256 s[4:11], s[0:1], 0x10
	v_ashrrev_i32_e32 v5, 31, v4
	v_and_b32_e32 v7, 7, v0
	s_cmp_lg_u32 s3, 0
	s_delay_alu instid0(VALU_DEP_2) | instskip(SKIP_1) | instid1(VALU_DEP_1)
	v_lshlrev_b64 v[1:2], 2, v[4:5]
	s_waitcnt lgkmcnt(0)
	v_add_co_u32 v1, vcc_lo, s4, v1
	s_delay_alu instid0(VALU_DEP_2) | instskip(SKIP_4) | instid1(VALU_DEP_2)
	v_add_co_ci_u32_e32 v2, vcc_lo, s5, v2, vcc_lo
	global_load_b64 v[1:2], v[1:2], off
	s_waitcnt vmcnt(0)
	v_subrev_nc_u32_e32 v0, s18, v1
	v_subrev_nc_u32_e32 v12, s18, v2
	v_add_nc_u32_e32 v0, v0, v7
	s_delay_alu instid0(VALU_DEP_1)
	v_cmp_lt_i32_e64 s2, v0, v12
	s_cbranch_scc0 .LBB31_12
; %bb.7:
	v_dual_mov_b32 v8, 0 :: v_dual_mov_b32 v9, 0
	v_dual_mov_b32 v10, 0 :: v_dual_mov_b32 v11, 0
	s_mov_b32 s3, 0
	s_and_saveexec_b32 s4, s2
	s_cbranch_execz .LBB31_11
; %bb.8:
	v_dual_mov_b32 v2, 0 :: v_dual_lshlrev_b32 v1, 5, v0
	v_mov_b32_e32 v5, v0
	s_mov_b32 s5, 0
	s_delay_alu instid0(VALU_DEP_2)
	v_mov_b32_e32 v8, v2
	v_mov_b32_e32 v9, v2
	;; [unrolled: 1-line block ×4, first 2 shown]
.LBB31_9:                               ; =>This Inner Loop Header: Depth=1
	v_ashrrev_i32_e32 v6, 31, v5
	s_delay_alu instid0(VALU_DEP_1) | instskip(NEXT) | instid1(VALU_DEP_1)
	v_lshlrev_b64 v[13:14], 2, v[5:6]
	v_add_co_u32 v13, vcc_lo, s6, v13
	s_delay_alu instid0(VALU_DEP_2) | instskip(SKIP_2) | instid1(VALU_DEP_1)
	v_add_co_ci_u32_e32 v14, vcc_lo, s7, v14, vcc_lo
	global_load_b32 v3, v[13:14], off
	v_lshlrev_b64 v[13:14], 2, v[1:2]
	v_add_co_u32 v49, vcc_lo, s8, v13
	s_delay_alu instid0(VALU_DEP_2) | instskip(SKIP_3) | instid1(VALU_DEP_1)
	v_add_co_ci_u32_e32 v50, vcc_lo, s9, v14, vcc_lo
	global_load_b128 v[13:16], v[49:50], off offset:16
	s_waitcnt vmcnt(1)
	v_subrev_nc_u32_e32 v3, s18, v3
	v_dual_mov_b32 v18, v2 :: v_dual_lshlrev_b32 v17, 3, v3
	s_delay_alu instid0(VALU_DEP_1) | instskip(NEXT) | instid1(VALU_DEP_1)
	v_lshlrev_b64 v[17:18], 2, v[17:18]
	v_add_co_u32 v25, vcc_lo, s10, v17
	s_delay_alu instid0(VALU_DEP_2)
	v_add_co_ci_u32_e32 v26, vcc_lo, s11, v18, vcc_lo
	global_load_b128 v[17:20], v[49:50], off
	s_clause 0x1
	global_load_b128 v[21:24], v[25:26], off
	global_load_b128 v[25:28], v[25:26], off offset:16
	s_clause 0x5
	global_load_b128 v[29:32], v[49:50], off offset:32
	global_load_b128 v[33:36], v[49:50], off offset:48
	;; [unrolled: 1-line block ×6, first 2 shown]
	s_waitcnt vmcnt(7)
	v_fmac_f32_e32 v11, v18, v21
	v_fmac_f32_e32 v8, v17, v21
	;; [unrolled: 1-line block ×3, first 2 shown]
	s_delay_alu instid0(VALU_DEP_3) | instskip(NEXT) | instid1(VALU_DEP_3)
	v_dual_fmac_f32 v10, v19, v21 :: v_dual_fmac_f32 v11, v14, v22
	v_fmac_f32_e32 v8, v13, v22
	s_delay_alu instid0(VALU_DEP_3) | instskip(SKIP_1) | instid1(VALU_DEP_3)
	v_fmac_f32_e32 v9, v16, v22
	s_waitcnt vmcnt(5)
	v_dual_fmac_f32 v10, v15, v22 :: v_dual_fmac_f32 v11, v30, v23
	s_delay_alu instid0(VALU_DEP_3) | instskip(NEXT) | instid1(VALU_DEP_3)
	v_fmac_f32_e32 v8, v29, v23
	v_fmac_f32_e32 v9, v32, v23
	s_waitcnt vmcnt(4)
	s_delay_alu instid0(VALU_DEP_3) | instskip(NEXT) | instid1(VALU_DEP_3)
	v_dual_fmac_f32 v10, v31, v23 :: v_dual_fmac_f32 v11, v34, v24
	v_fmac_f32_e32 v8, v33, v24
	s_delay_alu instid0(VALU_DEP_3) | instskip(SKIP_1) | instid1(VALU_DEP_3)
	v_fmac_f32_e32 v9, v36, v24
	s_waitcnt vmcnt(3)
	v_dual_fmac_f32 v10, v35, v24 :: v_dual_fmac_f32 v11, v38, v25
	s_delay_alu instid0(VALU_DEP_3) | instskip(NEXT) | instid1(VALU_DEP_3)
	v_fmac_f32_e32 v8, v37, v25
	v_fmac_f32_e32 v9, v40, v25
	s_waitcnt vmcnt(2)
	s_delay_alu instid0(VALU_DEP_3) | instskip(NEXT) | instid1(VALU_DEP_3)
	v_dual_fmac_f32 v10, v39, v25 :: v_dual_fmac_f32 v11, v42, v26
	v_fmac_f32_e32 v8, v41, v26
	s_delay_alu instid0(VALU_DEP_3) | instskip(NEXT) | instid1(VALU_DEP_3)
	v_fmac_f32_e32 v9, v44, v26
	v_dual_fmac_f32 v10, v43, v26 :: v_dual_add_nc_u32 v5, 8, v5
	s_waitcnt vmcnt(1)
	s_delay_alu instid0(VALU_DEP_3) | instskip(SKIP_1) | instid1(VALU_DEP_3)
	v_dual_fmac_f32 v8, v45, v27 :: v_dual_add_nc_u32 v1, 0x100, v1
	v_fmac_f32_e32 v11, v46, v27
	v_fmac_f32_e32 v10, v47, v27
	;; [unrolled: 1-line block ×3, first 2 shown]
	v_cmp_ge_i32_e32 vcc_lo, v5, v12
	s_waitcnt vmcnt(0)
	v_fmac_f32_e32 v8, v49, v28
	v_fmac_f32_e32 v11, v50, v28
	;; [unrolled: 1-line block ×4, first 2 shown]
	s_or_b32 s5, vcc_lo, s5
	s_delay_alu instid0(SALU_CYCLE_1)
	s_and_not1_b32 exec_lo, exec_lo, s5
	s_cbranch_execnz .LBB31_9
; %bb.10:
	s_or_b32 exec_lo, exec_lo, s5
.LBB31_11:
	s_delay_alu instid0(SALU_CYCLE_1) | instskip(NEXT) | instid1(SALU_CYCLE_1)
	s_or_b32 exec_lo, exec_lo, s4
	s_and_not1_b32 vcc_lo, exec_lo, s3
	s_cbranch_vccz .LBB31_13
	s_branch .LBB31_18
.LBB31_12:
                                        ; implicit-def: $vgpr8
                                        ; implicit-def: $vgpr9
                                        ; implicit-def: $vgpr10
                                        ; implicit-def: $vgpr11
.LBB31_13:
	v_dual_mov_b32 v8, 0 :: v_dual_mov_b32 v9, 0
	v_dual_mov_b32 v10, 0 :: v_dual_mov_b32 v11, 0
	s_delay_alu instid0(VALU_DEP_3)
	s_and_saveexec_b32 s3, s2
	s_cbranch_execz .LBB31_17
; %bb.14:
	v_dual_mov_b32 v3, 0 :: v_dual_lshlrev_b32 v2, 5, v0
	s_mov_b32 s2, 0
	s_delay_alu instid0(VALU_DEP_1)
	v_mov_b32_e32 v8, v3
	v_mov_b32_e32 v9, v3
	v_mov_b32_e32 v10, v3
	v_mov_b32_e32 v11, v3
.LBB31_15:                              ; =>This Inner Loop Header: Depth=1
	v_ashrrev_i32_e32 v1, 31, v0
	s_delay_alu instid0(VALU_DEP_1) | instskip(NEXT) | instid1(VALU_DEP_1)
	v_lshlrev_b64 v[5:6], 2, v[0:1]
	v_add_co_u32 v5, vcc_lo, s6, v5
	s_delay_alu instid0(VALU_DEP_2) | instskip(SKIP_3) | instid1(VALU_DEP_2)
	v_add_co_ci_u32_e32 v6, vcc_lo, s7, v6, vcc_lo
	global_load_b32 v1, v[5:6], off
	v_lshlrev_b64 v[5:6], 2, v[2:3]
	v_add_nc_u32_e32 v2, 0x100, v2
	v_add_co_u32 v5, vcc_lo, s8, v5
	s_delay_alu instid0(VALU_DEP_3)
	v_add_co_ci_u32_e32 v6, vcc_lo, s9, v6, vcc_lo
	s_clause 0x6
	global_load_b128 v[13:16], v[5:6], off offset:48
	global_load_b128 v[17:20], v[5:6], off offset:32
	;; [unrolled: 1-line block ×3, first 2 shown]
	global_load_b128 v[25:28], v[5:6], off
	global_load_b128 v[29:32], v[5:6], off offset:80
	global_load_b128 v[33:36], v[5:6], off offset:112
	global_load_b128 v[37:40], v[5:6], off offset:96
	s_waitcnt vmcnt(7)
	v_subrev_nc_u32_e32 v1, s18, v1
	s_delay_alu instid0(VALU_DEP_1) | instskip(NEXT) | instid1(VALU_DEP_1)
	v_dual_mov_b32 v42, v3 :: v_dual_lshlrev_b32 v41, 3, v1
	v_lshlrev_b64 v[41:42], 2, v[41:42]
	s_delay_alu instid0(VALU_DEP_1) | instskip(NEXT) | instid1(VALU_DEP_2)
	v_add_co_u32 v49, vcc_lo, s10, v41
	v_add_co_ci_u32_e32 v50, vcc_lo, s11, v42, vcc_lo
	global_load_b128 v[41:44], v[5:6], off offset:64
	s_clause 0x1
	global_load_b128 v[45:48], v[49:50], off
	global_load_b128 v[49:52], v[49:50], off offset:16
	s_waitcnt vmcnt(1)
	v_fmac_f32_e32 v11, v17, v45
	v_fmac_f32_e32 v8, v25, v45
	;; [unrolled: 1-line block ×3, first 2 shown]
	s_delay_alu instid0(VALU_DEP_3) | instskip(NEXT) | instid1(VALU_DEP_3)
	v_dual_fmac_f32 v10, v41, v45 :: v_dual_fmac_f32 v11, v18, v46
	v_fmac_f32_e32 v8, v26, v46
	s_delay_alu instid0(VALU_DEP_3) | instskip(NEXT) | instid1(VALU_DEP_3)
	v_fmac_f32_e32 v9, v38, v46
	v_dual_fmac_f32 v10, v42, v46 :: v_dual_fmac_f32 v11, v19, v47
	s_delay_alu instid0(VALU_DEP_3) | instskip(NEXT) | instid1(VALU_DEP_3)
	v_fmac_f32_e32 v8, v27, v47
	v_fmac_f32_e32 v9, v39, v47
	s_delay_alu instid0(VALU_DEP_3) | instskip(NEXT) | instid1(VALU_DEP_3)
	v_dual_fmac_f32 v10, v43, v47 :: v_dual_fmac_f32 v11, v20, v48
	v_fmac_f32_e32 v8, v28, v48
	s_delay_alu instid0(VALU_DEP_3) | instskip(SKIP_1) | instid1(VALU_DEP_3)
	v_fmac_f32_e32 v9, v40, v48
	s_waitcnt vmcnt(0)
	v_dual_fmac_f32 v10, v44, v48 :: v_dual_fmac_f32 v11, v13, v49
	s_delay_alu instid0(VALU_DEP_1) | instskip(NEXT) | instid1(VALU_DEP_1)
	v_dual_fmac_f32 v8, v21, v49 :: v_dual_fmac_f32 v11, v14, v50
	v_dual_fmac_f32 v9, v33, v49 :: v_dual_fmac_f32 v8, v22, v50
	s_delay_alu instid0(VALU_DEP_2) | instskip(NEXT) | instid1(VALU_DEP_2)
	v_dual_fmac_f32 v10, v29, v49 :: v_dual_fmac_f32 v11, v15, v51
	v_dual_fmac_f32 v9, v34, v50 :: v_dual_add_nc_u32 v0, 8, v0
	s_delay_alu instid0(VALU_DEP_2) | instskip(NEXT) | instid1(VALU_DEP_3)
	v_fmac_f32_e32 v10, v30, v50
	v_dual_fmac_f32 v8, v23, v51 :: v_dual_fmac_f32 v11, v16, v52
	s_delay_alu instid0(VALU_DEP_3) | instskip(NEXT) | instid1(VALU_DEP_4)
	v_fmac_f32_e32 v9, v35, v51
	v_cmp_ge_i32_e32 vcc_lo, v0, v12
	s_delay_alu instid0(VALU_DEP_4) | instskip(NEXT) | instid1(VALU_DEP_4)
	v_fmac_f32_e32 v10, v31, v51
	v_fmac_f32_e32 v8, v24, v52
	s_delay_alu instid0(VALU_DEP_4) | instskip(SKIP_1) | instid1(VALU_DEP_3)
	v_fmac_f32_e32 v9, v36, v52
	s_or_b32 s2, vcc_lo, s2
	v_fmac_f32_e32 v10, v32, v52
	s_and_not1_b32 exec_lo, exec_lo, s2
	s_cbranch_execnz .LBB31_15
; %bb.16:
	s_or_b32 exec_lo, exec_lo, s2
.LBB31_17:
	s_delay_alu instid0(SALU_CYCLE_1)
	s_or_b32 exec_lo, exec_lo, s3
.LBB31_18:
	v_mbcnt_lo_u32_b32 v0, -1, 0
	s_mov_b32 s2, -1
	s_delay_alu instid0(VALU_DEP_1) | instskip(SKIP_1) | instid1(VALU_DEP_2)
	v_xor_b32_e32 v1, 4, v0
	v_xor_b32_e32 v6, 2, v0
	v_cmp_gt_i32_e32 vcc_lo, 32, v1
	v_cndmask_b32_e32 v1, v0, v1, vcc_lo
	s_delay_alu instid0(VALU_DEP_3) | instskip(SKIP_1) | instid1(VALU_DEP_1)
	v_cmp_gt_i32_e32 vcc_lo, 32, v6
	v_cndmask_b32_e32 v6, v0, v6, vcc_lo
	v_lshlrev_b32_e32 v6, 2, v6
	s_delay_alu instid0(VALU_DEP_4)
	v_lshlrev_b32_e32 v1, 2, v1
	ds_bpermute_b32 v2, v1, v8
	s_waitcnt lgkmcnt(0)
	v_add_f32_e32 v2, v8, v2
	ds_bpermute_b32 v3, v1, v11
	ds_bpermute_b32 v5, v1, v10
	;; [unrolled: 1-line block ×3, first 2 shown]
	s_waitcnt lgkmcnt(2)
	v_add_f32_e32 v3, v11, v3
	v_xor_b32_e32 v11, 1, v0
	s_delay_alu instid0(VALU_DEP_1)
	v_cmp_gt_i32_e32 vcc_lo, 32, v11
	s_waitcnt lgkmcnt(1)
	v_dual_add_f32 v5, v10, v5 :: v_dual_cndmask_b32 v0, v0, v11
	s_waitcnt lgkmcnt(0)
	v_add_f32_e32 v8, v9, v1
	ds_bpermute_b32 v1, v6, v2
	ds_bpermute_b32 v9, v6, v3
	;; [unrolled: 1-line block ×3, first 2 shown]
	v_lshlrev_b32_e32 v11, 2, v0
	ds_bpermute_b32 v6, v6, v8
	v_cmp_eq_u32_e32 vcc_lo, 7, v7
	s_waitcnt lgkmcnt(3)
	v_add_f32_e32 v0, v2, v1
	s_waitcnt lgkmcnt(1)
	v_dual_add_f32 v1, v3, v9 :: v_dual_add_f32 v2, v5, v10
	s_waitcnt lgkmcnt(0)
	v_add_f32_e32 v3, v8, v6
	ds_bpermute_b32 v5, v11, v0
	ds_bpermute_b32 v6, v11, v1
	;; [unrolled: 1-line block ×4, first 2 shown]
	s_and_b32 exec_lo, exec_lo, vcc_lo
	s_cbranch_execz .LBB31_23
; %bb.19:
	s_load_b64 s[0:1], s[0:1], 0x38
	s_waitcnt lgkmcnt(0)
	v_dual_add_f32 v0, v0, v5 :: v_dual_add_f32 v1, v1, v6
	v_dual_add_f32 v2, v2, v8 :: v_dual_add_f32 v3, v3, v9
	v_cmp_eq_f32_e64 s3, s12, 0
	s_delay_alu instid0(VALU_DEP_3) | instskip(NEXT) | instid1(VALU_DEP_3)
	v_dual_mul_f32 v0, s16, v0 :: v_dual_mul_f32 v1, s16, v1
	v_dual_mul_f32 v2, s16, v2 :: v_dual_mul_f32 v3, s16, v3
	v_lshlrev_b32_e32 v4, 2, v4
	s_delay_alu instid0(VALU_DEP_4)
	s_and_b32 vcc_lo, exec_lo, s3
	s_cbranch_vccz .LBB31_21
; %bb.20:
	s_delay_alu instid0(VALU_DEP_1) | instskip(SKIP_1) | instid1(VALU_DEP_1)
	v_ashrrev_i32_e32 v5, 31, v4
	s_mov_b32 s2, 0
	v_lshlrev_b64 v[5:6], 2, v[4:5]
	s_delay_alu instid0(VALU_DEP_1) | instskip(NEXT) | instid1(VALU_DEP_2)
	v_add_co_u32 v5, vcc_lo, s0, v5
	v_add_co_ci_u32_e32 v6, vcc_lo, s1, v6, vcc_lo
	global_store_b128 v[5:6], v[0:3], off
.LBB31_21:
	s_and_not1_b32 vcc_lo, exec_lo, s2
	s_cbranch_vccnz .LBB31_23
; %bb.22:
	v_ashrrev_i32_e32 v5, 31, v4
	s_delay_alu instid0(VALU_DEP_1) | instskip(NEXT) | instid1(VALU_DEP_1)
	v_lshlrev_b64 v[4:5], 2, v[4:5]
	v_add_co_u32 v8, vcc_lo, s0, v4
	s_delay_alu instid0(VALU_DEP_2)
	v_add_co_ci_u32_e32 v9, vcc_lo, s1, v5, vcc_lo
	global_load_b128 v[4:7], v[8:9], off
	s_waitcnt vmcnt(0)
	v_dual_fmac_f32 v0, s12, v4 :: v_dual_fmac_f32 v1, s12, v5
	v_dual_fmac_f32 v2, s12, v6 :: v_dual_fmac_f32 v3, s12, v7
	global_store_b128 v[8:9], v[0:3], off
.LBB31_23:
	s_nop 0
	s_sendmsg sendmsg(MSG_DEALLOC_VGPRS)
	s_endpgm
	.section	.rodata,"a",@progbits
	.p2align	6, 0x0
	.amdhsa_kernel _ZN9rocsparseL19gebsrmvn_4xn_kernelILj128ELj8ELj8EfEEvi20rocsparse_direction_NS_24const_host_device_scalarIT2_EEPKiS6_PKS3_S8_S4_PS3_21rocsparse_index_base_b
		.amdhsa_group_segment_fixed_size 0
		.amdhsa_private_segment_fixed_size 0
		.amdhsa_kernarg_size 72
		.amdhsa_user_sgpr_count 15
		.amdhsa_user_sgpr_dispatch_ptr 0
		.amdhsa_user_sgpr_queue_ptr 0
		.amdhsa_user_sgpr_kernarg_segment_ptr 1
		.amdhsa_user_sgpr_dispatch_id 0
		.amdhsa_user_sgpr_private_segment_size 0
		.amdhsa_wavefront_size32 1
		.amdhsa_uses_dynamic_stack 0
		.amdhsa_enable_private_segment 0
		.amdhsa_system_sgpr_workgroup_id_x 1
		.amdhsa_system_sgpr_workgroup_id_y 0
		.amdhsa_system_sgpr_workgroup_id_z 0
		.amdhsa_system_sgpr_workgroup_info 0
		.amdhsa_system_vgpr_workitem_id 0
		.amdhsa_next_free_vgpr 53
		.amdhsa_next_free_sgpr 20
		.amdhsa_reserve_vcc 1
		.amdhsa_float_round_mode_32 0
		.amdhsa_float_round_mode_16_64 0
		.amdhsa_float_denorm_mode_32 3
		.amdhsa_float_denorm_mode_16_64 3
		.amdhsa_dx10_clamp 1
		.amdhsa_ieee_mode 1
		.amdhsa_fp16_overflow 0
		.amdhsa_workgroup_processor_mode 1
		.amdhsa_memory_ordered 1
		.amdhsa_forward_progress 0
		.amdhsa_shared_vgpr_count 0
		.amdhsa_exception_fp_ieee_invalid_op 0
		.amdhsa_exception_fp_denorm_src 0
		.amdhsa_exception_fp_ieee_div_zero 0
		.amdhsa_exception_fp_ieee_overflow 0
		.amdhsa_exception_fp_ieee_underflow 0
		.amdhsa_exception_fp_ieee_inexact 0
		.amdhsa_exception_int_div_zero 0
	.end_amdhsa_kernel
	.section	.text._ZN9rocsparseL19gebsrmvn_4xn_kernelILj128ELj8ELj8EfEEvi20rocsparse_direction_NS_24const_host_device_scalarIT2_EEPKiS6_PKS3_S8_S4_PS3_21rocsparse_index_base_b,"axG",@progbits,_ZN9rocsparseL19gebsrmvn_4xn_kernelILj128ELj8ELj8EfEEvi20rocsparse_direction_NS_24const_host_device_scalarIT2_EEPKiS6_PKS3_S8_S4_PS3_21rocsparse_index_base_b,comdat
.Lfunc_end31:
	.size	_ZN9rocsparseL19gebsrmvn_4xn_kernelILj128ELj8ELj8EfEEvi20rocsparse_direction_NS_24const_host_device_scalarIT2_EEPKiS6_PKS3_S8_S4_PS3_21rocsparse_index_base_b, .Lfunc_end31-_ZN9rocsparseL19gebsrmvn_4xn_kernelILj128ELj8ELj8EfEEvi20rocsparse_direction_NS_24const_host_device_scalarIT2_EEPKiS6_PKS3_S8_S4_PS3_21rocsparse_index_base_b
                                        ; -- End function
	.section	.AMDGPU.csdata,"",@progbits
; Kernel info:
; codeLenInByte = 1680
; NumSgprs: 22
; NumVgprs: 53
; ScratchSize: 0
; MemoryBound: 0
; FloatMode: 240
; IeeeMode: 1
; LDSByteSize: 0 bytes/workgroup (compile time only)
; SGPRBlocks: 2
; VGPRBlocks: 6
; NumSGPRsForWavesPerEU: 22
; NumVGPRsForWavesPerEU: 53
; Occupancy: 16
; WaveLimiterHint : 1
; COMPUTE_PGM_RSRC2:SCRATCH_EN: 0
; COMPUTE_PGM_RSRC2:USER_SGPR: 15
; COMPUTE_PGM_RSRC2:TRAP_HANDLER: 0
; COMPUTE_PGM_RSRC2:TGID_X_EN: 1
; COMPUTE_PGM_RSRC2:TGID_Y_EN: 0
; COMPUTE_PGM_RSRC2:TGID_Z_EN: 0
; COMPUTE_PGM_RSRC2:TIDIG_COMP_CNT: 0
	.section	.text._ZN9rocsparseL19gebsrmvn_4xn_kernelILj128ELj8ELj16EfEEvi20rocsparse_direction_NS_24const_host_device_scalarIT2_EEPKiS6_PKS3_S8_S4_PS3_21rocsparse_index_base_b,"axG",@progbits,_ZN9rocsparseL19gebsrmvn_4xn_kernelILj128ELj8ELj16EfEEvi20rocsparse_direction_NS_24const_host_device_scalarIT2_EEPKiS6_PKS3_S8_S4_PS3_21rocsparse_index_base_b,comdat
	.globl	_ZN9rocsparseL19gebsrmvn_4xn_kernelILj128ELj8ELj16EfEEvi20rocsparse_direction_NS_24const_host_device_scalarIT2_EEPKiS6_PKS3_S8_S4_PS3_21rocsparse_index_base_b ; -- Begin function _ZN9rocsparseL19gebsrmvn_4xn_kernelILj128ELj8ELj16EfEEvi20rocsparse_direction_NS_24const_host_device_scalarIT2_EEPKiS6_PKS3_S8_S4_PS3_21rocsparse_index_base_b
	.p2align	8
	.type	_ZN9rocsparseL19gebsrmvn_4xn_kernelILj128ELj8ELj16EfEEvi20rocsparse_direction_NS_24const_host_device_scalarIT2_EEPKiS6_PKS3_S8_S4_PS3_21rocsparse_index_base_b,@function
_ZN9rocsparseL19gebsrmvn_4xn_kernelILj128ELj8ELj16EfEEvi20rocsparse_direction_NS_24const_host_device_scalarIT2_EEPKiS6_PKS3_S8_S4_PS3_21rocsparse_index_base_b: ; @_ZN9rocsparseL19gebsrmvn_4xn_kernelILj128ELj8ELj16EfEEvi20rocsparse_direction_NS_24const_host_device_scalarIT2_EEPKiS6_PKS3_S8_S4_PS3_21rocsparse_index_base_b
; %bb.0:
	s_clause 0x2
	s_load_b64 s[18:19], s[0:1], 0x40
	s_load_b64 s[16:17], s[0:1], 0x8
	;; [unrolled: 1-line block ×3, first 2 shown]
	s_waitcnt lgkmcnt(0)
	s_bitcmp1_b32 s19, 0
	s_cselect_b32 s2, -1, 0
	s_delay_alu instid0(SALU_CYCLE_1)
	s_and_b32 vcc_lo, exec_lo, s2
	s_xor_b32 s2, s2, -1
	s_cbranch_vccnz .LBB32_2
; %bb.1:
	s_load_b32 s16, s[16:17], 0x0
.LBB32_2:
	s_and_not1_b32 vcc_lo, exec_lo, s2
	s_cbranch_vccnz .LBB32_4
; %bb.3:
	s_load_b32 s12, s[12:13], 0x0
.LBB32_4:
	s_waitcnt lgkmcnt(0)
	v_cmp_eq_f32_e64 s2, s16, 0
	v_cmp_eq_f32_e64 s3, s12, 1.0
	s_delay_alu instid0(VALU_DEP_1) | instskip(NEXT) | instid1(SALU_CYCLE_1)
	s_and_b32 s2, s2, s3
	s_and_b32 vcc_lo, exec_lo, s2
	s_cbranch_vccnz .LBB32_23
; %bb.5:
	s_load_b64 s[2:3], s[0:1], 0x0
	v_lshrrev_b32_e32 v1, 4, v0
	s_delay_alu instid0(VALU_DEP_1) | instskip(SKIP_1) | instid1(VALU_DEP_1)
	v_lshl_or_b32 v4, s15, 3, v1
	s_waitcnt lgkmcnt(0)
	v_cmp_gt_i32_e32 vcc_lo, s2, v4
	s_and_saveexec_b32 s2, vcc_lo
	s_cbranch_execz .LBB32_23
; %bb.6:
	s_load_b256 s[4:11], s[0:1], 0x10
	v_ashrrev_i32_e32 v5, 31, v4
	v_and_b32_e32 v7, 15, v0
	s_cmp_lg_u32 s3, 0
	s_delay_alu instid0(VALU_DEP_2) | instskip(SKIP_1) | instid1(VALU_DEP_1)
	v_lshlrev_b64 v[1:2], 2, v[4:5]
	s_waitcnt lgkmcnt(0)
	v_add_co_u32 v1, vcc_lo, s4, v1
	s_delay_alu instid0(VALU_DEP_2) | instskip(SKIP_4) | instid1(VALU_DEP_2)
	v_add_co_ci_u32_e32 v2, vcc_lo, s5, v2, vcc_lo
	global_load_b64 v[1:2], v[1:2], off
	s_waitcnt vmcnt(0)
	v_subrev_nc_u32_e32 v0, s18, v1
	v_subrev_nc_u32_e32 v12, s18, v2
	v_add_nc_u32_e32 v0, v0, v7
	s_delay_alu instid0(VALU_DEP_1)
	v_cmp_lt_i32_e64 s2, v0, v12
	s_cbranch_scc0 .LBB32_12
; %bb.7:
	v_dual_mov_b32 v8, 0 :: v_dual_mov_b32 v9, 0
	v_dual_mov_b32 v10, 0 :: v_dual_mov_b32 v11, 0
	s_mov_b32 s3, 0
	s_and_saveexec_b32 s4, s2
	s_cbranch_execz .LBB32_11
; %bb.8:
	v_dual_mov_b32 v2, 0 :: v_dual_lshlrev_b32 v1, 5, v0
	v_mov_b32_e32 v5, v0
	s_mov_b32 s5, 0
	s_delay_alu instid0(VALU_DEP_2)
	v_mov_b32_e32 v8, v2
	v_mov_b32_e32 v9, v2
	;; [unrolled: 1-line block ×4, first 2 shown]
.LBB32_9:                               ; =>This Inner Loop Header: Depth=1
	v_ashrrev_i32_e32 v6, 31, v5
	s_delay_alu instid0(VALU_DEP_1) | instskip(NEXT) | instid1(VALU_DEP_1)
	v_lshlrev_b64 v[13:14], 2, v[5:6]
	v_add_co_u32 v13, vcc_lo, s6, v13
	s_delay_alu instid0(VALU_DEP_2) | instskip(SKIP_2) | instid1(VALU_DEP_1)
	v_add_co_ci_u32_e32 v14, vcc_lo, s7, v14, vcc_lo
	global_load_b32 v3, v[13:14], off
	v_lshlrev_b64 v[13:14], 2, v[1:2]
	v_add_co_u32 v49, vcc_lo, s8, v13
	s_delay_alu instid0(VALU_DEP_2) | instskip(SKIP_3) | instid1(VALU_DEP_1)
	v_add_co_ci_u32_e32 v50, vcc_lo, s9, v14, vcc_lo
	global_load_b128 v[13:16], v[49:50], off offset:16
	s_waitcnt vmcnt(1)
	v_subrev_nc_u32_e32 v3, s18, v3
	v_dual_mov_b32 v18, v2 :: v_dual_lshlrev_b32 v17, 3, v3
	s_delay_alu instid0(VALU_DEP_1) | instskip(NEXT) | instid1(VALU_DEP_1)
	v_lshlrev_b64 v[17:18], 2, v[17:18]
	v_add_co_u32 v25, vcc_lo, s10, v17
	s_delay_alu instid0(VALU_DEP_2)
	v_add_co_ci_u32_e32 v26, vcc_lo, s11, v18, vcc_lo
	global_load_b128 v[17:20], v[49:50], off
	s_clause 0x1
	global_load_b128 v[21:24], v[25:26], off
	global_load_b128 v[25:28], v[25:26], off offset:16
	s_clause 0x5
	global_load_b128 v[29:32], v[49:50], off offset:32
	global_load_b128 v[33:36], v[49:50], off offset:48
	;; [unrolled: 1-line block ×6, first 2 shown]
	s_waitcnt vmcnt(7)
	v_fmac_f32_e32 v11, v18, v21
	v_fmac_f32_e32 v8, v17, v21
	;; [unrolled: 1-line block ×3, first 2 shown]
	s_delay_alu instid0(VALU_DEP_3) | instskip(NEXT) | instid1(VALU_DEP_3)
	v_dual_fmac_f32 v10, v19, v21 :: v_dual_fmac_f32 v11, v14, v22
	v_fmac_f32_e32 v8, v13, v22
	s_delay_alu instid0(VALU_DEP_3) | instskip(SKIP_1) | instid1(VALU_DEP_3)
	v_fmac_f32_e32 v9, v16, v22
	s_waitcnt vmcnt(5)
	v_dual_fmac_f32 v10, v15, v22 :: v_dual_fmac_f32 v11, v30, v23
	s_delay_alu instid0(VALU_DEP_3) | instskip(NEXT) | instid1(VALU_DEP_3)
	v_fmac_f32_e32 v8, v29, v23
	v_fmac_f32_e32 v9, v32, v23
	s_waitcnt vmcnt(4)
	s_delay_alu instid0(VALU_DEP_3) | instskip(NEXT) | instid1(VALU_DEP_3)
	v_dual_fmac_f32 v10, v31, v23 :: v_dual_fmac_f32 v11, v34, v24
	v_fmac_f32_e32 v8, v33, v24
	s_delay_alu instid0(VALU_DEP_3) | instskip(SKIP_1) | instid1(VALU_DEP_3)
	v_fmac_f32_e32 v9, v36, v24
	s_waitcnt vmcnt(3)
	v_dual_fmac_f32 v10, v35, v24 :: v_dual_fmac_f32 v11, v38, v25
	s_delay_alu instid0(VALU_DEP_3) | instskip(NEXT) | instid1(VALU_DEP_3)
	v_fmac_f32_e32 v8, v37, v25
	v_fmac_f32_e32 v9, v40, v25
	s_waitcnt vmcnt(2)
	s_delay_alu instid0(VALU_DEP_3) | instskip(NEXT) | instid1(VALU_DEP_3)
	v_dual_fmac_f32 v10, v39, v25 :: v_dual_fmac_f32 v11, v42, v26
	v_fmac_f32_e32 v8, v41, v26
	s_delay_alu instid0(VALU_DEP_3) | instskip(NEXT) | instid1(VALU_DEP_3)
	v_fmac_f32_e32 v9, v44, v26
	v_dual_fmac_f32 v10, v43, v26 :: v_dual_add_nc_u32 v5, 16, v5
	s_waitcnt vmcnt(1)
	s_delay_alu instid0(VALU_DEP_3) | instskip(SKIP_1) | instid1(VALU_DEP_3)
	v_dual_fmac_f32 v8, v45, v27 :: v_dual_add_nc_u32 v1, 0x200, v1
	v_fmac_f32_e32 v11, v46, v27
	v_fmac_f32_e32 v10, v47, v27
	;; [unrolled: 1-line block ×3, first 2 shown]
	v_cmp_ge_i32_e32 vcc_lo, v5, v12
	s_waitcnt vmcnt(0)
	v_fmac_f32_e32 v8, v49, v28
	v_fmac_f32_e32 v11, v50, v28
	;; [unrolled: 1-line block ×4, first 2 shown]
	s_or_b32 s5, vcc_lo, s5
	s_delay_alu instid0(SALU_CYCLE_1)
	s_and_not1_b32 exec_lo, exec_lo, s5
	s_cbranch_execnz .LBB32_9
; %bb.10:
	s_or_b32 exec_lo, exec_lo, s5
.LBB32_11:
	s_delay_alu instid0(SALU_CYCLE_1) | instskip(NEXT) | instid1(SALU_CYCLE_1)
	s_or_b32 exec_lo, exec_lo, s4
	s_and_not1_b32 vcc_lo, exec_lo, s3
	s_cbranch_vccz .LBB32_13
	s_branch .LBB32_18
.LBB32_12:
                                        ; implicit-def: $vgpr8
                                        ; implicit-def: $vgpr9
                                        ; implicit-def: $vgpr10
                                        ; implicit-def: $vgpr11
.LBB32_13:
	v_dual_mov_b32 v8, 0 :: v_dual_mov_b32 v9, 0
	v_dual_mov_b32 v10, 0 :: v_dual_mov_b32 v11, 0
	s_delay_alu instid0(VALU_DEP_3)
	s_and_saveexec_b32 s3, s2
	s_cbranch_execz .LBB32_17
; %bb.14:
	v_dual_mov_b32 v3, 0 :: v_dual_lshlrev_b32 v2, 5, v0
	s_mov_b32 s2, 0
	s_delay_alu instid0(VALU_DEP_1)
	v_mov_b32_e32 v8, v3
	v_mov_b32_e32 v9, v3
	;; [unrolled: 1-line block ×4, first 2 shown]
.LBB32_15:                              ; =>This Inner Loop Header: Depth=1
	v_ashrrev_i32_e32 v1, 31, v0
	s_delay_alu instid0(VALU_DEP_1) | instskip(NEXT) | instid1(VALU_DEP_1)
	v_lshlrev_b64 v[5:6], 2, v[0:1]
	v_add_co_u32 v5, vcc_lo, s6, v5
	s_delay_alu instid0(VALU_DEP_2) | instskip(SKIP_3) | instid1(VALU_DEP_2)
	v_add_co_ci_u32_e32 v6, vcc_lo, s7, v6, vcc_lo
	global_load_b32 v1, v[5:6], off
	v_lshlrev_b64 v[5:6], 2, v[2:3]
	v_add_nc_u32_e32 v2, 0x200, v2
	v_add_co_u32 v5, vcc_lo, s8, v5
	s_delay_alu instid0(VALU_DEP_3)
	v_add_co_ci_u32_e32 v6, vcc_lo, s9, v6, vcc_lo
	s_clause 0x6
	global_load_b128 v[13:16], v[5:6], off offset:48
	global_load_b128 v[17:20], v[5:6], off offset:32
	;; [unrolled: 1-line block ×3, first 2 shown]
	global_load_b128 v[25:28], v[5:6], off
	global_load_b128 v[29:32], v[5:6], off offset:80
	global_load_b128 v[33:36], v[5:6], off offset:112
	;; [unrolled: 1-line block ×3, first 2 shown]
	s_waitcnt vmcnt(7)
	v_subrev_nc_u32_e32 v1, s18, v1
	s_delay_alu instid0(VALU_DEP_1) | instskip(NEXT) | instid1(VALU_DEP_1)
	v_dual_mov_b32 v42, v3 :: v_dual_lshlrev_b32 v41, 3, v1
	v_lshlrev_b64 v[41:42], 2, v[41:42]
	s_delay_alu instid0(VALU_DEP_1) | instskip(NEXT) | instid1(VALU_DEP_2)
	v_add_co_u32 v49, vcc_lo, s10, v41
	v_add_co_ci_u32_e32 v50, vcc_lo, s11, v42, vcc_lo
	global_load_b128 v[41:44], v[5:6], off offset:64
	s_clause 0x1
	global_load_b128 v[45:48], v[49:50], off
	global_load_b128 v[49:52], v[49:50], off offset:16
	s_waitcnt vmcnt(1)
	v_fmac_f32_e32 v11, v17, v45
	v_fmac_f32_e32 v8, v25, v45
	;; [unrolled: 1-line block ×3, first 2 shown]
	s_delay_alu instid0(VALU_DEP_3) | instskip(NEXT) | instid1(VALU_DEP_3)
	v_dual_fmac_f32 v10, v41, v45 :: v_dual_fmac_f32 v11, v18, v46
	v_fmac_f32_e32 v8, v26, v46
	s_delay_alu instid0(VALU_DEP_3) | instskip(NEXT) | instid1(VALU_DEP_3)
	v_fmac_f32_e32 v9, v38, v46
	v_dual_fmac_f32 v10, v42, v46 :: v_dual_fmac_f32 v11, v19, v47
	s_delay_alu instid0(VALU_DEP_3) | instskip(NEXT) | instid1(VALU_DEP_3)
	v_fmac_f32_e32 v8, v27, v47
	v_fmac_f32_e32 v9, v39, v47
	s_delay_alu instid0(VALU_DEP_3) | instskip(NEXT) | instid1(VALU_DEP_3)
	v_dual_fmac_f32 v10, v43, v47 :: v_dual_fmac_f32 v11, v20, v48
	v_fmac_f32_e32 v8, v28, v48
	s_delay_alu instid0(VALU_DEP_3) | instskip(SKIP_1) | instid1(VALU_DEP_3)
	v_fmac_f32_e32 v9, v40, v48
	s_waitcnt vmcnt(0)
	v_dual_fmac_f32 v10, v44, v48 :: v_dual_fmac_f32 v11, v13, v49
	s_delay_alu instid0(VALU_DEP_1) | instskip(NEXT) | instid1(VALU_DEP_1)
	v_dual_fmac_f32 v8, v21, v49 :: v_dual_fmac_f32 v11, v14, v50
	v_dual_fmac_f32 v9, v33, v49 :: v_dual_fmac_f32 v8, v22, v50
	s_delay_alu instid0(VALU_DEP_2) | instskip(NEXT) | instid1(VALU_DEP_2)
	v_dual_fmac_f32 v10, v29, v49 :: v_dual_fmac_f32 v11, v15, v51
	v_dual_fmac_f32 v9, v34, v50 :: v_dual_add_nc_u32 v0, 16, v0
	s_delay_alu instid0(VALU_DEP_2) | instskip(NEXT) | instid1(VALU_DEP_3)
	v_fmac_f32_e32 v10, v30, v50
	v_dual_fmac_f32 v8, v23, v51 :: v_dual_fmac_f32 v11, v16, v52
	s_delay_alu instid0(VALU_DEP_3) | instskip(NEXT) | instid1(VALU_DEP_4)
	v_fmac_f32_e32 v9, v35, v51
	v_cmp_ge_i32_e32 vcc_lo, v0, v12
	s_delay_alu instid0(VALU_DEP_4) | instskip(NEXT) | instid1(VALU_DEP_4)
	v_fmac_f32_e32 v10, v31, v51
	v_fmac_f32_e32 v8, v24, v52
	s_delay_alu instid0(VALU_DEP_4) | instskip(SKIP_1) | instid1(VALU_DEP_3)
	v_fmac_f32_e32 v9, v36, v52
	s_or_b32 s2, vcc_lo, s2
	v_fmac_f32_e32 v10, v32, v52
	s_and_not1_b32 exec_lo, exec_lo, s2
	s_cbranch_execnz .LBB32_15
; %bb.16:
	s_or_b32 exec_lo, exec_lo, s2
.LBB32_17:
	s_delay_alu instid0(SALU_CYCLE_1)
	s_or_b32 exec_lo, exec_lo, s3
.LBB32_18:
	v_mbcnt_lo_u32_b32 v0, -1, 0
	s_mov_b32 s2, -1
	s_delay_alu instid0(VALU_DEP_1) | instskip(SKIP_1) | instid1(VALU_DEP_2)
	v_xor_b32_e32 v1, 8, v0
	v_xor_b32_e32 v6, 4, v0
	v_cmp_gt_i32_e32 vcc_lo, 32, v1
	v_cndmask_b32_e32 v1, v0, v1, vcc_lo
	s_delay_alu instid0(VALU_DEP_3) | instskip(SKIP_1) | instid1(VALU_DEP_1)
	v_cmp_gt_i32_e32 vcc_lo, 32, v6
	v_cndmask_b32_e32 v6, v0, v6, vcc_lo
	v_lshlrev_b32_e32 v6, 2, v6
	s_delay_alu instid0(VALU_DEP_4)
	v_lshlrev_b32_e32 v1, 2, v1
	ds_bpermute_b32 v2, v1, v8
	s_waitcnt lgkmcnt(0)
	v_add_f32_e32 v2, v8, v2
	ds_bpermute_b32 v3, v1, v11
	ds_bpermute_b32 v5, v1, v10
	;; [unrolled: 1-line block ×4, first 2 shown]
	s_waitcnt lgkmcnt(3)
	v_add_f32_e32 v3, v11, v3
	v_xor_b32_e32 v11, 2, v0
	s_waitcnt lgkmcnt(0)
	v_dual_add_f32 v1, v9, v1 :: v_dual_add_f32 v2, v2, v8
	v_add_f32_e32 v5, v10, v5
	ds_bpermute_b32 v9, v6, v3
	v_cmp_gt_i32_e32 vcc_lo, 32, v11
	ds_bpermute_b32 v10, v6, v5
	ds_bpermute_b32 v6, v6, v1
	v_cndmask_b32_e32 v11, v0, v11, vcc_lo
	s_waitcnt lgkmcnt(0)
	v_dual_add_f32 v3, v3, v9 :: v_dual_add_f32 v6, v1, v6
	v_add_f32_e32 v5, v5, v10
	s_delay_alu instid0(VALU_DEP_3)
	v_lshlrev_b32_e32 v11, 2, v11
	ds_bpermute_b32 v1, v11, v2
	ds_bpermute_b32 v8, v11, v3
	;; [unrolled: 1-line block ×4, first 2 shown]
	v_xor_b32_e32 v11, 1, v0
	s_delay_alu instid0(VALU_DEP_1) | instskip(SKIP_3) | instid1(VALU_DEP_2)
	v_cmp_gt_i32_e32 vcc_lo, 32, v11
	v_cndmask_b32_e32 v0, v0, v11, vcc_lo
	v_cmp_eq_u32_e32 vcc_lo, 15, v7
	s_waitcnt lgkmcnt(3)
	v_dual_add_f32 v0, v2, v1 :: v_dual_lshlrev_b32 v11, 2, v0
	s_waitcnt lgkmcnt(1)
	v_dual_add_f32 v1, v3, v8 :: v_dual_add_f32 v2, v5, v9
	s_waitcnt lgkmcnt(0)
	v_add_f32_e32 v3, v6, v10
	ds_bpermute_b32 v5, v11, v0
	ds_bpermute_b32 v6, v11, v1
	ds_bpermute_b32 v8, v11, v2
	ds_bpermute_b32 v9, v11, v3
	s_and_b32 exec_lo, exec_lo, vcc_lo
	s_cbranch_execz .LBB32_23
; %bb.19:
	s_load_b64 s[0:1], s[0:1], 0x38
	s_waitcnt lgkmcnt(0)
	v_dual_add_f32 v0, v0, v5 :: v_dual_add_f32 v1, v1, v6
	v_dual_add_f32 v2, v2, v8 :: v_dual_add_f32 v3, v3, v9
	v_cmp_eq_f32_e64 s3, s12, 0
	s_delay_alu instid0(VALU_DEP_3) | instskip(NEXT) | instid1(VALU_DEP_3)
	v_dual_mul_f32 v0, s16, v0 :: v_dual_mul_f32 v1, s16, v1
	v_dual_mul_f32 v2, s16, v2 :: v_dual_mul_f32 v3, s16, v3
	v_lshlrev_b32_e32 v4, 2, v4
	s_delay_alu instid0(VALU_DEP_4)
	s_and_b32 vcc_lo, exec_lo, s3
	s_cbranch_vccz .LBB32_21
; %bb.20:
	s_delay_alu instid0(VALU_DEP_1) | instskip(SKIP_1) | instid1(VALU_DEP_1)
	v_ashrrev_i32_e32 v5, 31, v4
	s_mov_b32 s2, 0
	v_lshlrev_b64 v[5:6], 2, v[4:5]
	s_delay_alu instid0(VALU_DEP_1) | instskip(NEXT) | instid1(VALU_DEP_2)
	v_add_co_u32 v5, vcc_lo, s0, v5
	v_add_co_ci_u32_e32 v6, vcc_lo, s1, v6, vcc_lo
	global_store_b128 v[5:6], v[0:3], off
.LBB32_21:
	s_and_not1_b32 vcc_lo, exec_lo, s2
	s_cbranch_vccnz .LBB32_23
; %bb.22:
	v_ashrrev_i32_e32 v5, 31, v4
	s_delay_alu instid0(VALU_DEP_1) | instskip(NEXT) | instid1(VALU_DEP_1)
	v_lshlrev_b64 v[4:5], 2, v[4:5]
	v_add_co_u32 v8, vcc_lo, s0, v4
	s_delay_alu instid0(VALU_DEP_2)
	v_add_co_ci_u32_e32 v9, vcc_lo, s1, v5, vcc_lo
	global_load_b128 v[4:7], v[8:9], off
	s_waitcnt vmcnt(0)
	v_dual_fmac_f32 v0, s12, v4 :: v_dual_fmac_f32 v1, s12, v5
	v_dual_fmac_f32 v2, s12, v6 :: v_dual_fmac_f32 v3, s12, v7
	global_store_b128 v[8:9], v[0:3], off
.LBB32_23:
	s_nop 0
	s_sendmsg sendmsg(MSG_DEALLOC_VGPRS)
	s_endpgm
	.section	.rodata,"a",@progbits
	.p2align	6, 0x0
	.amdhsa_kernel _ZN9rocsparseL19gebsrmvn_4xn_kernelILj128ELj8ELj16EfEEvi20rocsparse_direction_NS_24const_host_device_scalarIT2_EEPKiS6_PKS3_S8_S4_PS3_21rocsparse_index_base_b
		.amdhsa_group_segment_fixed_size 0
		.amdhsa_private_segment_fixed_size 0
		.amdhsa_kernarg_size 72
		.amdhsa_user_sgpr_count 15
		.amdhsa_user_sgpr_dispatch_ptr 0
		.amdhsa_user_sgpr_queue_ptr 0
		.amdhsa_user_sgpr_kernarg_segment_ptr 1
		.amdhsa_user_sgpr_dispatch_id 0
		.amdhsa_user_sgpr_private_segment_size 0
		.amdhsa_wavefront_size32 1
		.amdhsa_uses_dynamic_stack 0
		.amdhsa_enable_private_segment 0
		.amdhsa_system_sgpr_workgroup_id_x 1
		.amdhsa_system_sgpr_workgroup_id_y 0
		.amdhsa_system_sgpr_workgroup_id_z 0
		.amdhsa_system_sgpr_workgroup_info 0
		.amdhsa_system_vgpr_workitem_id 0
		.amdhsa_next_free_vgpr 53
		.amdhsa_next_free_sgpr 20
		.amdhsa_reserve_vcc 1
		.amdhsa_float_round_mode_32 0
		.amdhsa_float_round_mode_16_64 0
		.amdhsa_float_denorm_mode_32 3
		.amdhsa_float_denorm_mode_16_64 3
		.amdhsa_dx10_clamp 1
		.amdhsa_ieee_mode 1
		.amdhsa_fp16_overflow 0
		.amdhsa_workgroup_processor_mode 1
		.amdhsa_memory_ordered 1
		.amdhsa_forward_progress 0
		.amdhsa_shared_vgpr_count 0
		.amdhsa_exception_fp_ieee_invalid_op 0
		.amdhsa_exception_fp_denorm_src 0
		.amdhsa_exception_fp_ieee_div_zero 0
		.amdhsa_exception_fp_ieee_overflow 0
		.amdhsa_exception_fp_ieee_underflow 0
		.amdhsa_exception_fp_ieee_inexact 0
		.amdhsa_exception_int_div_zero 0
	.end_amdhsa_kernel
	.section	.text._ZN9rocsparseL19gebsrmvn_4xn_kernelILj128ELj8ELj16EfEEvi20rocsparse_direction_NS_24const_host_device_scalarIT2_EEPKiS6_PKS3_S8_S4_PS3_21rocsparse_index_base_b,"axG",@progbits,_ZN9rocsparseL19gebsrmvn_4xn_kernelILj128ELj8ELj16EfEEvi20rocsparse_direction_NS_24const_host_device_scalarIT2_EEPKiS6_PKS3_S8_S4_PS3_21rocsparse_index_base_b,comdat
.Lfunc_end32:
	.size	_ZN9rocsparseL19gebsrmvn_4xn_kernelILj128ELj8ELj16EfEEvi20rocsparse_direction_NS_24const_host_device_scalarIT2_EEPKiS6_PKS3_S8_S4_PS3_21rocsparse_index_base_b, .Lfunc_end32-_ZN9rocsparseL19gebsrmvn_4xn_kernelILj128ELj8ELj16EfEEvi20rocsparse_direction_NS_24const_host_device_scalarIT2_EEPKiS6_PKS3_S8_S4_PS3_21rocsparse_index_base_b
                                        ; -- End function
	.section	.AMDGPU.csdata,"",@progbits
; Kernel info:
; codeLenInByte = 1748
; NumSgprs: 22
; NumVgprs: 53
; ScratchSize: 0
; MemoryBound: 0
; FloatMode: 240
; IeeeMode: 1
; LDSByteSize: 0 bytes/workgroup (compile time only)
; SGPRBlocks: 2
; VGPRBlocks: 6
; NumSGPRsForWavesPerEU: 22
; NumVGPRsForWavesPerEU: 53
; Occupancy: 16
; WaveLimiterHint : 1
; COMPUTE_PGM_RSRC2:SCRATCH_EN: 0
; COMPUTE_PGM_RSRC2:USER_SGPR: 15
; COMPUTE_PGM_RSRC2:TRAP_HANDLER: 0
; COMPUTE_PGM_RSRC2:TGID_X_EN: 1
; COMPUTE_PGM_RSRC2:TGID_Y_EN: 0
; COMPUTE_PGM_RSRC2:TGID_Z_EN: 0
; COMPUTE_PGM_RSRC2:TIDIG_COMP_CNT: 0
	.section	.text._ZN9rocsparseL19gebsrmvn_4xn_kernelILj128ELj8ELj32EfEEvi20rocsparse_direction_NS_24const_host_device_scalarIT2_EEPKiS6_PKS3_S8_S4_PS3_21rocsparse_index_base_b,"axG",@progbits,_ZN9rocsparseL19gebsrmvn_4xn_kernelILj128ELj8ELj32EfEEvi20rocsparse_direction_NS_24const_host_device_scalarIT2_EEPKiS6_PKS3_S8_S4_PS3_21rocsparse_index_base_b,comdat
	.globl	_ZN9rocsparseL19gebsrmvn_4xn_kernelILj128ELj8ELj32EfEEvi20rocsparse_direction_NS_24const_host_device_scalarIT2_EEPKiS6_PKS3_S8_S4_PS3_21rocsparse_index_base_b ; -- Begin function _ZN9rocsparseL19gebsrmvn_4xn_kernelILj128ELj8ELj32EfEEvi20rocsparse_direction_NS_24const_host_device_scalarIT2_EEPKiS6_PKS3_S8_S4_PS3_21rocsparse_index_base_b
	.p2align	8
	.type	_ZN9rocsparseL19gebsrmvn_4xn_kernelILj128ELj8ELj32EfEEvi20rocsparse_direction_NS_24const_host_device_scalarIT2_EEPKiS6_PKS3_S8_S4_PS3_21rocsparse_index_base_b,@function
_ZN9rocsparseL19gebsrmvn_4xn_kernelILj128ELj8ELj32EfEEvi20rocsparse_direction_NS_24const_host_device_scalarIT2_EEPKiS6_PKS3_S8_S4_PS3_21rocsparse_index_base_b: ; @_ZN9rocsparseL19gebsrmvn_4xn_kernelILj128ELj8ELj32EfEEvi20rocsparse_direction_NS_24const_host_device_scalarIT2_EEPKiS6_PKS3_S8_S4_PS3_21rocsparse_index_base_b
; %bb.0:
	s_clause 0x2
	s_load_b64 s[18:19], s[0:1], 0x40
	s_load_b64 s[16:17], s[0:1], 0x8
	;; [unrolled: 1-line block ×3, first 2 shown]
	s_waitcnt lgkmcnt(0)
	s_bitcmp1_b32 s19, 0
	s_cselect_b32 s2, -1, 0
	s_delay_alu instid0(SALU_CYCLE_1)
	s_and_b32 vcc_lo, exec_lo, s2
	s_xor_b32 s2, s2, -1
	s_cbranch_vccnz .LBB33_2
; %bb.1:
	s_load_b32 s16, s[16:17], 0x0
.LBB33_2:
	s_and_not1_b32 vcc_lo, exec_lo, s2
	s_cbranch_vccnz .LBB33_4
; %bb.3:
	s_load_b32 s12, s[12:13], 0x0
.LBB33_4:
	s_waitcnt lgkmcnt(0)
	v_cmp_eq_f32_e64 s2, s16, 0
	v_cmp_eq_f32_e64 s3, s12, 1.0
	s_delay_alu instid0(VALU_DEP_1) | instskip(NEXT) | instid1(SALU_CYCLE_1)
	s_and_b32 s2, s2, s3
	s_and_b32 vcc_lo, exec_lo, s2
	s_cbranch_vccnz .LBB33_23
; %bb.5:
	s_load_b64 s[2:3], s[0:1], 0x0
	v_lshrrev_b32_e32 v1, 5, v0
	s_delay_alu instid0(VALU_DEP_1) | instskip(SKIP_1) | instid1(VALU_DEP_1)
	v_lshl_or_b32 v4, s15, 2, v1
	s_waitcnt lgkmcnt(0)
	v_cmp_gt_i32_e32 vcc_lo, s2, v4
	s_and_saveexec_b32 s2, vcc_lo
	s_cbranch_execz .LBB33_23
; %bb.6:
	s_load_b256 s[4:11], s[0:1], 0x10
	v_ashrrev_i32_e32 v5, 31, v4
	v_and_b32_e32 v7, 31, v0
	s_cmp_lg_u32 s3, 0
	s_delay_alu instid0(VALU_DEP_2) | instskip(SKIP_1) | instid1(VALU_DEP_1)
	v_lshlrev_b64 v[1:2], 2, v[4:5]
	s_waitcnt lgkmcnt(0)
	v_add_co_u32 v1, vcc_lo, s4, v1
	s_delay_alu instid0(VALU_DEP_2) | instskip(SKIP_4) | instid1(VALU_DEP_2)
	v_add_co_ci_u32_e32 v2, vcc_lo, s5, v2, vcc_lo
	global_load_b64 v[1:2], v[1:2], off
	s_waitcnt vmcnt(0)
	v_subrev_nc_u32_e32 v0, s18, v1
	v_subrev_nc_u32_e32 v12, s18, v2
	v_add_nc_u32_e32 v0, v0, v7
	s_delay_alu instid0(VALU_DEP_1)
	v_cmp_lt_i32_e64 s2, v0, v12
	s_cbranch_scc0 .LBB33_12
; %bb.7:
	v_dual_mov_b32 v8, 0 :: v_dual_mov_b32 v9, 0
	v_dual_mov_b32 v10, 0 :: v_dual_mov_b32 v11, 0
	s_mov_b32 s3, 0
	s_and_saveexec_b32 s4, s2
	s_cbranch_execz .LBB33_11
; %bb.8:
	v_dual_mov_b32 v2, 0 :: v_dual_lshlrev_b32 v1, 5, v0
	v_mov_b32_e32 v5, v0
	s_mov_b32 s5, 0
	s_delay_alu instid0(VALU_DEP_2)
	v_mov_b32_e32 v8, v2
	v_mov_b32_e32 v9, v2
	;; [unrolled: 1-line block ×4, first 2 shown]
.LBB33_9:                               ; =>This Inner Loop Header: Depth=1
	v_ashrrev_i32_e32 v6, 31, v5
	s_delay_alu instid0(VALU_DEP_1) | instskip(NEXT) | instid1(VALU_DEP_1)
	v_lshlrev_b64 v[13:14], 2, v[5:6]
	v_add_co_u32 v13, vcc_lo, s6, v13
	s_delay_alu instid0(VALU_DEP_2) | instskip(SKIP_2) | instid1(VALU_DEP_1)
	v_add_co_ci_u32_e32 v14, vcc_lo, s7, v14, vcc_lo
	global_load_b32 v3, v[13:14], off
	v_lshlrev_b64 v[13:14], 2, v[1:2]
	v_add_co_u32 v49, vcc_lo, s8, v13
	s_delay_alu instid0(VALU_DEP_2) | instskip(SKIP_3) | instid1(VALU_DEP_1)
	v_add_co_ci_u32_e32 v50, vcc_lo, s9, v14, vcc_lo
	global_load_b128 v[13:16], v[49:50], off offset:16
	s_waitcnt vmcnt(1)
	v_subrev_nc_u32_e32 v3, s18, v3
	v_dual_mov_b32 v18, v2 :: v_dual_lshlrev_b32 v17, 3, v3
	s_delay_alu instid0(VALU_DEP_1) | instskip(NEXT) | instid1(VALU_DEP_1)
	v_lshlrev_b64 v[17:18], 2, v[17:18]
	v_add_co_u32 v25, vcc_lo, s10, v17
	s_delay_alu instid0(VALU_DEP_2)
	v_add_co_ci_u32_e32 v26, vcc_lo, s11, v18, vcc_lo
	global_load_b128 v[17:20], v[49:50], off
	s_clause 0x1
	global_load_b128 v[21:24], v[25:26], off
	global_load_b128 v[25:28], v[25:26], off offset:16
	s_clause 0x5
	global_load_b128 v[29:32], v[49:50], off offset:32
	global_load_b128 v[33:36], v[49:50], off offset:48
	;; [unrolled: 1-line block ×6, first 2 shown]
	s_waitcnt vmcnt(7)
	v_fmac_f32_e32 v11, v18, v21
	v_fmac_f32_e32 v8, v17, v21
	;; [unrolled: 1-line block ×3, first 2 shown]
	s_delay_alu instid0(VALU_DEP_3) | instskip(NEXT) | instid1(VALU_DEP_3)
	v_dual_fmac_f32 v10, v19, v21 :: v_dual_fmac_f32 v11, v14, v22
	v_fmac_f32_e32 v8, v13, v22
	s_delay_alu instid0(VALU_DEP_3) | instskip(SKIP_1) | instid1(VALU_DEP_3)
	v_fmac_f32_e32 v9, v16, v22
	s_waitcnt vmcnt(5)
	v_dual_fmac_f32 v10, v15, v22 :: v_dual_fmac_f32 v11, v30, v23
	s_delay_alu instid0(VALU_DEP_3) | instskip(NEXT) | instid1(VALU_DEP_3)
	v_fmac_f32_e32 v8, v29, v23
	v_fmac_f32_e32 v9, v32, v23
	s_waitcnt vmcnt(4)
	s_delay_alu instid0(VALU_DEP_3) | instskip(NEXT) | instid1(VALU_DEP_3)
	v_dual_fmac_f32 v10, v31, v23 :: v_dual_fmac_f32 v11, v34, v24
	v_fmac_f32_e32 v8, v33, v24
	s_delay_alu instid0(VALU_DEP_3) | instskip(SKIP_1) | instid1(VALU_DEP_3)
	v_fmac_f32_e32 v9, v36, v24
	s_waitcnt vmcnt(3)
	v_dual_fmac_f32 v10, v35, v24 :: v_dual_fmac_f32 v11, v38, v25
	s_delay_alu instid0(VALU_DEP_3) | instskip(NEXT) | instid1(VALU_DEP_3)
	v_fmac_f32_e32 v8, v37, v25
	v_fmac_f32_e32 v9, v40, v25
	s_waitcnt vmcnt(2)
	s_delay_alu instid0(VALU_DEP_3) | instskip(NEXT) | instid1(VALU_DEP_3)
	v_dual_fmac_f32 v10, v39, v25 :: v_dual_fmac_f32 v11, v42, v26
	v_fmac_f32_e32 v8, v41, v26
	s_delay_alu instid0(VALU_DEP_3) | instskip(NEXT) | instid1(VALU_DEP_3)
	v_fmac_f32_e32 v9, v44, v26
	v_dual_fmac_f32 v10, v43, v26 :: v_dual_add_nc_u32 v5, 32, v5
	s_waitcnt vmcnt(1)
	s_delay_alu instid0(VALU_DEP_3) | instskip(SKIP_1) | instid1(VALU_DEP_3)
	v_dual_fmac_f32 v8, v45, v27 :: v_dual_add_nc_u32 v1, 0x400, v1
	v_fmac_f32_e32 v11, v46, v27
	v_fmac_f32_e32 v10, v47, v27
	;; [unrolled: 1-line block ×3, first 2 shown]
	v_cmp_ge_i32_e32 vcc_lo, v5, v12
	s_waitcnt vmcnt(0)
	v_fmac_f32_e32 v8, v49, v28
	v_fmac_f32_e32 v11, v50, v28
	;; [unrolled: 1-line block ×4, first 2 shown]
	s_or_b32 s5, vcc_lo, s5
	s_delay_alu instid0(SALU_CYCLE_1)
	s_and_not1_b32 exec_lo, exec_lo, s5
	s_cbranch_execnz .LBB33_9
; %bb.10:
	s_or_b32 exec_lo, exec_lo, s5
.LBB33_11:
	s_delay_alu instid0(SALU_CYCLE_1) | instskip(NEXT) | instid1(SALU_CYCLE_1)
	s_or_b32 exec_lo, exec_lo, s4
	s_and_not1_b32 vcc_lo, exec_lo, s3
	s_cbranch_vccz .LBB33_13
	s_branch .LBB33_18
.LBB33_12:
                                        ; implicit-def: $vgpr8
                                        ; implicit-def: $vgpr9
                                        ; implicit-def: $vgpr10
                                        ; implicit-def: $vgpr11
.LBB33_13:
	v_dual_mov_b32 v8, 0 :: v_dual_mov_b32 v9, 0
	v_dual_mov_b32 v10, 0 :: v_dual_mov_b32 v11, 0
	s_delay_alu instid0(VALU_DEP_3)
	s_and_saveexec_b32 s3, s2
	s_cbranch_execz .LBB33_17
; %bb.14:
	v_dual_mov_b32 v3, 0 :: v_dual_lshlrev_b32 v2, 5, v0
	s_mov_b32 s2, 0
	s_delay_alu instid0(VALU_DEP_1)
	v_mov_b32_e32 v8, v3
	v_mov_b32_e32 v9, v3
	;; [unrolled: 1-line block ×4, first 2 shown]
.LBB33_15:                              ; =>This Inner Loop Header: Depth=1
	v_ashrrev_i32_e32 v1, 31, v0
	s_delay_alu instid0(VALU_DEP_1) | instskip(NEXT) | instid1(VALU_DEP_1)
	v_lshlrev_b64 v[5:6], 2, v[0:1]
	v_add_co_u32 v5, vcc_lo, s6, v5
	s_delay_alu instid0(VALU_DEP_2) | instskip(SKIP_3) | instid1(VALU_DEP_2)
	v_add_co_ci_u32_e32 v6, vcc_lo, s7, v6, vcc_lo
	global_load_b32 v1, v[5:6], off
	v_lshlrev_b64 v[5:6], 2, v[2:3]
	v_add_nc_u32_e32 v2, 0x400, v2
	v_add_co_u32 v5, vcc_lo, s8, v5
	s_delay_alu instid0(VALU_DEP_3)
	v_add_co_ci_u32_e32 v6, vcc_lo, s9, v6, vcc_lo
	s_clause 0x6
	global_load_b128 v[13:16], v[5:6], off offset:48
	global_load_b128 v[17:20], v[5:6], off offset:32
	;; [unrolled: 1-line block ×3, first 2 shown]
	global_load_b128 v[25:28], v[5:6], off
	global_load_b128 v[29:32], v[5:6], off offset:80
	global_load_b128 v[33:36], v[5:6], off offset:112
	;; [unrolled: 1-line block ×3, first 2 shown]
	s_waitcnt vmcnt(7)
	v_subrev_nc_u32_e32 v1, s18, v1
	s_delay_alu instid0(VALU_DEP_1) | instskip(NEXT) | instid1(VALU_DEP_1)
	v_dual_mov_b32 v42, v3 :: v_dual_lshlrev_b32 v41, 3, v1
	v_lshlrev_b64 v[41:42], 2, v[41:42]
	s_delay_alu instid0(VALU_DEP_1) | instskip(NEXT) | instid1(VALU_DEP_2)
	v_add_co_u32 v49, vcc_lo, s10, v41
	v_add_co_ci_u32_e32 v50, vcc_lo, s11, v42, vcc_lo
	global_load_b128 v[41:44], v[5:6], off offset:64
	s_clause 0x1
	global_load_b128 v[45:48], v[49:50], off
	global_load_b128 v[49:52], v[49:50], off offset:16
	s_waitcnt vmcnt(1)
	v_fmac_f32_e32 v11, v17, v45
	v_fmac_f32_e32 v8, v25, v45
	;; [unrolled: 1-line block ×3, first 2 shown]
	s_delay_alu instid0(VALU_DEP_3) | instskip(NEXT) | instid1(VALU_DEP_3)
	v_dual_fmac_f32 v10, v41, v45 :: v_dual_fmac_f32 v11, v18, v46
	v_fmac_f32_e32 v8, v26, v46
	s_delay_alu instid0(VALU_DEP_3) | instskip(NEXT) | instid1(VALU_DEP_3)
	v_fmac_f32_e32 v9, v38, v46
	v_dual_fmac_f32 v10, v42, v46 :: v_dual_fmac_f32 v11, v19, v47
	s_delay_alu instid0(VALU_DEP_3) | instskip(NEXT) | instid1(VALU_DEP_3)
	v_fmac_f32_e32 v8, v27, v47
	v_fmac_f32_e32 v9, v39, v47
	s_delay_alu instid0(VALU_DEP_3) | instskip(NEXT) | instid1(VALU_DEP_3)
	v_dual_fmac_f32 v10, v43, v47 :: v_dual_fmac_f32 v11, v20, v48
	v_fmac_f32_e32 v8, v28, v48
	s_delay_alu instid0(VALU_DEP_3) | instskip(SKIP_1) | instid1(VALU_DEP_3)
	v_fmac_f32_e32 v9, v40, v48
	s_waitcnt vmcnt(0)
	v_dual_fmac_f32 v10, v44, v48 :: v_dual_fmac_f32 v11, v13, v49
	s_delay_alu instid0(VALU_DEP_1) | instskip(NEXT) | instid1(VALU_DEP_1)
	v_dual_fmac_f32 v8, v21, v49 :: v_dual_fmac_f32 v11, v14, v50
	v_dual_fmac_f32 v9, v33, v49 :: v_dual_fmac_f32 v8, v22, v50
	s_delay_alu instid0(VALU_DEP_2) | instskip(NEXT) | instid1(VALU_DEP_2)
	v_dual_fmac_f32 v10, v29, v49 :: v_dual_fmac_f32 v11, v15, v51
	v_dual_fmac_f32 v9, v34, v50 :: v_dual_add_nc_u32 v0, 32, v0
	s_delay_alu instid0(VALU_DEP_2) | instskip(NEXT) | instid1(VALU_DEP_3)
	v_fmac_f32_e32 v10, v30, v50
	v_dual_fmac_f32 v8, v23, v51 :: v_dual_fmac_f32 v11, v16, v52
	s_delay_alu instid0(VALU_DEP_3) | instskip(NEXT) | instid1(VALU_DEP_4)
	v_fmac_f32_e32 v9, v35, v51
	v_cmp_ge_i32_e32 vcc_lo, v0, v12
	s_delay_alu instid0(VALU_DEP_4) | instskip(NEXT) | instid1(VALU_DEP_4)
	v_fmac_f32_e32 v10, v31, v51
	v_fmac_f32_e32 v8, v24, v52
	s_delay_alu instid0(VALU_DEP_4) | instskip(SKIP_1) | instid1(VALU_DEP_3)
	v_fmac_f32_e32 v9, v36, v52
	s_or_b32 s2, vcc_lo, s2
	v_fmac_f32_e32 v10, v32, v52
	s_and_not1_b32 exec_lo, exec_lo, s2
	s_cbranch_execnz .LBB33_15
; %bb.16:
	s_or_b32 exec_lo, exec_lo, s2
.LBB33_17:
	s_delay_alu instid0(SALU_CYCLE_1)
	s_or_b32 exec_lo, exec_lo, s3
.LBB33_18:
	v_mbcnt_lo_u32_b32 v0, -1, 0
	s_mov_b32 s2, -1
	s_delay_alu instid0(VALU_DEP_1) | instskip(SKIP_1) | instid1(VALU_DEP_2)
	v_xor_b32_e32 v1, 16, v0
	v_xor_b32_e32 v6, 8, v0
	v_cmp_gt_i32_e32 vcc_lo, 32, v1
	v_cndmask_b32_e32 v1, v0, v1, vcc_lo
	s_delay_alu instid0(VALU_DEP_3) | instskip(SKIP_1) | instid1(VALU_DEP_1)
	v_cmp_gt_i32_e32 vcc_lo, 32, v6
	v_cndmask_b32_e32 v6, v0, v6, vcc_lo
	v_lshlrev_b32_e32 v6, 2, v6
	s_delay_alu instid0(VALU_DEP_4)
	v_lshlrev_b32_e32 v1, 2, v1
	ds_bpermute_b32 v2, v1, v8
	s_waitcnt lgkmcnt(0)
	v_add_f32_e32 v2, v8, v2
	ds_bpermute_b32 v5, v1, v10
	ds_bpermute_b32 v3, v1, v11
	;; [unrolled: 1-line block ×4, first 2 shown]
	s_waitcnt lgkmcnt(3)
	v_add_f32_e32 v5, v10, v5
	s_waitcnt lgkmcnt(2)
	v_add_f32_e32 v3, v11, v3
	;; [unrolled: 2-line block ×3, first 2 shown]
	v_xor_b32_e32 v11, 4, v0
	s_waitcnt lgkmcnt(0)
	v_add_f32_e32 v2, v2, v8
	ds_bpermute_b32 v10, v6, v5
	ds_bpermute_b32 v9, v6, v3
	;; [unrolled: 1-line block ×3, first 2 shown]
	v_cmp_gt_i32_e32 vcc_lo, 32, v11
	v_cndmask_b32_e32 v11, v0, v11, vcc_lo
	s_delay_alu instid0(VALU_DEP_1)
	v_lshlrev_b32_e32 v11, 2, v11
	s_waitcnt lgkmcnt(2)
	v_add_f32_e32 v5, v5, v10
	s_waitcnt lgkmcnt(1)
	v_add_f32_e32 v3, v3, v9
	;; [unrolled: 2-line block ×3, first 2 shown]
	ds_bpermute_b32 v6, v11, v2
	ds_bpermute_b32 v9, v11, v5
	;; [unrolled: 1-line block ×4, first 2 shown]
	v_xor_b32_e32 v11, 2, v0
	s_delay_alu instid0(VALU_DEP_1)
	v_cmp_gt_i32_e32 vcc_lo, 32, v11
	s_waitcnt lgkmcnt(2)
	v_dual_add_f32 v2, v2, v6 :: v_dual_add_f32 v5, v5, v9
	v_cndmask_b32_e32 v11, v0, v11, vcc_lo
	s_waitcnt lgkmcnt(0)
	v_dual_add_f32 v3, v3, v8 :: v_dual_add_f32 v6, v1, v10
	s_delay_alu instid0(VALU_DEP_2)
	v_lshlrev_b32_e32 v11, 2, v11
	ds_bpermute_b32 v1, v11, v2
	ds_bpermute_b32 v8, v11, v3
	;; [unrolled: 1-line block ×4, first 2 shown]
	v_xor_b32_e32 v11, 1, v0
	s_delay_alu instid0(VALU_DEP_1) | instskip(SKIP_3) | instid1(VALU_DEP_2)
	v_cmp_gt_i32_e32 vcc_lo, 32, v11
	v_cndmask_b32_e32 v0, v0, v11, vcc_lo
	v_cmp_eq_u32_e32 vcc_lo, 31, v7
	s_waitcnt lgkmcnt(3)
	v_dual_add_f32 v0, v2, v1 :: v_dual_lshlrev_b32 v11, 2, v0
	s_waitcnt lgkmcnt(1)
	v_dual_add_f32 v1, v3, v8 :: v_dual_add_f32 v2, v5, v9
	s_waitcnt lgkmcnt(0)
	v_add_f32_e32 v3, v6, v10
	ds_bpermute_b32 v5, v11, v0
	ds_bpermute_b32 v6, v11, v1
	ds_bpermute_b32 v8, v11, v2
	ds_bpermute_b32 v9, v11, v3
	s_and_b32 exec_lo, exec_lo, vcc_lo
	s_cbranch_execz .LBB33_23
; %bb.19:
	s_load_b64 s[0:1], s[0:1], 0x38
	s_waitcnt lgkmcnt(0)
	v_dual_add_f32 v0, v0, v5 :: v_dual_add_f32 v1, v1, v6
	v_dual_add_f32 v2, v2, v8 :: v_dual_add_f32 v3, v3, v9
	v_cmp_eq_f32_e64 s3, s12, 0
	s_delay_alu instid0(VALU_DEP_3) | instskip(NEXT) | instid1(VALU_DEP_3)
	v_dual_mul_f32 v0, s16, v0 :: v_dual_mul_f32 v1, s16, v1
	v_dual_mul_f32 v2, s16, v2 :: v_dual_mul_f32 v3, s16, v3
	v_lshlrev_b32_e32 v4, 2, v4
	s_delay_alu instid0(VALU_DEP_4)
	s_and_b32 vcc_lo, exec_lo, s3
	s_cbranch_vccz .LBB33_21
; %bb.20:
	s_delay_alu instid0(VALU_DEP_1) | instskip(SKIP_1) | instid1(VALU_DEP_1)
	v_ashrrev_i32_e32 v5, 31, v4
	s_mov_b32 s2, 0
	v_lshlrev_b64 v[5:6], 2, v[4:5]
	s_delay_alu instid0(VALU_DEP_1) | instskip(NEXT) | instid1(VALU_DEP_2)
	v_add_co_u32 v5, vcc_lo, s0, v5
	v_add_co_ci_u32_e32 v6, vcc_lo, s1, v6, vcc_lo
	global_store_b128 v[5:6], v[0:3], off
.LBB33_21:
	s_and_not1_b32 vcc_lo, exec_lo, s2
	s_cbranch_vccnz .LBB33_23
; %bb.22:
	v_ashrrev_i32_e32 v5, 31, v4
	s_delay_alu instid0(VALU_DEP_1) | instskip(NEXT) | instid1(VALU_DEP_1)
	v_lshlrev_b64 v[4:5], 2, v[4:5]
	v_add_co_u32 v8, vcc_lo, s0, v4
	s_delay_alu instid0(VALU_DEP_2)
	v_add_co_ci_u32_e32 v9, vcc_lo, s1, v5, vcc_lo
	global_load_b128 v[4:7], v[8:9], off
	s_waitcnt vmcnt(0)
	v_dual_fmac_f32 v0, s12, v4 :: v_dual_fmac_f32 v1, s12, v5
	v_dual_fmac_f32 v2, s12, v6 :: v_dual_fmac_f32 v3, s12, v7
	global_store_b128 v[8:9], v[0:3], off
.LBB33_23:
	s_nop 0
	s_sendmsg sendmsg(MSG_DEALLOC_VGPRS)
	s_endpgm
	.section	.rodata,"a",@progbits
	.p2align	6, 0x0
	.amdhsa_kernel _ZN9rocsparseL19gebsrmvn_4xn_kernelILj128ELj8ELj32EfEEvi20rocsparse_direction_NS_24const_host_device_scalarIT2_EEPKiS6_PKS3_S8_S4_PS3_21rocsparse_index_base_b
		.amdhsa_group_segment_fixed_size 0
		.amdhsa_private_segment_fixed_size 0
		.amdhsa_kernarg_size 72
		.amdhsa_user_sgpr_count 15
		.amdhsa_user_sgpr_dispatch_ptr 0
		.amdhsa_user_sgpr_queue_ptr 0
		.amdhsa_user_sgpr_kernarg_segment_ptr 1
		.amdhsa_user_sgpr_dispatch_id 0
		.amdhsa_user_sgpr_private_segment_size 0
		.amdhsa_wavefront_size32 1
		.amdhsa_uses_dynamic_stack 0
		.amdhsa_enable_private_segment 0
		.amdhsa_system_sgpr_workgroup_id_x 1
		.amdhsa_system_sgpr_workgroup_id_y 0
		.amdhsa_system_sgpr_workgroup_id_z 0
		.amdhsa_system_sgpr_workgroup_info 0
		.amdhsa_system_vgpr_workitem_id 0
		.amdhsa_next_free_vgpr 53
		.amdhsa_next_free_sgpr 20
		.amdhsa_reserve_vcc 1
		.amdhsa_float_round_mode_32 0
		.amdhsa_float_round_mode_16_64 0
		.amdhsa_float_denorm_mode_32 3
		.amdhsa_float_denorm_mode_16_64 3
		.amdhsa_dx10_clamp 1
		.amdhsa_ieee_mode 1
		.amdhsa_fp16_overflow 0
		.amdhsa_workgroup_processor_mode 1
		.amdhsa_memory_ordered 1
		.amdhsa_forward_progress 0
		.amdhsa_shared_vgpr_count 0
		.amdhsa_exception_fp_ieee_invalid_op 0
		.amdhsa_exception_fp_denorm_src 0
		.amdhsa_exception_fp_ieee_div_zero 0
		.amdhsa_exception_fp_ieee_overflow 0
		.amdhsa_exception_fp_ieee_underflow 0
		.amdhsa_exception_fp_ieee_inexact 0
		.amdhsa_exception_int_div_zero 0
	.end_amdhsa_kernel
	.section	.text._ZN9rocsparseL19gebsrmvn_4xn_kernelILj128ELj8ELj32EfEEvi20rocsparse_direction_NS_24const_host_device_scalarIT2_EEPKiS6_PKS3_S8_S4_PS3_21rocsparse_index_base_b,"axG",@progbits,_ZN9rocsparseL19gebsrmvn_4xn_kernelILj128ELj8ELj32EfEEvi20rocsparse_direction_NS_24const_host_device_scalarIT2_EEPKiS6_PKS3_S8_S4_PS3_21rocsparse_index_base_b,comdat
.Lfunc_end33:
	.size	_ZN9rocsparseL19gebsrmvn_4xn_kernelILj128ELj8ELj32EfEEvi20rocsparse_direction_NS_24const_host_device_scalarIT2_EEPKiS6_PKS3_S8_S4_PS3_21rocsparse_index_base_b, .Lfunc_end33-_ZN9rocsparseL19gebsrmvn_4xn_kernelILj128ELj8ELj32EfEEvi20rocsparse_direction_NS_24const_host_device_scalarIT2_EEPKiS6_PKS3_S8_S4_PS3_21rocsparse_index_base_b
                                        ; -- End function
	.section	.AMDGPU.csdata,"",@progbits
; Kernel info:
; codeLenInByte = 1844
; NumSgprs: 22
; NumVgprs: 53
; ScratchSize: 0
; MemoryBound: 0
; FloatMode: 240
; IeeeMode: 1
; LDSByteSize: 0 bytes/workgroup (compile time only)
; SGPRBlocks: 2
; VGPRBlocks: 6
; NumSGPRsForWavesPerEU: 22
; NumVGPRsForWavesPerEU: 53
; Occupancy: 16
; WaveLimiterHint : 1
; COMPUTE_PGM_RSRC2:SCRATCH_EN: 0
; COMPUTE_PGM_RSRC2:USER_SGPR: 15
; COMPUTE_PGM_RSRC2:TRAP_HANDLER: 0
; COMPUTE_PGM_RSRC2:TGID_X_EN: 1
; COMPUTE_PGM_RSRC2:TGID_Y_EN: 0
; COMPUTE_PGM_RSRC2:TGID_Z_EN: 0
; COMPUTE_PGM_RSRC2:TIDIG_COMP_CNT: 0
	.section	.text._ZN9rocsparseL19gebsrmvn_4xn_kernelILj128ELj8ELj64EfEEvi20rocsparse_direction_NS_24const_host_device_scalarIT2_EEPKiS6_PKS3_S8_S4_PS3_21rocsparse_index_base_b,"axG",@progbits,_ZN9rocsparseL19gebsrmvn_4xn_kernelILj128ELj8ELj64EfEEvi20rocsparse_direction_NS_24const_host_device_scalarIT2_EEPKiS6_PKS3_S8_S4_PS3_21rocsparse_index_base_b,comdat
	.globl	_ZN9rocsparseL19gebsrmvn_4xn_kernelILj128ELj8ELj64EfEEvi20rocsparse_direction_NS_24const_host_device_scalarIT2_EEPKiS6_PKS3_S8_S4_PS3_21rocsparse_index_base_b ; -- Begin function _ZN9rocsparseL19gebsrmvn_4xn_kernelILj128ELj8ELj64EfEEvi20rocsparse_direction_NS_24const_host_device_scalarIT2_EEPKiS6_PKS3_S8_S4_PS3_21rocsparse_index_base_b
	.p2align	8
	.type	_ZN9rocsparseL19gebsrmvn_4xn_kernelILj128ELj8ELj64EfEEvi20rocsparse_direction_NS_24const_host_device_scalarIT2_EEPKiS6_PKS3_S8_S4_PS3_21rocsparse_index_base_b,@function
_ZN9rocsparseL19gebsrmvn_4xn_kernelILj128ELj8ELj64EfEEvi20rocsparse_direction_NS_24const_host_device_scalarIT2_EEPKiS6_PKS3_S8_S4_PS3_21rocsparse_index_base_b: ; @_ZN9rocsparseL19gebsrmvn_4xn_kernelILj128ELj8ELj64EfEEvi20rocsparse_direction_NS_24const_host_device_scalarIT2_EEPKiS6_PKS3_S8_S4_PS3_21rocsparse_index_base_b
; %bb.0:
	s_clause 0x2
	s_load_b64 s[18:19], s[0:1], 0x40
	s_load_b64 s[16:17], s[0:1], 0x8
	;; [unrolled: 1-line block ×3, first 2 shown]
	s_waitcnt lgkmcnt(0)
	s_bitcmp1_b32 s19, 0
	s_cselect_b32 s2, -1, 0
	s_delay_alu instid0(SALU_CYCLE_1)
	s_and_b32 vcc_lo, exec_lo, s2
	s_xor_b32 s2, s2, -1
	s_cbranch_vccnz .LBB34_2
; %bb.1:
	s_load_b32 s16, s[16:17], 0x0
.LBB34_2:
	s_and_not1_b32 vcc_lo, exec_lo, s2
	s_cbranch_vccnz .LBB34_4
; %bb.3:
	s_load_b32 s12, s[12:13], 0x0
.LBB34_4:
	s_waitcnt lgkmcnt(0)
	v_cmp_eq_f32_e64 s2, s16, 0
	v_cmp_eq_f32_e64 s3, s12, 1.0
	s_delay_alu instid0(VALU_DEP_1) | instskip(NEXT) | instid1(SALU_CYCLE_1)
	s_and_b32 s2, s2, s3
	s_and_b32 vcc_lo, exec_lo, s2
	s_cbranch_vccnz .LBB34_23
; %bb.5:
	s_load_b64 s[2:3], s[0:1], 0x0
	v_lshrrev_b32_e32 v1, 6, v0
	s_delay_alu instid0(VALU_DEP_1) | instskip(SKIP_1) | instid1(VALU_DEP_1)
	v_lshl_or_b32 v4, s15, 1, v1
	s_waitcnt lgkmcnt(0)
	v_cmp_gt_i32_e32 vcc_lo, s2, v4
	s_and_saveexec_b32 s2, vcc_lo
	s_cbranch_execz .LBB34_23
; %bb.6:
	s_load_b256 s[4:11], s[0:1], 0x10
	v_ashrrev_i32_e32 v5, 31, v4
	v_and_b32_e32 v7, 63, v0
	s_cmp_lg_u32 s3, 0
	s_delay_alu instid0(VALU_DEP_2) | instskip(SKIP_1) | instid1(VALU_DEP_1)
	v_lshlrev_b64 v[1:2], 2, v[4:5]
	s_waitcnt lgkmcnt(0)
	v_add_co_u32 v1, vcc_lo, s4, v1
	s_delay_alu instid0(VALU_DEP_2) | instskip(SKIP_4) | instid1(VALU_DEP_2)
	v_add_co_ci_u32_e32 v2, vcc_lo, s5, v2, vcc_lo
	global_load_b64 v[1:2], v[1:2], off
	s_waitcnt vmcnt(0)
	v_subrev_nc_u32_e32 v0, s18, v1
	v_subrev_nc_u32_e32 v12, s18, v2
	v_add_nc_u32_e32 v0, v0, v7
	s_delay_alu instid0(VALU_DEP_1)
	v_cmp_lt_i32_e64 s2, v0, v12
	s_cbranch_scc0 .LBB34_12
; %bb.7:
	v_dual_mov_b32 v8, 0 :: v_dual_mov_b32 v9, 0
	v_dual_mov_b32 v10, 0 :: v_dual_mov_b32 v11, 0
	s_mov_b32 s3, 0
	s_and_saveexec_b32 s4, s2
	s_cbranch_execz .LBB34_11
; %bb.8:
	v_dual_mov_b32 v2, 0 :: v_dual_lshlrev_b32 v1, 5, v0
	v_mov_b32_e32 v5, v0
	s_mov_b32 s5, 0
	s_delay_alu instid0(VALU_DEP_2)
	v_mov_b32_e32 v8, v2
	v_mov_b32_e32 v9, v2
	;; [unrolled: 1-line block ×4, first 2 shown]
.LBB34_9:                               ; =>This Inner Loop Header: Depth=1
	v_ashrrev_i32_e32 v6, 31, v5
	s_delay_alu instid0(VALU_DEP_1) | instskip(NEXT) | instid1(VALU_DEP_1)
	v_lshlrev_b64 v[13:14], 2, v[5:6]
	v_add_co_u32 v13, vcc_lo, s6, v13
	s_delay_alu instid0(VALU_DEP_2) | instskip(SKIP_2) | instid1(VALU_DEP_1)
	v_add_co_ci_u32_e32 v14, vcc_lo, s7, v14, vcc_lo
	global_load_b32 v3, v[13:14], off
	v_lshlrev_b64 v[13:14], 2, v[1:2]
	v_add_co_u32 v49, vcc_lo, s8, v13
	s_delay_alu instid0(VALU_DEP_2) | instskip(SKIP_3) | instid1(VALU_DEP_1)
	v_add_co_ci_u32_e32 v50, vcc_lo, s9, v14, vcc_lo
	global_load_b128 v[13:16], v[49:50], off offset:16
	s_waitcnt vmcnt(1)
	v_subrev_nc_u32_e32 v3, s18, v3
	v_dual_mov_b32 v18, v2 :: v_dual_lshlrev_b32 v17, 3, v3
	s_delay_alu instid0(VALU_DEP_1) | instskip(NEXT) | instid1(VALU_DEP_1)
	v_lshlrev_b64 v[17:18], 2, v[17:18]
	v_add_co_u32 v25, vcc_lo, s10, v17
	s_delay_alu instid0(VALU_DEP_2)
	v_add_co_ci_u32_e32 v26, vcc_lo, s11, v18, vcc_lo
	global_load_b128 v[17:20], v[49:50], off
	s_clause 0x1
	global_load_b128 v[21:24], v[25:26], off
	global_load_b128 v[25:28], v[25:26], off offset:16
	s_clause 0x5
	global_load_b128 v[29:32], v[49:50], off offset:32
	global_load_b128 v[33:36], v[49:50], off offset:48
	;; [unrolled: 1-line block ×6, first 2 shown]
	s_waitcnt vmcnt(7)
	v_fmac_f32_e32 v11, v18, v21
	v_fmac_f32_e32 v8, v17, v21
	;; [unrolled: 1-line block ×3, first 2 shown]
	s_delay_alu instid0(VALU_DEP_3) | instskip(NEXT) | instid1(VALU_DEP_3)
	v_dual_fmac_f32 v10, v19, v21 :: v_dual_fmac_f32 v11, v14, v22
	v_fmac_f32_e32 v8, v13, v22
	s_delay_alu instid0(VALU_DEP_3) | instskip(SKIP_1) | instid1(VALU_DEP_3)
	v_fmac_f32_e32 v9, v16, v22
	s_waitcnt vmcnt(5)
	v_dual_fmac_f32 v10, v15, v22 :: v_dual_fmac_f32 v11, v30, v23
	s_delay_alu instid0(VALU_DEP_3) | instskip(NEXT) | instid1(VALU_DEP_3)
	v_fmac_f32_e32 v8, v29, v23
	v_fmac_f32_e32 v9, v32, v23
	s_waitcnt vmcnt(4)
	s_delay_alu instid0(VALU_DEP_3) | instskip(NEXT) | instid1(VALU_DEP_3)
	v_dual_fmac_f32 v10, v31, v23 :: v_dual_fmac_f32 v11, v34, v24
	v_fmac_f32_e32 v8, v33, v24
	s_delay_alu instid0(VALU_DEP_3) | instskip(SKIP_1) | instid1(VALU_DEP_3)
	v_fmac_f32_e32 v9, v36, v24
	s_waitcnt vmcnt(3)
	v_dual_fmac_f32 v10, v35, v24 :: v_dual_fmac_f32 v11, v38, v25
	s_delay_alu instid0(VALU_DEP_3) | instskip(NEXT) | instid1(VALU_DEP_3)
	v_fmac_f32_e32 v8, v37, v25
	v_fmac_f32_e32 v9, v40, v25
	s_waitcnt vmcnt(2)
	s_delay_alu instid0(VALU_DEP_3) | instskip(NEXT) | instid1(VALU_DEP_3)
	v_dual_fmac_f32 v10, v39, v25 :: v_dual_fmac_f32 v11, v42, v26
	v_fmac_f32_e32 v8, v41, v26
	s_delay_alu instid0(VALU_DEP_3) | instskip(NEXT) | instid1(VALU_DEP_3)
	v_fmac_f32_e32 v9, v44, v26
	v_dual_fmac_f32 v10, v43, v26 :: v_dual_add_nc_u32 v5, 64, v5
	s_waitcnt vmcnt(1)
	s_delay_alu instid0(VALU_DEP_3) | instskip(SKIP_1) | instid1(VALU_DEP_3)
	v_dual_fmac_f32 v8, v45, v27 :: v_dual_add_nc_u32 v1, 0x800, v1
	v_fmac_f32_e32 v11, v46, v27
	v_fmac_f32_e32 v10, v47, v27
	;; [unrolled: 1-line block ×3, first 2 shown]
	v_cmp_ge_i32_e32 vcc_lo, v5, v12
	s_waitcnt vmcnt(0)
	v_fmac_f32_e32 v8, v49, v28
	v_fmac_f32_e32 v11, v50, v28
	v_fmac_f32_e32 v10, v51, v28
	v_fmac_f32_e32 v9, v52, v28
	s_or_b32 s5, vcc_lo, s5
	s_delay_alu instid0(SALU_CYCLE_1)
	s_and_not1_b32 exec_lo, exec_lo, s5
	s_cbranch_execnz .LBB34_9
; %bb.10:
	s_or_b32 exec_lo, exec_lo, s5
.LBB34_11:
	s_delay_alu instid0(SALU_CYCLE_1) | instskip(NEXT) | instid1(SALU_CYCLE_1)
	s_or_b32 exec_lo, exec_lo, s4
	s_and_not1_b32 vcc_lo, exec_lo, s3
	s_cbranch_vccz .LBB34_13
	s_branch .LBB34_18
.LBB34_12:
                                        ; implicit-def: $vgpr8
                                        ; implicit-def: $vgpr9
                                        ; implicit-def: $vgpr10
                                        ; implicit-def: $vgpr11
.LBB34_13:
	v_dual_mov_b32 v8, 0 :: v_dual_mov_b32 v9, 0
	v_dual_mov_b32 v10, 0 :: v_dual_mov_b32 v11, 0
	s_delay_alu instid0(VALU_DEP_3)
	s_and_saveexec_b32 s3, s2
	s_cbranch_execz .LBB34_17
; %bb.14:
	v_dual_mov_b32 v3, 0 :: v_dual_lshlrev_b32 v2, 5, v0
	s_mov_b32 s2, 0
	s_delay_alu instid0(VALU_DEP_1)
	v_mov_b32_e32 v8, v3
	v_mov_b32_e32 v9, v3
	;; [unrolled: 1-line block ×4, first 2 shown]
.LBB34_15:                              ; =>This Inner Loop Header: Depth=1
	v_ashrrev_i32_e32 v1, 31, v0
	s_delay_alu instid0(VALU_DEP_1) | instskip(NEXT) | instid1(VALU_DEP_1)
	v_lshlrev_b64 v[5:6], 2, v[0:1]
	v_add_co_u32 v5, vcc_lo, s6, v5
	s_delay_alu instid0(VALU_DEP_2) | instskip(SKIP_3) | instid1(VALU_DEP_2)
	v_add_co_ci_u32_e32 v6, vcc_lo, s7, v6, vcc_lo
	global_load_b32 v1, v[5:6], off
	v_lshlrev_b64 v[5:6], 2, v[2:3]
	v_add_nc_u32_e32 v2, 0x800, v2
	v_add_co_u32 v5, vcc_lo, s8, v5
	s_delay_alu instid0(VALU_DEP_3)
	v_add_co_ci_u32_e32 v6, vcc_lo, s9, v6, vcc_lo
	s_clause 0x6
	global_load_b128 v[13:16], v[5:6], off offset:48
	global_load_b128 v[17:20], v[5:6], off offset:32
	;; [unrolled: 1-line block ×3, first 2 shown]
	global_load_b128 v[25:28], v[5:6], off
	global_load_b128 v[29:32], v[5:6], off offset:80
	global_load_b128 v[33:36], v[5:6], off offset:112
	;; [unrolled: 1-line block ×3, first 2 shown]
	s_waitcnt vmcnt(7)
	v_subrev_nc_u32_e32 v1, s18, v1
	s_delay_alu instid0(VALU_DEP_1) | instskip(NEXT) | instid1(VALU_DEP_1)
	v_dual_mov_b32 v42, v3 :: v_dual_lshlrev_b32 v41, 3, v1
	v_lshlrev_b64 v[41:42], 2, v[41:42]
	s_delay_alu instid0(VALU_DEP_1) | instskip(NEXT) | instid1(VALU_DEP_2)
	v_add_co_u32 v49, vcc_lo, s10, v41
	v_add_co_ci_u32_e32 v50, vcc_lo, s11, v42, vcc_lo
	global_load_b128 v[41:44], v[5:6], off offset:64
	s_clause 0x1
	global_load_b128 v[45:48], v[49:50], off
	global_load_b128 v[49:52], v[49:50], off offset:16
	s_waitcnt vmcnt(1)
	v_fmac_f32_e32 v11, v17, v45
	v_fmac_f32_e32 v8, v25, v45
	;; [unrolled: 1-line block ×3, first 2 shown]
	s_delay_alu instid0(VALU_DEP_3) | instskip(NEXT) | instid1(VALU_DEP_3)
	v_dual_fmac_f32 v10, v41, v45 :: v_dual_fmac_f32 v11, v18, v46
	v_fmac_f32_e32 v8, v26, v46
	s_delay_alu instid0(VALU_DEP_3) | instskip(NEXT) | instid1(VALU_DEP_3)
	v_fmac_f32_e32 v9, v38, v46
	v_dual_fmac_f32 v10, v42, v46 :: v_dual_fmac_f32 v11, v19, v47
	s_delay_alu instid0(VALU_DEP_3) | instskip(NEXT) | instid1(VALU_DEP_3)
	v_fmac_f32_e32 v8, v27, v47
	v_fmac_f32_e32 v9, v39, v47
	s_delay_alu instid0(VALU_DEP_3) | instskip(NEXT) | instid1(VALU_DEP_3)
	v_dual_fmac_f32 v10, v43, v47 :: v_dual_fmac_f32 v11, v20, v48
	v_fmac_f32_e32 v8, v28, v48
	s_delay_alu instid0(VALU_DEP_3) | instskip(SKIP_1) | instid1(VALU_DEP_3)
	v_fmac_f32_e32 v9, v40, v48
	s_waitcnt vmcnt(0)
	v_dual_fmac_f32 v10, v44, v48 :: v_dual_fmac_f32 v11, v13, v49
	s_delay_alu instid0(VALU_DEP_1) | instskip(NEXT) | instid1(VALU_DEP_1)
	v_dual_fmac_f32 v8, v21, v49 :: v_dual_fmac_f32 v11, v14, v50
	v_dual_fmac_f32 v9, v33, v49 :: v_dual_fmac_f32 v8, v22, v50
	s_delay_alu instid0(VALU_DEP_2) | instskip(NEXT) | instid1(VALU_DEP_2)
	v_dual_fmac_f32 v10, v29, v49 :: v_dual_fmac_f32 v11, v15, v51
	v_dual_fmac_f32 v9, v34, v50 :: v_dual_add_nc_u32 v0, 64, v0
	s_delay_alu instid0(VALU_DEP_2) | instskip(NEXT) | instid1(VALU_DEP_3)
	v_fmac_f32_e32 v10, v30, v50
	v_dual_fmac_f32 v8, v23, v51 :: v_dual_fmac_f32 v11, v16, v52
	s_delay_alu instid0(VALU_DEP_3) | instskip(NEXT) | instid1(VALU_DEP_4)
	v_fmac_f32_e32 v9, v35, v51
	v_cmp_ge_i32_e32 vcc_lo, v0, v12
	s_delay_alu instid0(VALU_DEP_4) | instskip(NEXT) | instid1(VALU_DEP_4)
	v_fmac_f32_e32 v10, v31, v51
	v_fmac_f32_e32 v8, v24, v52
	s_delay_alu instid0(VALU_DEP_4) | instskip(SKIP_1) | instid1(VALU_DEP_3)
	v_fmac_f32_e32 v9, v36, v52
	s_or_b32 s2, vcc_lo, s2
	v_fmac_f32_e32 v10, v32, v52
	s_and_not1_b32 exec_lo, exec_lo, s2
	s_cbranch_execnz .LBB34_15
; %bb.16:
	s_or_b32 exec_lo, exec_lo, s2
.LBB34_17:
	s_delay_alu instid0(SALU_CYCLE_1)
	s_or_b32 exec_lo, exec_lo, s3
.LBB34_18:
	v_mbcnt_lo_u32_b32 v0, -1, 0
	s_mov_b32 s2, -1
	s_delay_alu instid0(VALU_DEP_1) | instskip(SKIP_1) | instid1(VALU_DEP_2)
	v_or_b32_e32 v1, 32, v0
	v_xor_b32_e32 v6, 16, v0
	v_cmp_gt_i32_e32 vcc_lo, 32, v1
	v_cndmask_b32_e32 v1, v0, v1, vcc_lo
	s_delay_alu instid0(VALU_DEP_3) | instskip(SKIP_1) | instid1(VALU_DEP_1)
	v_cmp_gt_i32_e32 vcc_lo, 32, v6
	v_cndmask_b32_e32 v6, v0, v6, vcc_lo
	v_lshlrev_b32_e32 v6, 2, v6
	s_delay_alu instid0(VALU_DEP_4)
	v_lshlrev_b32_e32 v1, 2, v1
	ds_bpermute_b32 v2, v1, v8
	s_waitcnt lgkmcnt(0)
	v_add_f32_e32 v2, v8, v2
	ds_bpermute_b32 v3, v1, v11
	ds_bpermute_b32 v5, v1, v10
	;; [unrolled: 1-line block ×4, first 2 shown]
	s_waitcnt lgkmcnt(3)
	v_add_f32_e32 v3, v11, v3
	s_waitcnt lgkmcnt(2)
	v_add_f32_e32 v5, v10, v5
	s_waitcnt lgkmcnt(1)
	v_add_f32_e32 v1, v9, v1
	v_xor_b32_e32 v11, 8, v0
	s_waitcnt lgkmcnt(0)
	v_add_f32_e32 v2, v2, v8
	ds_bpermute_b32 v9, v6, v3
	ds_bpermute_b32 v10, v6, v5
	;; [unrolled: 1-line block ×3, first 2 shown]
	v_cmp_gt_i32_e32 vcc_lo, 32, v11
	v_cndmask_b32_e32 v11, v0, v11, vcc_lo
	s_delay_alu instid0(VALU_DEP_1)
	v_lshlrev_b32_e32 v11, 2, v11
	s_waitcnt lgkmcnt(2)
	v_add_f32_e32 v3, v3, v9
	s_waitcnt lgkmcnt(1)
	v_add_f32_e32 v5, v5, v10
	;; [unrolled: 2-line block ×3, first 2 shown]
	ds_bpermute_b32 v6, v11, v2
	ds_bpermute_b32 v8, v11, v3
	;; [unrolled: 1-line block ×4, first 2 shown]
	v_xor_b32_e32 v11, 4, v0
	s_delay_alu instid0(VALU_DEP_1) | instskip(SKIP_2) | instid1(VALU_DEP_1)
	v_cmp_gt_i32_e32 vcc_lo, 32, v11
	v_cndmask_b32_e32 v11, v0, v11, vcc_lo
	s_waitcnt lgkmcnt(3)
	v_dual_add_f32 v2, v2, v6 :: v_dual_lshlrev_b32 v11, 2, v11
	s_waitcnt lgkmcnt(2)
	v_add_f32_e32 v3, v3, v8
	s_waitcnt lgkmcnt(1)
	v_add_f32_e32 v5, v5, v9
	;; [unrolled: 2-line block ×3, first 2 shown]
	ds_bpermute_b32 v6, v11, v2
	ds_bpermute_b32 v8, v11, v3
	;; [unrolled: 1-line block ×4, first 2 shown]
	v_xor_b32_e32 v11, 2, v0
	s_delay_alu instid0(VALU_DEP_1) | instskip(SKIP_2) | instid1(VALU_DEP_1)
	v_cmp_gt_i32_e32 vcc_lo, 32, v11
	v_cndmask_b32_e32 v11, v0, v11, vcc_lo
	s_waitcnt lgkmcnt(3)
	v_dual_add_f32 v2, v2, v6 :: v_dual_lshlrev_b32 v11, 2, v11
	s_waitcnt lgkmcnt(2)
	v_add_f32_e32 v3, v3, v8
	s_waitcnt lgkmcnt(1)
	v_add_f32_e32 v5, v5, v9
	;; [unrolled: 2-line block ×3, first 2 shown]
	ds_bpermute_b32 v1, v11, v2
	ds_bpermute_b32 v8, v11, v3
	;; [unrolled: 1-line block ×4, first 2 shown]
	v_xor_b32_e32 v11, 1, v0
	s_delay_alu instid0(VALU_DEP_1) | instskip(SKIP_3) | instid1(VALU_DEP_2)
	v_cmp_gt_i32_e32 vcc_lo, 32, v11
	v_cndmask_b32_e32 v0, v0, v11, vcc_lo
	v_cmp_eq_u32_e32 vcc_lo, 63, v7
	s_waitcnt lgkmcnt(3)
	v_dual_add_f32 v0, v2, v1 :: v_dual_lshlrev_b32 v11, 2, v0
	s_waitcnt lgkmcnt(1)
	v_dual_add_f32 v1, v3, v8 :: v_dual_add_f32 v2, v5, v9
	s_waitcnt lgkmcnt(0)
	v_add_f32_e32 v3, v6, v10
	ds_bpermute_b32 v5, v11, v0
	ds_bpermute_b32 v6, v11, v1
	;; [unrolled: 1-line block ×4, first 2 shown]
	s_and_b32 exec_lo, exec_lo, vcc_lo
	s_cbranch_execz .LBB34_23
; %bb.19:
	s_load_b64 s[0:1], s[0:1], 0x38
	s_waitcnt lgkmcnt(0)
	v_dual_add_f32 v0, v0, v5 :: v_dual_add_f32 v1, v1, v6
	v_dual_add_f32 v2, v2, v8 :: v_dual_add_f32 v3, v3, v9
	v_cmp_eq_f32_e64 s3, s12, 0
	s_delay_alu instid0(VALU_DEP_3) | instskip(NEXT) | instid1(VALU_DEP_3)
	v_dual_mul_f32 v0, s16, v0 :: v_dual_mul_f32 v1, s16, v1
	v_dual_mul_f32 v2, s16, v2 :: v_dual_mul_f32 v3, s16, v3
	v_lshlrev_b32_e32 v4, 2, v4
	s_delay_alu instid0(VALU_DEP_4)
	s_and_b32 vcc_lo, exec_lo, s3
	s_cbranch_vccz .LBB34_21
; %bb.20:
	s_delay_alu instid0(VALU_DEP_1) | instskip(SKIP_1) | instid1(VALU_DEP_1)
	v_ashrrev_i32_e32 v5, 31, v4
	s_mov_b32 s2, 0
	v_lshlrev_b64 v[5:6], 2, v[4:5]
	s_delay_alu instid0(VALU_DEP_1) | instskip(NEXT) | instid1(VALU_DEP_2)
	v_add_co_u32 v5, vcc_lo, s0, v5
	v_add_co_ci_u32_e32 v6, vcc_lo, s1, v6, vcc_lo
	global_store_b128 v[5:6], v[0:3], off
.LBB34_21:
	s_and_not1_b32 vcc_lo, exec_lo, s2
	s_cbranch_vccnz .LBB34_23
; %bb.22:
	v_ashrrev_i32_e32 v5, 31, v4
	s_delay_alu instid0(VALU_DEP_1) | instskip(NEXT) | instid1(VALU_DEP_1)
	v_lshlrev_b64 v[4:5], 2, v[4:5]
	v_add_co_u32 v8, vcc_lo, s0, v4
	s_delay_alu instid0(VALU_DEP_2)
	v_add_co_ci_u32_e32 v9, vcc_lo, s1, v5, vcc_lo
	global_load_b128 v[4:7], v[8:9], off
	s_waitcnt vmcnt(0)
	v_dual_fmac_f32 v0, s12, v4 :: v_dual_fmac_f32 v1, s12, v5
	v_dual_fmac_f32 v2, s12, v6 :: v_dual_fmac_f32 v3, s12, v7
	global_store_b128 v[8:9], v[0:3], off
.LBB34_23:
	s_nop 0
	s_sendmsg sendmsg(MSG_DEALLOC_VGPRS)
	s_endpgm
	.section	.rodata,"a",@progbits
	.p2align	6, 0x0
	.amdhsa_kernel _ZN9rocsparseL19gebsrmvn_4xn_kernelILj128ELj8ELj64EfEEvi20rocsparse_direction_NS_24const_host_device_scalarIT2_EEPKiS6_PKS3_S8_S4_PS3_21rocsparse_index_base_b
		.amdhsa_group_segment_fixed_size 0
		.amdhsa_private_segment_fixed_size 0
		.amdhsa_kernarg_size 72
		.amdhsa_user_sgpr_count 15
		.amdhsa_user_sgpr_dispatch_ptr 0
		.amdhsa_user_sgpr_queue_ptr 0
		.amdhsa_user_sgpr_kernarg_segment_ptr 1
		.amdhsa_user_sgpr_dispatch_id 0
		.amdhsa_user_sgpr_private_segment_size 0
		.amdhsa_wavefront_size32 1
		.amdhsa_uses_dynamic_stack 0
		.amdhsa_enable_private_segment 0
		.amdhsa_system_sgpr_workgroup_id_x 1
		.amdhsa_system_sgpr_workgroup_id_y 0
		.amdhsa_system_sgpr_workgroup_id_z 0
		.amdhsa_system_sgpr_workgroup_info 0
		.amdhsa_system_vgpr_workitem_id 0
		.amdhsa_next_free_vgpr 53
		.amdhsa_next_free_sgpr 20
		.amdhsa_reserve_vcc 1
		.amdhsa_float_round_mode_32 0
		.amdhsa_float_round_mode_16_64 0
		.amdhsa_float_denorm_mode_32 3
		.amdhsa_float_denorm_mode_16_64 3
		.amdhsa_dx10_clamp 1
		.amdhsa_ieee_mode 1
		.amdhsa_fp16_overflow 0
		.amdhsa_workgroup_processor_mode 1
		.amdhsa_memory_ordered 1
		.amdhsa_forward_progress 0
		.amdhsa_shared_vgpr_count 0
		.amdhsa_exception_fp_ieee_invalid_op 0
		.amdhsa_exception_fp_denorm_src 0
		.amdhsa_exception_fp_ieee_div_zero 0
		.amdhsa_exception_fp_ieee_overflow 0
		.amdhsa_exception_fp_ieee_underflow 0
		.amdhsa_exception_fp_ieee_inexact 0
		.amdhsa_exception_int_div_zero 0
	.end_amdhsa_kernel
	.section	.text._ZN9rocsparseL19gebsrmvn_4xn_kernelILj128ELj8ELj64EfEEvi20rocsparse_direction_NS_24const_host_device_scalarIT2_EEPKiS6_PKS3_S8_S4_PS3_21rocsparse_index_base_b,"axG",@progbits,_ZN9rocsparseL19gebsrmvn_4xn_kernelILj128ELj8ELj64EfEEvi20rocsparse_direction_NS_24const_host_device_scalarIT2_EEPKiS6_PKS3_S8_S4_PS3_21rocsparse_index_base_b,comdat
.Lfunc_end34:
	.size	_ZN9rocsparseL19gebsrmvn_4xn_kernelILj128ELj8ELj64EfEEvi20rocsparse_direction_NS_24const_host_device_scalarIT2_EEPKiS6_PKS3_S8_S4_PS3_21rocsparse_index_base_b, .Lfunc_end34-_ZN9rocsparseL19gebsrmvn_4xn_kernelILj128ELj8ELj64EfEEvi20rocsparse_direction_NS_24const_host_device_scalarIT2_EEPKiS6_PKS3_S8_S4_PS3_21rocsparse_index_base_b
                                        ; -- End function
	.section	.AMDGPU.csdata,"",@progbits
; Kernel info:
; codeLenInByte = 1932
; NumSgprs: 22
; NumVgprs: 53
; ScratchSize: 0
; MemoryBound: 0
; FloatMode: 240
; IeeeMode: 1
; LDSByteSize: 0 bytes/workgroup (compile time only)
; SGPRBlocks: 2
; VGPRBlocks: 6
; NumSGPRsForWavesPerEU: 22
; NumVGPRsForWavesPerEU: 53
; Occupancy: 16
; WaveLimiterHint : 1
; COMPUTE_PGM_RSRC2:SCRATCH_EN: 0
; COMPUTE_PGM_RSRC2:USER_SGPR: 15
; COMPUTE_PGM_RSRC2:TRAP_HANDLER: 0
; COMPUTE_PGM_RSRC2:TGID_X_EN: 1
; COMPUTE_PGM_RSRC2:TGID_Y_EN: 0
; COMPUTE_PGM_RSRC2:TGID_Z_EN: 0
; COMPUTE_PGM_RSRC2:TIDIG_COMP_CNT: 0
	.section	.text._ZN9rocsparseL23gebsrmvn_general_kernelILj64ELj16EfEEvi20rocsparse_direction_NS_24const_host_device_scalarIT1_EEPKiS6_PKS3_iiS8_S4_PS3_21rocsparse_index_base_b,"axG",@progbits,_ZN9rocsparseL23gebsrmvn_general_kernelILj64ELj16EfEEvi20rocsparse_direction_NS_24const_host_device_scalarIT1_EEPKiS6_PKS3_iiS8_S4_PS3_21rocsparse_index_base_b,comdat
	.globl	_ZN9rocsparseL23gebsrmvn_general_kernelILj64ELj16EfEEvi20rocsparse_direction_NS_24const_host_device_scalarIT1_EEPKiS6_PKS3_iiS8_S4_PS3_21rocsparse_index_base_b ; -- Begin function _ZN9rocsparseL23gebsrmvn_general_kernelILj64ELj16EfEEvi20rocsparse_direction_NS_24const_host_device_scalarIT1_EEPKiS6_PKS3_iiS8_S4_PS3_21rocsparse_index_base_b
	.p2align	8
	.type	_ZN9rocsparseL23gebsrmvn_general_kernelILj64ELj16EfEEvi20rocsparse_direction_NS_24const_host_device_scalarIT1_EEPKiS6_PKS3_iiS8_S4_PS3_21rocsparse_index_base_b,@function
_ZN9rocsparseL23gebsrmvn_general_kernelILj64ELj16EfEEvi20rocsparse_direction_NS_24const_host_device_scalarIT1_EEPKiS6_PKS3_iiS8_S4_PS3_21rocsparse_index_base_b: ; @_ZN9rocsparseL23gebsrmvn_general_kernelILj64ELj16EfEEvi20rocsparse_direction_NS_24const_host_device_scalarIT1_EEPKiS6_PKS3_iiS8_S4_PS3_21rocsparse_index_base_b
; %bb.0:
	s_clause 0x2
	s_load_b64 s[2:3], s[0:1], 0x48
	s_load_b64 s[8:9], s[0:1], 0x8
	;; [unrolled: 1-line block ×3, first 2 shown]
	s_mov_b32 s18, s15
	s_waitcnt lgkmcnt(0)
	s_bitcmp1_b32 s3, 0
	s_cselect_b32 s3, -1, 0
	s_delay_alu instid0(SALU_CYCLE_1)
	s_and_b32 vcc_lo, exec_lo, s3
	s_xor_b32 s3, s3, -1
	s_cbranch_vccnz .LBB35_2
; %bb.1:
	s_load_b32 s8, s[8:9], 0x0
.LBB35_2:
	s_and_not1_b32 vcc_lo, exec_lo, s3
	s_cbranch_vccnz .LBB35_4
; %bb.3:
	s_load_b32 s10, s[10:11], 0x0
.LBB35_4:
	s_waitcnt lgkmcnt(0)
	v_cmp_eq_f32_e64 s3, s8, 0
	v_cmp_eq_f32_e64 s4, s10, 1.0
	s_delay_alu instid0(VALU_DEP_1) | instskip(NEXT) | instid1(SALU_CYCLE_1)
	s_and_b32 s3, s3, s4
	s_and_b32 vcc_lo, exec_lo, s3
	s_cbranch_vccnz .LBB35_24
; %bb.5:
	s_load_b64 s[12:13], s[0:1], 0x28
	v_lshrrev_b32_e32 v1, 4, v0
	s_mov_b32 s3, exec_lo
	s_waitcnt lgkmcnt(0)
	s_delay_alu instid0(VALU_DEP_1)
	v_cmpx_gt_i32_e64 s12, v1
	s_cbranch_execz .LBB35_24
; %bb.6:
	s_load_b128 s[4:7], s[0:1], 0x10
	s_ashr_i32 s19, s18, 31
	v_mbcnt_lo_u32_b32 v4, -1, 0
	s_lshl_b64 s[14:15], s[18:19], 2
	s_load_b32 s19, s[0:1], 0x4
	v_cmp_eq_f32_e64 s22, s10, 0
	s_mov_b32 s3, 0
	v_xor_b32_e32 v2, 8, v4
	v_xor_b32_e32 v3, 4, v4
	;; [unrolled: 1-line block ×4, first 2 shown]
	s_mul_i32 s23, s18, s12
	v_cmp_gt_i32_e32 vcc_lo, 32, v2
	v_and_b32_e32 v0, 15, v0
	s_mul_i32 s25, s13, s12
	v_cndmask_b32_e32 v7, v4, v2, vcc_lo
	v_cmp_gt_i32_e32 vcc_lo, 32, v3
	s_waitcnt lgkmcnt(0)
	s_add_u32 s4, s4, s14
	s_addc_u32 s5, s5, s15
	v_cndmask_b32_e32 v8, v4, v3, vcc_lo
	s_load_b64 s[20:21], s[4:5], 0x0
	s_clause 0x2
	s_load_b64 s[4:5], s[0:1], 0x20
	s_load_b64 s[14:15], s[0:1], 0x30
	;; [unrolled: 1-line block ×3, first 2 shown]
	v_cmp_gt_i32_e32 vcc_lo, 32, v5
	v_cmp_gt_i32_e64 s0, s13, v0
	v_cmp_eq_u32_e64 s1, 15, v0
	v_cndmask_b32_e32 v9, v4, v5, vcc_lo
	v_cmp_gt_i32_e32 vcc_lo, 32, v6
	v_lshlrev_b32_e32 v5, 2, v8
	s_waitcnt lgkmcnt(0)
	s_sub_i32 s9, s20, s2
	s_sub_i32 s11, s21, s2
	v_mad_u64_u32 v[2:3], null, s12, s9, v[1:2]
	v_cndmask_b32_e32 v3, v4, v6, vcc_lo
	s_cmp_lt_i32 s20, s21
	v_lshlrev_b32_e32 v4, 2, v7
	v_lshlrev_b32_e32 v6, 2, v9
	s_cselect_b32 s20, -1, 0
	v_lshlrev_b32_e32 v7, 2, v3
	v_mul_lo_u32 v8, s13, v2
	s_cmp_lg_u32 s19, 0
	s_cselect_b32 s21, -1, 0
	s_lshl_b32 s24, s13, 2
	s_branch .LBB35_8
.LBB35_7:                               ;   in Loop: Header=BB35_8 Depth=1
	s_or_b32 exec_lo, exec_lo, s18
	v_add_nc_u32_e32 v1, 4, v1
	v_add_nc_u32_e32 v8, s24, v8
	s_delay_alu instid0(VALU_DEP_2) | instskip(SKIP_1) | instid1(SALU_CYCLE_1)
	v_cmp_le_i32_e32 vcc_lo, s12, v1
	s_or_b32 s3, vcc_lo, s3
	s_and_not1_b32 exec_lo, exec_lo, s3
	s_cbranch_execz .LBB35_24
.LBB35_8:                               ; =>This Loop Header: Depth=1
                                        ;     Child Loop BB35_12 Depth 2
                                        ;       Child Loop BB35_15 Depth 3
	v_mov_b32_e32 v9, 0
	s_and_not1_b32 vcc_lo, exec_lo, s20
	s_cbranch_vccnz .LBB35_19
; %bb.9:                                ;   in Loop: Header=BB35_8 Depth=1
	v_dual_mov_b32 v9, 0 :: v_dual_mov_b32 v10, v8
	s_mov_b32 s18, s9
	s_branch .LBB35_12
.LBB35_10:                              ;   in Loop: Header=BB35_12 Depth=2
	s_set_inst_prefetch_distance 0x2
	s_or_b32 exec_lo, exec_lo, s27
.LBB35_11:                              ;   in Loop: Header=BB35_12 Depth=2
	s_delay_alu instid0(SALU_CYCLE_1) | instskip(SKIP_2) | instid1(SALU_CYCLE_1)
	s_or_b32 exec_lo, exec_lo, s26
	v_add_nc_u32_e32 v10, s25, v10
	s_add_i32 s18, s18, 1
	s_cmp_ge_i32 s18, s11
	s_cbranch_scc1 .LBB35_19
.LBB35_12:                              ;   Parent Loop BB35_8 Depth=1
                                        ; =>  This Loop Header: Depth=2
                                        ;       Child Loop BB35_15 Depth 3
	s_and_saveexec_b32 s26, s0
	s_cbranch_execz .LBB35_11
; %bb.13:                               ;   in Loop: Header=BB35_12 Depth=2
	s_ashr_i32 s19, s18, 31
	v_mov_b32_e32 v11, v0
	s_lshl_b64 s[28:29], s[18:19], 2
	s_mov_b32 s27, 0
	s_add_u32 s28, s6, s28
	s_addc_u32 s29, s7, s29
	s_load_b32 s19, s[28:29], 0x0
	s_waitcnt lgkmcnt(0)
	s_sub_i32 s28, s19, s2
	s_mul_i32 s19, s18, s13
	s_mul_i32 s28, s28, s13
	s_set_inst_prefetch_distance 0x1
	s_branch .LBB35_15
	.p2align	6
.LBB35_14:                              ;   in Loop: Header=BB35_15 Depth=3
	v_add_nc_u32_e32 v12, s28, v11
	s_delay_alu instid0(VALU_DEP_2) | instskip(SKIP_1) | instid1(VALU_DEP_3)
	v_ashrrev_i32_e32 v3, 31, v2
	v_add_nc_u32_e32 v11, 16, v11
	v_ashrrev_i32_e32 v13, 31, v12
	s_delay_alu instid0(VALU_DEP_3) | instskip(NEXT) | instid1(VALU_DEP_2)
	v_lshlrev_b64 v[2:3], 2, v[2:3]
	v_lshlrev_b64 v[12:13], 2, v[12:13]
	s_delay_alu instid0(VALU_DEP_2) | instskip(NEXT) | instid1(VALU_DEP_3)
	v_add_co_u32 v2, vcc_lo, s4, v2
	v_add_co_ci_u32_e32 v3, vcc_lo, s5, v3, vcc_lo
	s_delay_alu instid0(VALU_DEP_3) | instskip(NEXT) | instid1(VALU_DEP_4)
	v_add_co_u32 v12, vcc_lo, s14, v12
	v_add_co_ci_u32_e32 v13, vcc_lo, s15, v13, vcc_lo
	v_cmp_le_i32_e32 vcc_lo, s13, v11
	global_load_b32 v2, v[2:3], off
	global_load_b32 v3, v[12:13], off
	s_or_b32 s27, vcc_lo, s27
	s_waitcnt vmcnt(0)
	v_fmac_f32_e32 v9, v2, v3
	s_and_not1_b32 exec_lo, exec_lo, s27
	s_cbranch_execz .LBB35_10
.LBB35_15:                              ;   Parent Loop BB35_8 Depth=1
                                        ;     Parent Loop BB35_12 Depth=2
                                        ; =>    This Inner Loop Header: Depth=3
	s_and_b32 vcc_lo, exec_lo, s21
	s_cbranch_vccz .LBB35_17
; %bb.16:                               ;   in Loop: Header=BB35_15 Depth=3
	v_add_nc_u32_e32 v12, s19, v11
	s_delay_alu instid0(VALU_DEP_1)
	v_mad_u64_u32 v[2:3], null, v12, s12, v[1:2]
	s_cbranch_execnz .LBB35_14
	s_branch .LBB35_18
	.p2align	6
.LBB35_17:                              ;   in Loop: Header=BB35_15 Depth=3
                                        ; implicit-def: $vgpr2
.LBB35_18:                              ;   in Loop: Header=BB35_15 Depth=3
	v_add_nc_u32_e32 v2, v10, v11
	s_branch .LBB35_14
.LBB35_19:                              ;   in Loop: Header=BB35_8 Depth=1
	ds_bpermute_b32 v2, v4, v9
	s_waitcnt lgkmcnt(0)
	v_add_f32_e32 v2, v9, v2
	ds_bpermute_b32 v3, v5, v2
	s_waitcnt lgkmcnt(0)
	v_add_f32_e32 v2, v2, v3
	;; [unrolled: 3-line block ×3, first 2 shown]
	ds_bpermute_b32 v3, v7, v2
	s_and_saveexec_b32 s18, s1
	s_cbranch_execz .LBB35_7
; %bb.20:                               ;   in Loop: Header=BB35_8 Depth=1
	s_waitcnt lgkmcnt(0)
	v_dual_add_f32 v3, v2, v3 :: v_dual_add_nc_u32 v2, s23, v1
	s_and_b32 vcc_lo, exec_lo, s22
	s_delay_alu instid0(VALU_DEP_1) | instskip(NEXT) | instid1(VALU_DEP_2)
	v_mul_f32_e32 v9, s8, v3
	v_ashrrev_i32_e32 v3, 31, v2
	s_cbranch_vccz .LBB35_22
; %bb.21:                               ;   in Loop: Header=BB35_8 Depth=1
	s_delay_alu instid0(VALU_DEP_1) | instskip(NEXT) | instid1(VALU_DEP_1)
	v_lshlrev_b64 v[10:11], 2, v[2:3]
	v_add_co_u32 v10, vcc_lo, s16, v10
	s_delay_alu instid0(VALU_DEP_2)
	v_add_co_ci_u32_e32 v11, vcc_lo, s17, v11, vcc_lo
	global_store_b32 v[10:11], v9, off
	s_cbranch_execnz .LBB35_7
	s_branch .LBB35_23
.LBB35_22:                              ;   in Loop: Header=BB35_8 Depth=1
.LBB35_23:                              ;   in Loop: Header=BB35_8 Depth=1
	s_delay_alu instid0(VALU_DEP_1) | instskip(NEXT) | instid1(VALU_DEP_1)
	v_lshlrev_b64 v[2:3], 2, v[2:3]
	v_add_co_u32 v2, vcc_lo, s16, v2
	s_delay_alu instid0(VALU_DEP_2)
	v_add_co_ci_u32_e32 v3, vcc_lo, s17, v3, vcc_lo
	global_load_b32 v10, v[2:3], off
	s_waitcnt vmcnt(0)
	v_fmac_f32_e32 v9, s10, v10
	global_store_b32 v[2:3], v9, off
	s_branch .LBB35_7
.LBB35_24:
	s_nop 0
	s_sendmsg sendmsg(MSG_DEALLOC_VGPRS)
	s_endpgm
	.section	.rodata,"a",@progbits
	.p2align	6, 0x0
	.amdhsa_kernel _ZN9rocsparseL23gebsrmvn_general_kernelILj64ELj16EfEEvi20rocsparse_direction_NS_24const_host_device_scalarIT1_EEPKiS6_PKS3_iiS8_S4_PS3_21rocsparse_index_base_b
		.amdhsa_group_segment_fixed_size 0
		.amdhsa_private_segment_fixed_size 0
		.amdhsa_kernarg_size 80
		.amdhsa_user_sgpr_count 15
		.amdhsa_user_sgpr_dispatch_ptr 0
		.amdhsa_user_sgpr_queue_ptr 0
		.amdhsa_user_sgpr_kernarg_segment_ptr 1
		.amdhsa_user_sgpr_dispatch_id 0
		.amdhsa_user_sgpr_private_segment_size 0
		.amdhsa_wavefront_size32 1
		.amdhsa_uses_dynamic_stack 0
		.amdhsa_enable_private_segment 0
		.amdhsa_system_sgpr_workgroup_id_x 1
		.amdhsa_system_sgpr_workgroup_id_y 0
		.amdhsa_system_sgpr_workgroup_id_z 0
		.amdhsa_system_sgpr_workgroup_info 0
		.amdhsa_system_vgpr_workitem_id 0
		.amdhsa_next_free_vgpr 14
		.amdhsa_next_free_sgpr 30
		.amdhsa_reserve_vcc 1
		.amdhsa_float_round_mode_32 0
		.amdhsa_float_round_mode_16_64 0
		.amdhsa_float_denorm_mode_32 3
		.amdhsa_float_denorm_mode_16_64 3
		.amdhsa_dx10_clamp 1
		.amdhsa_ieee_mode 1
		.amdhsa_fp16_overflow 0
		.amdhsa_workgroup_processor_mode 1
		.amdhsa_memory_ordered 1
		.amdhsa_forward_progress 0
		.amdhsa_shared_vgpr_count 0
		.amdhsa_exception_fp_ieee_invalid_op 0
		.amdhsa_exception_fp_denorm_src 0
		.amdhsa_exception_fp_ieee_div_zero 0
		.amdhsa_exception_fp_ieee_overflow 0
		.amdhsa_exception_fp_ieee_underflow 0
		.amdhsa_exception_fp_ieee_inexact 0
		.amdhsa_exception_int_div_zero 0
	.end_amdhsa_kernel
	.section	.text._ZN9rocsparseL23gebsrmvn_general_kernelILj64ELj16EfEEvi20rocsparse_direction_NS_24const_host_device_scalarIT1_EEPKiS6_PKS3_iiS8_S4_PS3_21rocsparse_index_base_b,"axG",@progbits,_ZN9rocsparseL23gebsrmvn_general_kernelILj64ELj16EfEEvi20rocsparse_direction_NS_24const_host_device_scalarIT1_EEPKiS6_PKS3_iiS8_S4_PS3_21rocsparse_index_base_b,comdat
.Lfunc_end35:
	.size	_ZN9rocsparseL23gebsrmvn_general_kernelILj64ELj16EfEEvi20rocsparse_direction_NS_24const_host_device_scalarIT1_EEPKiS6_PKS3_iiS8_S4_PS3_21rocsparse_index_base_b, .Lfunc_end35-_ZN9rocsparseL23gebsrmvn_general_kernelILj64ELj16EfEEvi20rocsparse_direction_NS_24const_host_device_scalarIT1_EEPKiS6_PKS3_iiS8_S4_PS3_21rocsparse_index_base_b
                                        ; -- End function
	.section	.AMDGPU.csdata,"",@progbits
; Kernel info:
; codeLenInByte = 908
; NumSgprs: 32
; NumVgprs: 14
; ScratchSize: 0
; MemoryBound: 0
; FloatMode: 240
; IeeeMode: 1
; LDSByteSize: 0 bytes/workgroup (compile time only)
; SGPRBlocks: 3
; VGPRBlocks: 1
; NumSGPRsForWavesPerEU: 32
; NumVGPRsForWavesPerEU: 14
; Occupancy: 16
; WaveLimiterHint : 1
; COMPUTE_PGM_RSRC2:SCRATCH_EN: 0
; COMPUTE_PGM_RSRC2:USER_SGPR: 15
; COMPUTE_PGM_RSRC2:TRAP_HANDLER: 0
; COMPUTE_PGM_RSRC2:TGID_X_EN: 1
; COMPUTE_PGM_RSRC2:TGID_Y_EN: 0
; COMPUTE_PGM_RSRC2:TGID_Z_EN: 0
; COMPUTE_PGM_RSRC2:TIDIG_COMP_CNT: 0
	.section	.text._ZN9rocsparseL23gebsrmvn_general_kernelILj128ELj32EfEEvi20rocsparse_direction_NS_24const_host_device_scalarIT1_EEPKiS6_PKS3_iiS8_S4_PS3_21rocsparse_index_base_b,"axG",@progbits,_ZN9rocsparseL23gebsrmvn_general_kernelILj128ELj32EfEEvi20rocsparse_direction_NS_24const_host_device_scalarIT1_EEPKiS6_PKS3_iiS8_S4_PS3_21rocsparse_index_base_b,comdat
	.globl	_ZN9rocsparseL23gebsrmvn_general_kernelILj128ELj32EfEEvi20rocsparse_direction_NS_24const_host_device_scalarIT1_EEPKiS6_PKS3_iiS8_S4_PS3_21rocsparse_index_base_b ; -- Begin function _ZN9rocsparseL23gebsrmvn_general_kernelILj128ELj32EfEEvi20rocsparse_direction_NS_24const_host_device_scalarIT1_EEPKiS6_PKS3_iiS8_S4_PS3_21rocsparse_index_base_b
	.p2align	8
	.type	_ZN9rocsparseL23gebsrmvn_general_kernelILj128ELj32EfEEvi20rocsparse_direction_NS_24const_host_device_scalarIT1_EEPKiS6_PKS3_iiS8_S4_PS3_21rocsparse_index_base_b,@function
_ZN9rocsparseL23gebsrmvn_general_kernelILj128ELj32EfEEvi20rocsparse_direction_NS_24const_host_device_scalarIT1_EEPKiS6_PKS3_iiS8_S4_PS3_21rocsparse_index_base_b: ; @_ZN9rocsparseL23gebsrmvn_general_kernelILj128ELj32EfEEvi20rocsparse_direction_NS_24const_host_device_scalarIT1_EEPKiS6_PKS3_iiS8_S4_PS3_21rocsparse_index_base_b
; %bb.0:
	s_clause 0x2
	s_load_b64 s[2:3], s[0:1], 0x48
	s_load_b64 s[8:9], s[0:1], 0x8
	;; [unrolled: 1-line block ×3, first 2 shown]
	s_mov_b32 s18, s15
	s_waitcnt lgkmcnt(0)
	s_bitcmp1_b32 s3, 0
	s_cselect_b32 s3, -1, 0
	s_delay_alu instid0(SALU_CYCLE_1)
	s_and_b32 vcc_lo, exec_lo, s3
	s_xor_b32 s3, s3, -1
	s_cbranch_vccnz .LBB36_2
; %bb.1:
	s_load_b32 s8, s[8:9], 0x0
.LBB36_2:
	s_and_not1_b32 vcc_lo, exec_lo, s3
	s_cbranch_vccnz .LBB36_4
; %bb.3:
	s_load_b32 s10, s[10:11], 0x0
.LBB36_4:
	s_waitcnt lgkmcnt(0)
	v_cmp_eq_f32_e64 s3, s8, 0
	v_cmp_eq_f32_e64 s4, s10, 1.0
	s_delay_alu instid0(VALU_DEP_1) | instskip(NEXT) | instid1(SALU_CYCLE_1)
	s_and_b32 s3, s3, s4
	s_and_b32 vcc_lo, exec_lo, s3
	s_cbranch_vccnz .LBB36_24
; %bb.5:
	s_load_b64 s[12:13], s[0:1], 0x28
	v_lshrrev_b32_e32 v1, 5, v0
	s_mov_b32 s3, exec_lo
	s_waitcnt lgkmcnt(0)
	s_delay_alu instid0(VALU_DEP_1)
	v_cmpx_gt_i32_e64 s12, v1
	s_cbranch_execz .LBB36_24
; %bb.6:
	s_load_b128 s[4:7], s[0:1], 0x10
	s_ashr_i32 s19, s18, 31
	v_mbcnt_lo_u32_b32 v4, -1, 0
	s_lshl_b64 s[14:15], s[18:19], 2
	s_load_b32 s19, s[0:1], 0x4
	v_cmp_eq_f32_e64 s22, s10, 0
	s_mov_b32 s3, 0
	v_xor_b32_e32 v2, 16, v4
	v_xor_b32_e32 v3, 8, v4
	;; [unrolled: 1-line block ×5, first 2 shown]
	v_cmp_gt_i32_e32 vcc_lo, 32, v2
	s_mul_i32 s23, s18, s12
	s_mul_i32 s25, s13, s12
	v_cndmask_b32_e32 v8, v4, v2, vcc_lo
	v_cmp_gt_i32_e32 vcc_lo, 32, v3
	v_and_b32_e32 v0, 31, v0
	s_waitcnt lgkmcnt(0)
	s_add_u32 s4, s4, s14
	s_addc_u32 s5, s5, s15
	v_cndmask_b32_e32 v9, v4, v3, vcc_lo
	s_load_b64 s[20:21], s[4:5], 0x0
	v_cmp_gt_i32_e32 vcc_lo, 32, v5
	s_clause 0x2
	s_load_b64 s[4:5], s[0:1], 0x20
	s_load_b64 s[14:15], s[0:1], 0x30
	;; [unrolled: 1-line block ×3, first 2 shown]
	v_cmp_gt_i32_e64 s0, s13, v0
	v_cmp_eq_u32_e64 s1, 31, v0
	v_cndmask_b32_e32 v10, v4, v5, vcc_lo
	v_cmp_gt_i32_e32 vcc_lo, 32, v6
	v_lshlrev_b32_e32 v5, 2, v9
	v_cndmask_b32_e32 v11, v4, v6, vcc_lo
	v_cmp_gt_i32_e32 vcc_lo, 32, v7
	s_waitcnt lgkmcnt(0)
	s_sub_i32 s9, s20, s2
	s_sub_i32 s11, s21, s2
	v_mad_u64_u32 v[2:3], null, s12, s9, v[1:2]
	v_cndmask_b32_e32 v3, v4, v7, vcc_lo
	s_cmp_lt_i32 s20, s21
	v_lshlrev_b32_e32 v4, 2, v8
	v_lshlrev_b32_e32 v7, 2, v11
	;; [unrolled: 1-line block ×4, first 2 shown]
	v_mul_lo_u32 v9, s13, v2
	s_cselect_b32 s20, -1, 0
	s_cmp_lg_u32 s19, 0
	s_cselect_b32 s21, -1, 0
	s_lshl_b32 s24, s13, 2
	s_branch .LBB36_8
.LBB36_7:                               ;   in Loop: Header=BB36_8 Depth=1
	s_or_b32 exec_lo, exec_lo, s18
	v_add_nc_u32_e32 v1, 4, v1
	v_add_nc_u32_e32 v9, s24, v9
	s_delay_alu instid0(VALU_DEP_2) | instskip(SKIP_1) | instid1(SALU_CYCLE_1)
	v_cmp_le_i32_e32 vcc_lo, s12, v1
	s_or_b32 s3, vcc_lo, s3
	s_and_not1_b32 exec_lo, exec_lo, s3
	s_cbranch_execz .LBB36_24
.LBB36_8:                               ; =>This Loop Header: Depth=1
                                        ;     Child Loop BB36_12 Depth 2
                                        ;       Child Loop BB36_15 Depth 3
	v_mov_b32_e32 v10, 0
	s_and_not1_b32 vcc_lo, exec_lo, s20
	s_cbranch_vccnz .LBB36_19
; %bb.9:                                ;   in Loop: Header=BB36_8 Depth=1
	v_dual_mov_b32 v10, 0 :: v_dual_mov_b32 v11, v9
	s_mov_b32 s18, s9
	s_branch .LBB36_12
.LBB36_10:                              ;   in Loop: Header=BB36_12 Depth=2
	s_set_inst_prefetch_distance 0x2
	s_or_b32 exec_lo, exec_lo, s27
.LBB36_11:                              ;   in Loop: Header=BB36_12 Depth=2
	s_delay_alu instid0(SALU_CYCLE_1) | instskip(SKIP_2) | instid1(SALU_CYCLE_1)
	s_or_b32 exec_lo, exec_lo, s26
	v_add_nc_u32_e32 v11, s25, v11
	s_add_i32 s18, s18, 1
	s_cmp_ge_i32 s18, s11
	s_cbranch_scc1 .LBB36_19
.LBB36_12:                              ;   Parent Loop BB36_8 Depth=1
                                        ; =>  This Loop Header: Depth=2
                                        ;       Child Loop BB36_15 Depth 3
	s_and_saveexec_b32 s26, s0
	s_cbranch_execz .LBB36_11
; %bb.13:                               ;   in Loop: Header=BB36_12 Depth=2
	s_ashr_i32 s19, s18, 31
	v_mov_b32_e32 v12, v0
	s_lshl_b64 s[28:29], s[18:19], 2
	s_mov_b32 s27, 0
	s_add_u32 s28, s6, s28
	s_addc_u32 s29, s7, s29
	s_load_b32 s19, s[28:29], 0x0
	s_waitcnt lgkmcnt(0)
	s_sub_i32 s28, s19, s2
	s_mul_i32 s19, s18, s13
	s_mul_i32 s28, s28, s13
	s_set_inst_prefetch_distance 0x1
	s_branch .LBB36_15
	.p2align	6
.LBB36_14:                              ;   in Loop: Header=BB36_15 Depth=3
	v_add_nc_u32_e32 v13, s28, v12
	s_delay_alu instid0(VALU_DEP_2) | instskip(SKIP_1) | instid1(VALU_DEP_3)
	v_ashrrev_i32_e32 v3, 31, v2
	v_add_nc_u32_e32 v12, 32, v12
	v_ashrrev_i32_e32 v14, 31, v13
	s_delay_alu instid0(VALU_DEP_3) | instskip(NEXT) | instid1(VALU_DEP_2)
	v_lshlrev_b64 v[2:3], 2, v[2:3]
	v_lshlrev_b64 v[13:14], 2, v[13:14]
	s_delay_alu instid0(VALU_DEP_2) | instskip(NEXT) | instid1(VALU_DEP_3)
	v_add_co_u32 v2, vcc_lo, s4, v2
	v_add_co_ci_u32_e32 v3, vcc_lo, s5, v3, vcc_lo
	s_delay_alu instid0(VALU_DEP_3) | instskip(NEXT) | instid1(VALU_DEP_4)
	v_add_co_u32 v13, vcc_lo, s14, v13
	v_add_co_ci_u32_e32 v14, vcc_lo, s15, v14, vcc_lo
	v_cmp_le_i32_e32 vcc_lo, s13, v12
	global_load_b32 v2, v[2:3], off
	global_load_b32 v3, v[13:14], off
	s_or_b32 s27, vcc_lo, s27
	s_waitcnt vmcnt(0)
	v_fmac_f32_e32 v10, v2, v3
	s_and_not1_b32 exec_lo, exec_lo, s27
	s_cbranch_execz .LBB36_10
.LBB36_15:                              ;   Parent Loop BB36_8 Depth=1
                                        ;     Parent Loop BB36_12 Depth=2
                                        ; =>    This Inner Loop Header: Depth=3
	s_and_b32 vcc_lo, exec_lo, s21
	s_cbranch_vccz .LBB36_17
; %bb.16:                               ;   in Loop: Header=BB36_15 Depth=3
	v_add_nc_u32_e32 v13, s19, v12
	s_delay_alu instid0(VALU_DEP_1)
	v_mad_u64_u32 v[2:3], null, v13, s12, v[1:2]
	s_cbranch_execnz .LBB36_14
	s_branch .LBB36_18
	.p2align	6
.LBB36_17:                              ;   in Loop: Header=BB36_15 Depth=3
                                        ; implicit-def: $vgpr2
.LBB36_18:                              ;   in Loop: Header=BB36_15 Depth=3
	v_add_nc_u32_e32 v2, v11, v12
	s_branch .LBB36_14
.LBB36_19:                              ;   in Loop: Header=BB36_8 Depth=1
	ds_bpermute_b32 v2, v4, v10
	s_waitcnt lgkmcnt(0)
	v_add_f32_e32 v2, v10, v2
	ds_bpermute_b32 v3, v5, v2
	s_waitcnt lgkmcnt(0)
	v_add_f32_e32 v2, v2, v3
	;; [unrolled: 3-line block ×4, first 2 shown]
	ds_bpermute_b32 v3, v8, v2
	s_and_saveexec_b32 s18, s1
	s_cbranch_execz .LBB36_7
; %bb.20:                               ;   in Loop: Header=BB36_8 Depth=1
	s_waitcnt lgkmcnt(0)
	v_dual_add_f32 v3, v2, v3 :: v_dual_add_nc_u32 v2, s23, v1
	s_and_b32 vcc_lo, exec_lo, s22
	s_delay_alu instid0(VALU_DEP_1) | instskip(NEXT) | instid1(VALU_DEP_2)
	v_mul_f32_e32 v10, s8, v3
	v_ashrrev_i32_e32 v3, 31, v2
	s_cbranch_vccz .LBB36_22
; %bb.21:                               ;   in Loop: Header=BB36_8 Depth=1
	s_delay_alu instid0(VALU_DEP_1) | instskip(NEXT) | instid1(VALU_DEP_1)
	v_lshlrev_b64 v[11:12], 2, v[2:3]
	v_add_co_u32 v11, vcc_lo, s16, v11
	s_delay_alu instid0(VALU_DEP_2)
	v_add_co_ci_u32_e32 v12, vcc_lo, s17, v12, vcc_lo
	global_store_b32 v[11:12], v10, off
	s_cbranch_execnz .LBB36_7
	s_branch .LBB36_23
.LBB36_22:                              ;   in Loop: Header=BB36_8 Depth=1
.LBB36_23:                              ;   in Loop: Header=BB36_8 Depth=1
	s_delay_alu instid0(VALU_DEP_1) | instskip(NEXT) | instid1(VALU_DEP_1)
	v_lshlrev_b64 v[2:3], 2, v[2:3]
	v_add_co_u32 v2, vcc_lo, s16, v2
	s_delay_alu instid0(VALU_DEP_2)
	v_add_co_ci_u32_e32 v3, vcc_lo, s17, v3, vcc_lo
	global_load_b32 v11, v[2:3], off
	s_waitcnt vmcnt(0)
	v_fmac_f32_e32 v10, s10, v11
	global_store_b32 v[2:3], v10, off
	s_branch .LBB36_7
.LBB36_24:
	s_nop 0
	s_sendmsg sendmsg(MSG_DEALLOC_VGPRS)
	s_endpgm
	.section	.rodata,"a",@progbits
	.p2align	6, 0x0
	.amdhsa_kernel _ZN9rocsparseL23gebsrmvn_general_kernelILj128ELj32EfEEvi20rocsparse_direction_NS_24const_host_device_scalarIT1_EEPKiS6_PKS3_iiS8_S4_PS3_21rocsparse_index_base_b
		.amdhsa_group_segment_fixed_size 0
		.amdhsa_private_segment_fixed_size 0
		.amdhsa_kernarg_size 80
		.amdhsa_user_sgpr_count 15
		.amdhsa_user_sgpr_dispatch_ptr 0
		.amdhsa_user_sgpr_queue_ptr 0
		.amdhsa_user_sgpr_kernarg_segment_ptr 1
		.amdhsa_user_sgpr_dispatch_id 0
		.amdhsa_user_sgpr_private_segment_size 0
		.amdhsa_wavefront_size32 1
		.amdhsa_uses_dynamic_stack 0
		.amdhsa_enable_private_segment 0
		.amdhsa_system_sgpr_workgroup_id_x 1
		.amdhsa_system_sgpr_workgroup_id_y 0
		.amdhsa_system_sgpr_workgroup_id_z 0
		.amdhsa_system_sgpr_workgroup_info 0
		.amdhsa_system_vgpr_workitem_id 0
		.amdhsa_next_free_vgpr 15
		.amdhsa_next_free_sgpr 30
		.amdhsa_reserve_vcc 1
		.amdhsa_float_round_mode_32 0
		.amdhsa_float_round_mode_16_64 0
		.amdhsa_float_denorm_mode_32 3
		.amdhsa_float_denorm_mode_16_64 3
		.amdhsa_dx10_clamp 1
		.amdhsa_ieee_mode 1
		.amdhsa_fp16_overflow 0
		.amdhsa_workgroup_processor_mode 1
		.amdhsa_memory_ordered 1
		.amdhsa_forward_progress 0
		.amdhsa_shared_vgpr_count 0
		.amdhsa_exception_fp_ieee_invalid_op 0
		.amdhsa_exception_fp_denorm_src 0
		.amdhsa_exception_fp_ieee_div_zero 0
		.amdhsa_exception_fp_ieee_overflow 0
		.amdhsa_exception_fp_ieee_underflow 0
		.amdhsa_exception_fp_ieee_inexact 0
		.amdhsa_exception_int_div_zero 0
	.end_amdhsa_kernel
	.section	.text._ZN9rocsparseL23gebsrmvn_general_kernelILj128ELj32EfEEvi20rocsparse_direction_NS_24const_host_device_scalarIT1_EEPKiS6_PKS3_iiS8_S4_PS3_21rocsparse_index_base_b,"axG",@progbits,_ZN9rocsparseL23gebsrmvn_general_kernelILj128ELj32EfEEvi20rocsparse_direction_NS_24const_host_device_scalarIT1_EEPKiS6_PKS3_iiS8_S4_PS3_21rocsparse_index_base_b,comdat
.Lfunc_end36:
	.size	_ZN9rocsparseL23gebsrmvn_general_kernelILj128ELj32EfEEvi20rocsparse_direction_NS_24const_host_device_scalarIT1_EEPKiS6_PKS3_iiS8_S4_PS3_21rocsparse_index_base_b, .Lfunc_end36-_ZN9rocsparseL23gebsrmvn_general_kernelILj128ELj32EfEEvi20rocsparse_direction_NS_24const_host_device_scalarIT1_EEPKiS6_PKS3_iiS8_S4_PS3_21rocsparse_index_base_b
                                        ; -- End function
	.section	.AMDGPU.csdata,"",@progbits
; Kernel info:
; codeLenInByte = 940
; NumSgprs: 32
; NumVgprs: 15
; ScratchSize: 0
; MemoryBound: 0
; FloatMode: 240
; IeeeMode: 1
; LDSByteSize: 0 bytes/workgroup (compile time only)
; SGPRBlocks: 3
; VGPRBlocks: 1
; NumSGPRsForWavesPerEU: 32
; NumVGPRsForWavesPerEU: 15
; Occupancy: 16
; WaveLimiterHint : 1
; COMPUTE_PGM_RSRC2:SCRATCH_EN: 0
; COMPUTE_PGM_RSRC2:USER_SGPR: 15
; COMPUTE_PGM_RSRC2:TRAP_HANDLER: 0
; COMPUTE_PGM_RSRC2:TGID_X_EN: 1
; COMPUTE_PGM_RSRC2:TGID_Y_EN: 0
; COMPUTE_PGM_RSRC2:TGID_Z_EN: 0
; COMPUTE_PGM_RSRC2:TIDIG_COMP_CNT: 0
	.section	.text._ZN9rocsparseL19gebsrmvn_4xn_kernelILj128ELj1ELj4EdEEvi20rocsparse_direction_NS_24const_host_device_scalarIT2_EEPKiS6_PKS3_S8_S4_PS3_21rocsparse_index_base_b,"axG",@progbits,_ZN9rocsparseL19gebsrmvn_4xn_kernelILj128ELj1ELj4EdEEvi20rocsparse_direction_NS_24const_host_device_scalarIT2_EEPKiS6_PKS3_S8_S4_PS3_21rocsparse_index_base_b,comdat
	.globl	_ZN9rocsparseL19gebsrmvn_4xn_kernelILj128ELj1ELj4EdEEvi20rocsparse_direction_NS_24const_host_device_scalarIT2_EEPKiS6_PKS3_S8_S4_PS3_21rocsparse_index_base_b ; -- Begin function _ZN9rocsparseL19gebsrmvn_4xn_kernelILj128ELj1ELj4EdEEvi20rocsparse_direction_NS_24const_host_device_scalarIT2_EEPKiS6_PKS3_S8_S4_PS3_21rocsparse_index_base_b
	.p2align	8
	.type	_ZN9rocsparseL19gebsrmvn_4xn_kernelILj128ELj1ELj4EdEEvi20rocsparse_direction_NS_24const_host_device_scalarIT2_EEPKiS6_PKS3_S8_S4_PS3_21rocsparse_index_base_b,@function
_ZN9rocsparseL19gebsrmvn_4xn_kernelILj128ELj1ELj4EdEEvi20rocsparse_direction_NS_24const_host_device_scalarIT2_EEPKiS6_PKS3_S8_S4_PS3_21rocsparse_index_base_b: ; @_ZN9rocsparseL19gebsrmvn_4xn_kernelILj128ELj1ELj4EdEEvi20rocsparse_direction_NS_24const_host_device_scalarIT2_EEPKiS6_PKS3_S8_S4_PS3_21rocsparse_index_base_b
; %bb.0:
	s_clause 0x2
	s_load_b64 s[12:13], s[0:1], 0x40
	s_load_b64 s[4:5], s[0:1], 0x8
	;; [unrolled: 1-line block ×3, first 2 shown]
	s_waitcnt lgkmcnt(0)
	s_bitcmp1_b32 s13, 0
	v_dual_mov_b32 v1, s4 :: v_dual_mov_b32 v2, s5
	s_cselect_b32 s6, -1, 0
	s_delay_alu instid0(SALU_CYCLE_1)
	s_and_b32 vcc_lo, exec_lo, s6
	s_xor_b32 s6, s6, -1
	s_cbranch_vccnz .LBB37_2
; %bb.1:
	v_dual_mov_b32 v1, s4 :: v_dual_mov_b32 v2, s5
	flat_load_b64 v[1:2], v[1:2]
.LBB37_2:
	v_dual_mov_b32 v4, s3 :: v_dual_mov_b32 v3, s2
	s_and_not1_b32 vcc_lo, exec_lo, s6
	s_cbranch_vccnz .LBB37_4
; %bb.3:
	v_dual_mov_b32 v4, s3 :: v_dual_mov_b32 v3, s2
	flat_load_b64 v[3:4], v[3:4]
.LBB37_4:
	s_waitcnt vmcnt(0) lgkmcnt(0)
	v_cmp_neq_f64_e32 vcc_lo, 0, v[1:2]
	v_cmp_neq_f64_e64 s2, 1.0, v[3:4]
	s_delay_alu instid0(VALU_DEP_1) | instskip(NEXT) | instid1(SALU_CYCLE_1)
	s_or_b32 s2, vcc_lo, s2
	s_and_saveexec_b32 s3, s2
	s_cbranch_execz .LBB37_23
; %bb.5:
	s_load_b64 s[2:3], s[0:1], 0x0
	v_lshrrev_b32_e32 v5, 2, v0
	s_delay_alu instid0(VALU_DEP_1) | instskip(SKIP_1) | instid1(VALU_DEP_1)
	v_lshl_or_b32 v5, s15, 5, v5
	s_waitcnt lgkmcnt(0)
	v_cmp_gt_i32_e32 vcc_lo, s2, v5
	s_and_b32 exec_lo, exec_lo, vcc_lo
	s_cbranch_execz .LBB37_23
; %bb.6:
	s_load_b256 s[4:11], s[0:1], 0x10
	v_ashrrev_i32_e32 v6, 31, v5
	v_and_b32_e32 v0, 3, v0
	s_cmp_lg_u32 s3, 0
	s_delay_alu instid0(VALU_DEP_2) | instskip(SKIP_1) | instid1(VALU_DEP_1)
	v_lshlrev_b64 v[6:7], 2, v[5:6]
	s_waitcnt lgkmcnt(0)
	v_add_co_u32 v6, vcc_lo, s4, v6
	s_delay_alu instid0(VALU_DEP_2) | instskip(SKIP_4) | instid1(VALU_DEP_2)
	v_add_co_ci_u32_e32 v7, vcc_lo, s5, v7, vcc_lo
	global_load_b64 v[6:7], v[6:7], off
	s_waitcnt vmcnt(0)
	v_subrev_nc_u32_e32 v6, s12, v6
	v_subrev_nc_u32_e32 v19, s12, v7
	v_add_nc_u32_e32 v14, v6, v0
	s_delay_alu instid0(VALU_DEP_1)
	v_cmp_lt_i32_e64 s2, v14, v19
	s_cbranch_scc0 .LBB37_12
; %bb.7:
	v_mov_b32_e32 v6, 0
	v_mov_b32_e32 v7, 0
	s_delay_alu instid0(VALU_DEP_1)
	v_dual_mov_b32 v9, v7 :: v_dual_mov_b32 v8, v6
	v_dual_mov_b32 v11, v7 :: v_dual_mov_b32 v10, v6
	;; [unrolled: 1-line block ×3, first 2 shown]
	s_and_saveexec_b32 s3, s2
	s_cbranch_execz .LBB37_11
; %bb.8:
	v_dual_mov_b32 v6, 0 :: v_dual_lshlrev_b32 v15, 2, v14
	v_dual_mov_b32 v7, 0 :: v_dual_mov_b32 v16, 0
	v_mov_b32_e32 v17, v14
	s_mov_b32 s4, 0
	s_delay_alu instid0(VALU_DEP_2)
	v_dual_mov_b32 v9, v7 :: v_dual_mov_b32 v8, v6
	v_dual_mov_b32 v11, v7 :: v_dual_mov_b32 v10, v6
	;; [unrolled: 1-line block ×3, first 2 shown]
	s_set_inst_prefetch_distance 0x1
	.p2align	6
.LBB37_9:                               ; =>This Inner Loop Header: Depth=1
	v_ashrrev_i32_e32 v18, 31, v17
	v_mov_b32_e32 v25, v16
	s_delay_alu instid0(VALU_DEP_2) | instskip(SKIP_1) | instid1(VALU_DEP_2)
	v_lshlrev_b64 v[20:21], 2, v[17:18]
	v_add_nc_u32_e32 v17, 4, v17
	v_add_co_u32 v20, vcc_lo, s6, v20
	s_delay_alu instid0(VALU_DEP_3) | instskip(SKIP_3) | instid1(VALU_DEP_2)
	v_add_co_ci_u32_e32 v21, vcc_lo, s7, v21, vcc_lo
	global_load_b32 v18, v[20:21], off
	v_lshlrev_b64 v[20:21], 3, v[15:16]
	v_add_nc_u32_e32 v15, 16, v15
	v_add_co_u32 v26, vcc_lo, s8, v20
	s_delay_alu instid0(VALU_DEP_3) | instskip(SKIP_3) | instid1(VALU_DEP_1)
	v_add_co_ci_u32_e32 v27, vcc_lo, s9, v21, vcc_lo
	global_load_b128 v[20:23], v[26:27], off offset:16
	s_waitcnt vmcnt(1)
	v_subrev_nc_u32_e32 v24, s12, v18
	v_lshlrev_b64 v[24:25], 3, v[24:25]
	s_delay_alu instid0(VALU_DEP_1) | instskip(NEXT) | instid1(VALU_DEP_2)
	v_add_co_u32 v28, vcc_lo, s10, v24
	v_add_co_ci_u32_e32 v29, vcc_lo, s11, v25, vcc_lo
	v_cmp_ge_i32_e32 vcc_lo, v17, v19
	global_load_b128 v[24:27], v[26:27], off
	global_load_b64 v[28:29], v[28:29], off
	s_or_b32 s4, vcc_lo, s4
	s_waitcnt vmcnt(0)
	v_fma_f64 v[6:7], v[24:25], v[28:29], v[6:7]
	v_fma_f64 v[12:13], v[26:27], v[28:29], v[12:13]
	v_fma_f64 v[10:11], v[20:21], v[28:29], v[10:11]
	v_fma_f64 v[8:9], v[22:23], v[28:29], v[8:9]
	s_and_not1_b32 exec_lo, exec_lo, s4
	s_cbranch_execnz .LBB37_9
; %bb.10:
	s_set_inst_prefetch_distance 0x2
	s_or_b32 exec_lo, exec_lo, s4
.LBB37_11:
	s_delay_alu instid0(SALU_CYCLE_1)
	s_or_b32 exec_lo, exec_lo, s3
	s_cbranch_execz .LBB37_13
	s_branch .LBB37_18
.LBB37_12:
                                        ; implicit-def: $vgpr6_vgpr7
                                        ; implicit-def: $vgpr8_vgpr9
                                        ; implicit-def: $vgpr10_vgpr11
                                        ; implicit-def: $vgpr12_vgpr13
.LBB37_13:
	v_mov_b32_e32 v6, 0
	v_mov_b32_e32 v7, 0
	s_delay_alu instid0(VALU_DEP_1)
	v_dual_mov_b32 v9, v7 :: v_dual_mov_b32 v8, v6
	v_dual_mov_b32 v11, v7 :: v_dual_mov_b32 v10, v6
	;; [unrolled: 1-line block ×3, first 2 shown]
	s_and_saveexec_b32 s3, s2
	s_cbranch_execz .LBB37_17
; %bb.14:
	v_dual_mov_b32 v6, 0 :: v_dual_mov_b32 v17, 0
	v_dual_mov_b32 v7, 0 :: v_dual_lshlrev_b32 v16, 2, v14
	s_mov_b32 s2, 0
	s_delay_alu instid0(VALU_DEP_1)
	v_dual_mov_b32 v9, v7 :: v_dual_mov_b32 v8, v6
	v_dual_mov_b32 v11, v7 :: v_dual_mov_b32 v10, v6
	;; [unrolled: 1-line block ×3, first 2 shown]
	s_set_inst_prefetch_distance 0x1
	.p2align	6
.LBB37_15:                              ; =>This Inner Loop Header: Depth=1
	v_ashrrev_i32_e32 v15, 31, v14
	v_mov_b32_e32 v25, v17
	s_delay_alu instid0(VALU_DEP_2) | instskip(SKIP_1) | instid1(VALU_DEP_2)
	v_lshlrev_b64 v[20:21], 2, v[14:15]
	v_add_nc_u32_e32 v14, 4, v14
	v_add_co_u32 v20, vcc_lo, s6, v20
	s_delay_alu instid0(VALU_DEP_3) | instskip(SKIP_3) | instid1(VALU_DEP_2)
	v_add_co_ci_u32_e32 v21, vcc_lo, s7, v21, vcc_lo
	global_load_b32 v15, v[20:21], off
	v_lshlrev_b64 v[20:21], 3, v[16:17]
	v_add_nc_u32_e32 v16, 16, v16
	v_add_co_u32 v26, vcc_lo, s8, v20
	s_delay_alu instid0(VALU_DEP_3) | instskip(SKIP_3) | instid1(VALU_DEP_1)
	v_add_co_ci_u32_e32 v27, vcc_lo, s9, v21, vcc_lo
	global_load_b128 v[20:23], v[26:27], off offset:16
	s_waitcnt vmcnt(1)
	v_subrev_nc_u32_e32 v24, s12, v15
	v_lshlrev_b64 v[24:25], 3, v[24:25]
	s_delay_alu instid0(VALU_DEP_1) | instskip(NEXT) | instid1(VALU_DEP_2)
	v_add_co_u32 v28, vcc_lo, s10, v24
	v_add_co_ci_u32_e32 v29, vcc_lo, s11, v25, vcc_lo
	v_cmp_ge_i32_e32 vcc_lo, v14, v19
	global_load_b128 v[24:27], v[26:27], off
	global_load_b64 v[28:29], v[28:29], off
	s_or_b32 s2, vcc_lo, s2
	s_waitcnt vmcnt(0)
	v_fma_f64 v[6:7], v[24:25], v[28:29], v[6:7]
	v_fma_f64 v[12:13], v[26:27], v[28:29], v[12:13]
	;; [unrolled: 1-line block ×4, first 2 shown]
	s_and_not1_b32 exec_lo, exec_lo, s2
	s_cbranch_execnz .LBB37_15
; %bb.16:
	s_set_inst_prefetch_distance 0x2
	s_or_b32 exec_lo, exec_lo, s2
.LBB37_17:
	s_delay_alu instid0(SALU_CYCLE_1)
	s_or_b32 exec_lo, exec_lo, s3
.LBB37_18:
	v_mbcnt_lo_u32_b32 v24, -1, 0
	s_delay_alu instid0(VALU_DEP_1) | instskip(NEXT) | instid1(VALU_DEP_1)
	v_xor_b32_e32 v14, 2, v24
	v_cmp_gt_i32_e32 vcc_lo, 32, v14
	v_cndmask_b32_e32 v14, v24, v14, vcc_lo
	s_delay_alu instid0(VALU_DEP_1)
	v_lshlrev_b32_e32 v18, 2, v14
	ds_bpermute_b32 v14, v18, v6
	ds_bpermute_b32 v15, v18, v7
	;; [unrolled: 1-line block ×8, first 2 shown]
	s_waitcnt lgkmcnt(6)
	v_add_f64 v[18:19], v[6:7], v[14:15]
	s_waitcnt lgkmcnt(4)
	v_add_f64 v[16:17], v[12:13], v[16:17]
	s_waitcnt lgkmcnt(2)
	v_add_f64 v[6:7], v[10:11], v[20:21]
	s_waitcnt lgkmcnt(0)
	v_add_f64 v[14:15], v[8:9], v[22:23]
	v_xor_b32_e32 v8, 1, v24
	s_delay_alu instid0(VALU_DEP_1) | instskip(SKIP_2) | instid1(VALU_DEP_2)
	v_cmp_gt_i32_e32 vcc_lo, 32, v8
	v_cndmask_b32_e32 v8, v24, v8, vcc_lo
	v_cmp_eq_u32_e32 vcc_lo, 3, v0
	v_lshlrev_b32_e32 v21, 2, v8
	ds_bpermute_b32 v12, v21, v18
	ds_bpermute_b32 v13, v21, v19
	;; [unrolled: 1-line block ×8, first 2 shown]
	s_and_b32 exec_lo, exec_lo, vcc_lo
	s_cbranch_execz .LBB37_23
; %bb.19:
	s_waitcnt lgkmcnt(6)
	v_add_f64 v[12:13], v[18:19], v[12:13]
	s_waitcnt lgkmcnt(4)
	v_add_f64 v[10:11], v[16:17], v[10:11]
	;; [unrolled: 2-line block ×4, first 2 shown]
	s_load_b64 s[0:1], s[0:1], 0x38
	s_mov_b32 s2, exec_lo
	v_cmpx_eq_f64_e32 0, v[3:4]
	s_xor_b32 s2, exec_lo, s2
	s_cbranch_execz .LBB37_21
; %bb.20:
	v_mul_f64 v[12:13], v[1:2], v[12:13]
	v_mul_f64 v[14:15], v[1:2], v[10:11]
	;; [unrolled: 1-line block ×4, first 2 shown]
	v_lshlrev_b32_e32 v0, 2, v5
                                        ; implicit-def: $vgpr5
                                        ; implicit-def: $vgpr3_vgpr4
                                        ; implicit-def: $vgpr6_vgpr7
	s_delay_alu instid0(VALU_DEP_1) | instskip(NEXT) | instid1(VALU_DEP_1)
	v_ashrrev_i32_e32 v1, 31, v0
	v_lshlrev_b64 v[0:1], 3, v[0:1]
	s_waitcnt lgkmcnt(0)
	s_delay_alu instid0(VALU_DEP_1) | instskip(NEXT) | instid1(VALU_DEP_2)
	v_add_co_u32 v0, vcc_lo, s0, v0
	v_add_co_ci_u32_e32 v1, vcc_lo, s1, v1, vcc_lo
	s_clause 0x1
	global_store_b128 v[0:1], v[12:15], off
	global_store_b128 v[0:1], v[8:11], off offset:16
                                        ; implicit-def: $vgpr1_vgpr2
                                        ; implicit-def: $vgpr12_vgpr13
                                        ; implicit-def: $vgpr10_vgpr11
                                        ; implicit-def: $vgpr8_vgpr9
.LBB37_21:
	s_and_not1_saveexec_b32 s2, s2
	s_cbranch_execz .LBB37_23
; %bb.22:
	v_lshlrev_b32_e32 v14, 2, v5
	v_mul_f64 v[12:13], v[1:2], v[12:13]
	v_mul_f64 v[10:11], v[1:2], v[10:11]
	v_mul_f64 v[24:25], v[1:2], v[8:9]
	v_mul_f64 v[26:27], v[1:2], v[6:7]
	v_ashrrev_i32_e32 v15, 31, v14
	s_delay_alu instid0(VALU_DEP_1) | instskip(SKIP_1) | instid1(VALU_DEP_1)
	v_lshlrev_b64 v[14:15], 3, v[14:15]
	s_waitcnt lgkmcnt(0)
	v_add_co_u32 v22, vcc_lo, s0, v14
	s_delay_alu instid0(VALU_DEP_2)
	v_add_co_ci_u32_e32 v23, vcc_lo, s1, v15, vcc_lo
	s_clause 0x1
	global_load_b128 v[14:17], v[22:23], off
	global_load_b128 v[18:21], v[22:23], off offset:16
	s_waitcnt vmcnt(1)
	v_fma_f64 v[5:6], v[3:4], v[14:15], v[12:13]
	v_fma_f64 v[7:8], v[3:4], v[16:17], v[10:11]
	s_waitcnt vmcnt(0)
	v_fma_f64 v[0:1], v[3:4], v[18:19], v[24:25]
	v_fma_f64 v[2:3], v[3:4], v[20:21], v[26:27]
	s_clause 0x1
	global_store_b128 v[22:23], v[5:8], off
	global_store_b128 v[22:23], v[0:3], off offset:16
.LBB37_23:
	s_nop 0
	s_sendmsg sendmsg(MSG_DEALLOC_VGPRS)
	s_endpgm
	.section	.rodata,"a",@progbits
	.p2align	6, 0x0
	.amdhsa_kernel _ZN9rocsparseL19gebsrmvn_4xn_kernelILj128ELj1ELj4EdEEvi20rocsparse_direction_NS_24const_host_device_scalarIT2_EEPKiS6_PKS3_S8_S4_PS3_21rocsparse_index_base_b
		.amdhsa_group_segment_fixed_size 0
		.amdhsa_private_segment_fixed_size 0
		.amdhsa_kernarg_size 72
		.amdhsa_user_sgpr_count 15
		.amdhsa_user_sgpr_dispatch_ptr 0
		.amdhsa_user_sgpr_queue_ptr 0
		.amdhsa_user_sgpr_kernarg_segment_ptr 1
		.amdhsa_user_sgpr_dispatch_id 0
		.amdhsa_user_sgpr_private_segment_size 0
		.amdhsa_wavefront_size32 1
		.amdhsa_uses_dynamic_stack 0
		.amdhsa_enable_private_segment 0
		.amdhsa_system_sgpr_workgroup_id_x 1
		.amdhsa_system_sgpr_workgroup_id_y 0
		.amdhsa_system_sgpr_workgroup_id_z 0
		.amdhsa_system_sgpr_workgroup_info 0
		.amdhsa_system_vgpr_workitem_id 0
		.amdhsa_next_free_vgpr 30
		.amdhsa_next_free_sgpr 16
		.amdhsa_reserve_vcc 1
		.amdhsa_float_round_mode_32 0
		.amdhsa_float_round_mode_16_64 0
		.amdhsa_float_denorm_mode_32 3
		.amdhsa_float_denorm_mode_16_64 3
		.amdhsa_dx10_clamp 1
		.amdhsa_ieee_mode 1
		.amdhsa_fp16_overflow 0
		.amdhsa_workgroup_processor_mode 1
		.amdhsa_memory_ordered 1
		.amdhsa_forward_progress 0
		.amdhsa_shared_vgpr_count 0
		.amdhsa_exception_fp_ieee_invalid_op 0
		.amdhsa_exception_fp_denorm_src 0
		.amdhsa_exception_fp_ieee_div_zero 0
		.amdhsa_exception_fp_ieee_overflow 0
		.amdhsa_exception_fp_ieee_underflow 0
		.amdhsa_exception_fp_ieee_inexact 0
		.amdhsa_exception_int_div_zero 0
	.end_amdhsa_kernel
	.section	.text._ZN9rocsparseL19gebsrmvn_4xn_kernelILj128ELj1ELj4EdEEvi20rocsparse_direction_NS_24const_host_device_scalarIT2_EEPKiS6_PKS3_S8_S4_PS3_21rocsparse_index_base_b,"axG",@progbits,_ZN9rocsparseL19gebsrmvn_4xn_kernelILj128ELj1ELj4EdEEvi20rocsparse_direction_NS_24const_host_device_scalarIT2_EEPKiS6_PKS3_S8_S4_PS3_21rocsparse_index_base_b,comdat
.Lfunc_end37:
	.size	_ZN9rocsparseL19gebsrmvn_4xn_kernelILj128ELj1ELj4EdEEvi20rocsparse_direction_NS_24const_host_device_scalarIT2_EEPKiS6_PKS3_S8_S4_PS3_21rocsparse_index_base_b, .Lfunc_end37-_ZN9rocsparseL19gebsrmvn_4xn_kernelILj128ELj1ELj4EdEEvi20rocsparse_direction_NS_24const_host_device_scalarIT2_EEPKiS6_PKS3_S8_S4_PS3_21rocsparse_index_base_b
                                        ; -- End function
	.section	.AMDGPU.csdata,"",@progbits
; Kernel info:
; codeLenInByte = 1456
; NumSgprs: 18
; NumVgprs: 30
; ScratchSize: 0
; MemoryBound: 0
; FloatMode: 240
; IeeeMode: 1
; LDSByteSize: 0 bytes/workgroup (compile time only)
; SGPRBlocks: 2
; VGPRBlocks: 3
; NumSGPRsForWavesPerEU: 18
; NumVGPRsForWavesPerEU: 30
; Occupancy: 16
; WaveLimiterHint : 1
; COMPUTE_PGM_RSRC2:SCRATCH_EN: 0
; COMPUTE_PGM_RSRC2:USER_SGPR: 15
; COMPUTE_PGM_RSRC2:TRAP_HANDLER: 0
; COMPUTE_PGM_RSRC2:TGID_X_EN: 1
; COMPUTE_PGM_RSRC2:TGID_Y_EN: 0
; COMPUTE_PGM_RSRC2:TGID_Z_EN: 0
; COMPUTE_PGM_RSRC2:TIDIG_COMP_CNT: 0
	.section	.text._ZN9rocsparseL19gebsrmvn_4xn_kernelILj128ELj1ELj8EdEEvi20rocsparse_direction_NS_24const_host_device_scalarIT2_EEPKiS6_PKS3_S8_S4_PS3_21rocsparse_index_base_b,"axG",@progbits,_ZN9rocsparseL19gebsrmvn_4xn_kernelILj128ELj1ELj8EdEEvi20rocsparse_direction_NS_24const_host_device_scalarIT2_EEPKiS6_PKS3_S8_S4_PS3_21rocsparse_index_base_b,comdat
	.globl	_ZN9rocsparseL19gebsrmvn_4xn_kernelILj128ELj1ELj8EdEEvi20rocsparse_direction_NS_24const_host_device_scalarIT2_EEPKiS6_PKS3_S8_S4_PS3_21rocsparse_index_base_b ; -- Begin function _ZN9rocsparseL19gebsrmvn_4xn_kernelILj128ELj1ELj8EdEEvi20rocsparse_direction_NS_24const_host_device_scalarIT2_EEPKiS6_PKS3_S8_S4_PS3_21rocsparse_index_base_b
	.p2align	8
	.type	_ZN9rocsparseL19gebsrmvn_4xn_kernelILj128ELj1ELj8EdEEvi20rocsparse_direction_NS_24const_host_device_scalarIT2_EEPKiS6_PKS3_S8_S4_PS3_21rocsparse_index_base_b,@function
_ZN9rocsparseL19gebsrmvn_4xn_kernelILj128ELj1ELj8EdEEvi20rocsparse_direction_NS_24const_host_device_scalarIT2_EEPKiS6_PKS3_S8_S4_PS3_21rocsparse_index_base_b: ; @_ZN9rocsparseL19gebsrmvn_4xn_kernelILj128ELj1ELj8EdEEvi20rocsparse_direction_NS_24const_host_device_scalarIT2_EEPKiS6_PKS3_S8_S4_PS3_21rocsparse_index_base_b
; %bb.0:
	s_clause 0x2
	s_load_b64 s[12:13], s[0:1], 0x40
	s_load_b64 s[4:5], s[0:1], 0x8
	;; [unrolled: 1-line block ×3, first 2 shown]
	s_waitcnt lgkmcnt(0)
	s_bitcmp1_b32 s13, 0
	v_dual_mov_b32 v1, s4 :: v_dual_mov_b32 v2, s5
	s_cselect_b32 s6, -1, 0
	s_delay_alu instid0(SALU_CYCLE_1)
	s_and_b32 vcc_lo, exec_lo, s6
	s_xor_b32 s6, s6, -1
	s_cbranch_vccnz .LBB38_2
; %bb.1:
	v_dual_mov_b32 v1, s4 :: v_dual_mov_b32 v2, s5
	flat_load_b64 v[1:2], v[1:2]
.LBB38_2:
	v_dual_mov_b32 v4, s3 :: v_dual_mov_b32 v3, s2
	s_and_not1_b32 vcc_lo, exec_lo, s6
	s_cbranch_vccnz .LBB38_4
; %bb.3:
	v_dual_mov_b32 v4, s3 :: v_dual_mov_b32 v3, s2
	flat_load_b64 v[3:4], v[3:4]
.LBB38_4:
	s_waitcnt vmcnt(0) lgkmcnt(0)
	v_cmp_neq_f64_e32 vcc_lo, 0, v[1:2]
	v_cmp_neq_f64_e64 s2, 1.0, v[3:4]
	s_delay_alu instid0(VALU_DEP_1) | instskip(NEXT) | instid1(SALU_CYCLE_1)
	s_or_b32 s2, vcc_lo, s2
	s_and_saveexec_b32 s3, s2
	s_cbranch_execz .LBB38_23
; %bb.5:
	s_load_b64 s[2:3], s[0:1], 0x0
	v_lshrrev_b32_e32 v5, 3, v0
	s_delay_alu instid0(VALU_DEP_1) | instskip(SKIP_1) | instid1(VALU_DEP_1)
	v_lshl_or_b32 v5, s15, 4, v5
	s_waitcnt lgkmcnt(0)
	v_cmp_gt_i32_e32 vcc_lo, s2, v5
	s_and_b32 exec_lo, exec_lo, vcc_lo
	s_cbranch_execz .LBB38_23
; %bb.6:
	s_load_b256 s[4:11], s[0:1], 0x10
	v_ashrrev_i32_e32 v6, 31, v5
	v_and_b32_e32 v0, 7, v0
	s_cmp_lg_u32 s3, 0
	s_delay_alu instid0(VALU_DEP_2) | instskip(SKIP_1) | instid1(VALU_DEP_1)
	v_lshlrev_b64 v[6:7], 2, v[5:6]
	s_waitcnt lgkmcnt(0)
	v_add_co_u32 v6, vcc_lo, s4, v6
	s_delay_alu instid0(VALU_DEP_2) | instskip(SKIP_4) | instid1(VALU_DEP_2)
	v_add_co_ci_u32_e32 v7, vcc_lo, s5, v7, vcc_lo
	global_load_b64 v[6:7], v[6:7], off
	s_waitcnt vmcnt(0)
	v_subrev_nc_u32_e32 v6, s12, v6
	v_subrev_nc_u32_e32 v19, s12, v7
	v_add_nc_u32_e32 v14, v6, v0
	s_delay_alu instid0(VALU_DEP_1)
	v_cmp_lt_i32_e64 s2, v14, v19
	s_cbranch_scc0 .LBB38_12
; %bb.7:
	v_mov_b32_e32 v6, 0
	v_mov_b32_e32 v7, 0
	s_delay_alu instid0(VALU_DEP_1)
	v_dual_mov_b32 v9, v7 :: v_dual_mov_b32 v8, v6
	v_dual_mov_b32 v11, v7 :: v_dual_mov_b32 v10, v6
	;; [unrolled: 1-line block ×3, first 2 shown]
	s_and_saveexec_b32 s3, s2
	s_cbranch_execz .LBB38_11
; %bb.8:
	v_dual_mov_b32 v6, 0 :: v_dual_lshlrev_b32 v15, 2, v14
	v_dual_mov_b32 v7, 0 :: v_dual_mov_b32 v16, 0
	v_mov_b32_e32 v17, v14
	s_mov_b32 s4, 0
	s_delay_alu instid0(VALU_DEP_2)
	v_dual_mov_b32 v9, v7 :: v_dual_mov_b32 v8, v6
	v_dual_mov_b32 v11, v7 :: v_dual_mov_b32 v10, v6
	;; [unrolled: 1-line block ×3, first 2 shown]
	s_set_inst_prefetch_distance 0x1
	.p2align	6
.LBB38_9:                               ; =>This Inner Loop Header: Depth=1
	v_ashrrev_i32_e32 v18, 31, v17
	v_mov_b32_e32 v25, v16
	s_delay_alu instid0(VALU_DEP_2) | instskip(SKIP_1) | instid1(VALU_DEP_2)
	v_lshlrev_b64 v[20:21], 2, v[17:18]
	v_add_nc_u32_e32 v17, 8, v17
	v_add_co_u32 v20, vcc_lo, s6, v20
	s_delay_alu instid0(VALU_DEP_3) | instskip(SKIP_3) | instid1(VALU_DEP_2)
	v_add_co_ci_u32_e32 v21, vcc_lo, s7, v21, vcc_lo
	global_load_b32 v18, v[20:21], off
	v_lshlrev_b64 v[20:21], 3, v[15:16]
	v_add_nc_u32_e32 v15, 32, v15
	v_add_co_u32 v26, vcc_lo, s8, v20
	s_delay_alu instid0(VALU_DEP_3) | instskip(SKIP_3) | instid1(VALU_DEP_1)
	v_add_co_ci_u32_e32 v27, vcc_lo, s9, v21, vcc_lo
	global_load_b128 v[20:23], v[26:27], off offset:16
	s_waitcnt vmcnt(1)
	v_subrev_nc_u32_e32 v24, s12, v18
	v_lshlrev_b64 v[24:25], 3, v[24:25]
	s_delay_alu instid0(VALU_DEP_1) | instskip(NEXT) | instid1(VALU_DEP_2)
	v_add_co_u32 v28, vcc_lo, s10, v24
	v_add_co_ci_u32_e32 v29, vcc_lo, s11, v25, vcc_lo
	v_cmp_ge_i32_e32 vcc_lo, v17, v19
	global_load_b128 v[24:27], v[26:27], off
	global_load_b64 v[28:29], v[28:29], off
	s_or_b32 s4, vcc_lo, s4
	s_waitcnt vmcnt(0)
	v_fma_f64 v[6:7], v[24:25], v[28:29], v[6:7]
	v_fma_f64 v[12:13], v[26:27], v[28:29], v[12:13]
	;; [unrolled: 1-line block ×4, first 2 shown]
	s_and_not1_b32 exec_lo, exec_lo, s4
	s_cbranch_execnz .LBB38_9
; %bb.10:
	s_set_inst_prefetch_distance 0x2
	s_or_b32 exec_lo, exec_lo, s4
.LBB38_11:
	s_delay_alu instid0(SALU_CYCLE_1)
	s_or_b32 exec_lo, exec_lo, s3
	s_cbranch_execz .LBB38_13
	s_branch .LBB38_18
.LBB38_12:
                                        ; implicit-def: $vgpr6_vgpr7
                                        ; implicit-def: $vgpr8_vgpr9
                                        ; implicit-def: $vgpr10_vgpr11
                                        ; implicit-def: $vgpr12_vgpr13
.LBB38_13:
	v_mov_b32_e32 v6, 0
	v_mov_b32_e32 v7, 0
	s_delay_alu instid0(VALU_DEP_1)
	v_dual_mov_b32 v9, v7 :: v_dual_mov_b32 v8, v6
	v_dual_mov_b32 v11, v7 :: v_dual_mov_b32 v10, v6
	v_dual_mov_b32 v13, v7 :: v_dual_mov_b32 v12, v6
	s_and_saveexec_b32 s3, s2
	s_cbranch_execz .LBB38_17
; %bb.14:
	v_dual_mov_b32 v6, 0 :: v_dual_mov_b32 v17, 0
	v_dual_mov_b32 v7, 0 :: v_dual_lshlrev_b32 v16, 2, v14
	s_mov_b32 s2, 0
	s_delay_alu instid0(VALU_DEP_1)
	v_dual_mov_b32 v9, v7 :: v_dual_mov_b32 v8, v6
	v_dual_mov_b32 v11, v7 :: v_dual_mov_b32 v10, v6
	;; [unrolled: 1-line block ×3, first 2 shown]
	s_set_inst_prefetch_distance 0x1
	.p2align	6
.LBB38_15:                              ; =>This Inner Loop Header: Depth=1
	v_ashrrev_i32_e32 v15, 31, v14
	v_mov_b32_e32 v25, v17
	s_delay_alu instid0(VALU_DEP_2) | instskip(SKIP_1) | instid1(VALU_DEP_2)
	v_lshlrev_b64 v[20:21], 2, v[14:15]
	v_add_nc_u32_e32 v14, 8, v14
	v_add_co_u32 v20, vcc_lo, s6, v20
	s_delay_alu instid0(VALU_DEP_3) | instskip(SKIP_3) | instid1(VALU_DEP_2)
	v_add_co_ci_u32_e32 v21, vcc_lo, s7, v21, vcc_lo
	global_load_b32 v15, v[20:21], off
	v_lshlrev_b64 v[20:21], 3, v[16:17]
	v_add_nc_u32_e32 v16, 32, v16
	v_add_co_u32 v26, vcc_lo, s8, v20
	s_delay_alu instid0(VALU_DEP_3) | instskip(SKIP_3) | instid1(VALU_DEP_1)
	v_add_co_ci_u32_e32 v27, vcc_lo, s9, v21, vcc_lo
	global_load_b128 v[20:23], v[26:27], off offset:16
	s_waitcnt vmcnt(1)
	v_subrev_nc_u32_e32 v24, s12, v15
	v_lshlrev_b64 v[24:25], 3, v[24:25]
	s_delay_alu instid0(VALU_DEP_1) | instskip(NEXT) | instid1(VALU_DEP_2)
	v_add_co_u32 v28, vcc_lo, s10, v24
	v_add_co_ci_u32_e32 v29, vcc_lo, s11, v25, vcc_lo
	v_cmp_ge_i32_e32 vcc_lo, v14, v19
	global_load_b128 v[24:27], v[26:27], off
	global_load_b64 v[28:29], v[28:29], off
	s_or_b32 s2, vcc_lo, s2
	s_waitcnt vmcnt(0)
	v_fma_f64 v[6:7], v[24:25], v[28:29], v[6:7]
	v_fma_f64 v[12:13], v[26:27], v[28:29], v[12:13]
	;; [unrolled: 1-line block ×4, first 2 shown]
	s_and_not1_b32 exec_lo, exec_lo, s2
	s_cbranch_execnz .LBB38_15
; %bb.16:
	s_set_inst_prefetch_distance 0x2
	s_or_b32 exec_lo, exec_lo, s2
.LBB38_17:
	s_delay_alu instid0(SALU_CYCLE_1)
	s_or_b32 exec_lo, exec_lo, s3
.LBB38_18:
	v_mbcnt_lo_u32_b32 v24, -1, 0
	s_delay_alu instid0(VALU_DEP_1) | instskip(NEXT) | instid1(VALU_DEP_1)
	v_xor_b32_e32 v14, 4, v24
	v_cmp_gt_i32_e32 vcc_lo, 32, v14
	v_cndmask_b32_e32 v14, v24, v14, vcc_lo
	s_delay_alu instid0(VALU_DEP_1)
	v_lshlrev_b32_e32 v21, 2, v14
	ds_bpermute_b32 v14, v21, v6
	ds_bpermute_b32 v15, v21, v7
	;; [unrolled: 1-line block ×8, first 2 shown]
	s_waitcnt lgkmcnt(6)
	v_add_f64 v[6:7], v[6:7], v[14:15]
	s_waitcnt lgkmcnt(4)
	v_add_f64 v[12:13], v[12:13], v[16:17]
	;; [unrolled: 2-line block ×4, first 2 shown]
	v_xor_b32_e32 v8, 2, v24
	s_delay_alu instid0(VALU_DEP_1) | instskip(SKIP_1) | instid1(VALU_DEP_1)
	v_cmp_gt_i32_e32 vcc_lo, 32, v8
	v_cndmask_b32_e32 v8, v24, v8, vcc_lo
	v_lshlrev_b32_e32 v10, 2, v8
	ds_bpermute_b32 v8, v10, v6
	ds_bpermute_b32 v9, v10, v7
	;; [unrolled: 1-line block ×8, first 2 shown]
	s_waitcnt lgkmcnt(6)
	v_add_f64 v[10:11], v[6:7], v[8:9]
	s_waitcnt lgkmcnt(4)
	v_add_f64 v[8:9], v[12:13], v[18:19]
	v_xor_b32_e32 v12, 1, v24
	s_waitcnt lgkmcnt(2)
	v_add_f64 v[6:7], v[14:15], v[20:21]
	s_waitcnt lgkmcnt(0)
	v_add_f64 v[14:15], v[16:17], v[22:23]
	v_cmp_gt_i32_e32 vcc_lo, 32, v12
	v_cndmask_b32_e32 v12, v24, v12, vcc_lo
	v_cmp_eq_u32_e32 vcc_lo, 7, v0
	s_delay_alu instid0(VALU_DEP_2)
	v_lshlrev_b32_e32 v17, 2, v12
	ds_bpermute_b32 v12, v17, v10
	ds_bpermute_b32 v13, v17, v11
	;; [unrolled: 1-line block ×8, first 2 shown]
	s_and_b32 exec_lo, exec_lo, vcc_lo
	s_cbranch_execz .LBB38_23
; %bb.19:
	s_waitcnt lgkmcnt(6)
	v_add_f64 v[12:13], v[10:11], v[12:13]
	s_waitcnt lgkmcnt(4)
	v_add_f64 v[10:11], v[8:9], v[20:21]
	;; [unrolled: 2-line block ×4, first 2 shown]
	s_load_b64 s[0:1], s[0:1], 0x38
	s_mov_b32 s2, exec_lo
	v_cmpx_eq_f64_e32 0, v[3:4]
	s_xor_b32 s2, exec_lo, s2
	s_cbranch_execz .LBB38_21
; %bb.20:
	v_mul_f64 v[12:13], v[1:2], v[12:13]
	v_mul_f64 v[14:15], v[1:2], v[10:11]
	;; [unrolled: 1-line block ×4, first 2 shown]
	v_lshlrev_b32_e32 v0, 2, v5
                                        ; implicit-def: $vgpr5
                                        ; implicit-def: $vgpr3_vgpr4
                                        ; implicit-def: $vgpr6_vgpr7
	s_delay_alu instid0(VALU_DEP_1) | instskip(NEXT) | instid1(VALU_DEP_1)
	v_ashrrev_i32_e32 v1, 31, v0
	v_lshlrev_b64 v[0:1], 3, v[0:1]
	s_waitcnt lgkmcnt(0)
	s_delay_alu instid0(VALU_DEP_1) | instskip(NEXT) | instid1(VALU_DEP_2)
	v_add_co_u32 v0, vcc_lo, s0, v0
	v_add_co_ci_u32_e32 v1, vcc_lo, s1, v1, vcc_lo
	s_clause 0x1
	global_store_b128 v[0:1], v[12:15], off
	global_store_b128 v[0:1], v[8:11], off offset:16
                                        ; implicit-def: $vgpr1_vgpr2
                                        ; implicit-def: $vgpr12_vgpr13
                                        ; implicit-def: $vgpr10_vgpr11
                                        ; implicit-def: $vgpr8_vgpr9
.LBB38_21:
	s_and_not1_saveexec_b32 s2, s2
	s_cbranch_execz .LBB38_23
; %bb.22:
	v_lshlrev_b32_e32 v14, 2, v5
	v_mul_f64 v[12:13], v[1:2], v[12:13]
	v_mul_f64 v[10:11], v[1:2], v[10:11]
	;; [unrolled: 1-line block ×4, first 2 shown]
	v_ashrrev_i32_e32 v15, 31, v14
	s_delay_alu instid0(VALU_DEP_1) | instskip(SKIP_1) | instid1(VALU_DEP_1)
	v_lshlrev_b64 v[14:15], 3, v[14:15]
	s_waitcnt lgkmcnt(0)
	v_add_co_u32 v22, vcc_lo, s0, v14
	s_delay_alu instid0(VALU_DEP_2)
	v_add_co_ci_u32_e32 v23, vcc_lo, s1, v15, vcc_lo
	s_clause 0x1
	global_load_b128 v[14:17], v[22:23], off
	global_load_b128 v[18:21], v[22:23], off offset:16
	s_waitcnt vmcnt(1)
	v_fma_f64 v[5:6], v[3:4], v[14:15], v[12:13]
	v_fma_f64 v[7:8], v[3:4], v[16:17], v[10:11]
	s_waitcnt vmcnt(0)
	v_fma_f64 v[0:1], v[3:4], v[18:19], v[24:25]
	v_fma_f64 v[2:3], v[3:4], v[20:21], v[26:27]
	s_clause 0x1
	global_store_b128 v[22:23], v[5:8], off
	global_store_b128 v[22:23], v[0:3], off offset:16
.LBB38_23:
	s_nop 0
	s_sendmsg sendmsg(MSG_DEALLOC_VGPRS)
	s_endpgm
	.section	.rodata,"a",@progbits
	.p2align	6, 0x0
	.amdhsa_kernel _ZN9rocsparseL19gebsrmvn_4xn_kernelILj128ELj1ELj8EdEEvi20rocsparse_direction_NS_24const_host_device_scalarIT2_EEPKiS6_PKS3_S8_S4_PS3_21rocsparse_index_base_b
		.amdhsa_group_segment_fixed_size 0
		.amdhsa_private_segment_fixed_size 0
		.amdhsa_kernarg_size 72
		.amdhsa_user_sgpr_count 15
		.amdhsa_user_sgpr_dispatch_ptr 0
		.amdhsa_user_sgpr_queue_ptr 0
		.amdhsa_user_sgpr_kernarg_segment_ptr 1
		.amdhsa_user_sgpr_dispatch_id 0
		.amdhsa_user_sgpr_private_segment_size 0
		.amdhsa_wavefront_size32 1
		.amdhsa_uses_dynamic_stack 0
		.amdhsa_enable_private_segment 0
		.amdhsa_system_sgpr_workgroup_id_x 1
		.amdhsa_system_sgpr_workgroup_id_y 0
		.amdhsa_system_sgpr_workgroup_id_z 0
		.amdhsa_system_sgpr_workgroup_info 0
		.amdhsa_system_vgpr_workitem_id 0
		.amdhsa_next_free_vgpr 30
		.amdhsa_next_free_sgpr 16
		.amdhsa_reserve_vcc 1
		.amdhsa_float_round_mode_32 0
		.amdhsa_float_round_mode_16_64 0
		.amdhsa_float_denorm_mode_32 3
		.amdhsa_float_denorm_mode_16_64 3
		.amdhsa_dx10_clamp 1
		.amdhsa_ieee_mode 1
		.amdhsa_fp16_overflow 0
		.amdhsa_workgroup_processor_mode 1
		.amdhsa_memory_ordered 1
		.amdhsa_forward_progress 0
		.amdhsa_shared_vgpr_count 0
		.amdhsa_exception_fp_ieee_invalid_op 0
		.amdhsa_exception_fp_denorm_src 0
		.amdhsa_exception_fp_ieee_div_zero 0
		.amdhsa_exception_fp_ieee_overflow 0
		.amdhsa_exception_fp_ieee_underflow 0
		.amdhsa_exception_fp_ieee_inexact 0
		.amdhsa_exception_int_div_zero 0
	.end_amdhsa_kernel
	.section	.text._ZN9rocsparseL19gebsrmvn_4xn_kernelILj128ELj1ELj8EdEEvi20rocsparse_direction_NS_24const_host_device_scalarIT2_EEPKiS6_PKS3_S8_S4_PS3_21rocsparse_index_base_b,"axG",@progbits,_ZN9rocsparseL19gebsrmvn_4xn_kernelILj128ELj1ELj8EdEEvi20rocsparse_direction_NS_24const_host_device_scalarIT2_EEPKiS6_PKS3_S8_S4_PS3_21rocsparse_index_base_b,comdat
.Lfunc_end38:
	.size	_ZN9rocsparseL19gebsrmvn_4xn_kernelILj128ELj1ELj8EdEEvi20rocsparse_direction_NS_24const_host_device_scalarIT2_EEPKiS6_PKS3_S8_S4_PS3_21rocsparse_index_base_b, .Lfunc_end38-_ZN9rocsparseL19gebsrmvn_4xn_kernelILj128ELj1ELj8EdEEvi20rocsparse_direction_NS_24const_host_device_scalarIT2_EEPKiS6_PKS3_S8_S4_PS3_21rocsparse_index_base_b
                                        ; -- End function
	.section	.AMDGPU.csdata,"",@progbits
; Kernel info:
; codeLenInByte = 1588
; NumSgprs: 18
; NumVgprs: 30
; ScratchSize: 0
; MemoryBound: 0
; FloatMode: 240
; IeeeMode: 1
; LDSByteSize: 0 bytes/workgroup (compile time only)
; SGPRBlocks: 2
; VGPRBlocks: 3
; NumSGPRsForWavesPerEU: 18
; NumVGPRsForWavesPerEU: 30
; Occupancy: 16
; WaveLimiterHint : 1
; COMPUTE_PGM_RSRC2:SCRATCH_EN: 0
; COMPUTE_PGM_RSRC2:USER_SGPR: 15
; COMPUTE_PGM_RSRC2:TRAP_HANDLER: 0
; COMPUTE_PGM_RSRC2:TGID_X_EN: 1
; COMPUTE_PGM_RSRC2:TGID_Y_EN: 0
; COMPUTE_PGM_RSRC2:TGID_Z_EN: 0
; COMPUTE_PGM_RSRC2:TIDIG_COMP_CNT: 0
	.section	.text._ZN9rocsparseL19gebsrmvn_4xn_kernelILj128ELj1ELj16EdEEvi20rocsparse_direction_NS_24const_host_device_scalarIT2_EEPKiS6_PKS3_S8_S4_PS3_21rocsparse_index_base_b,"axG",@progbits,_ZN9rocsparseL19gebsrmvn_4xn_kernelILj128ELj1ELj16EdEEvi20rocsparse_direction_NS_24const_host_device_scalarIT2_EEPKiS6_PKS3_S8_S4_PS3_21rocsparse_index_base_b,comdat
	.globl	_ZN9rocsparseL19gebsrmvn_4xn_kernelILj128ELj1ELj16EdEEvi20rocsparse_direction_NS_24const_host_device_scalarIT2_EEPKiS6_PKS3_S8_S4_PS3_21rocsparse_index_base_b ; -- Begin function _ZN9rocsparseL19gebsrmvn_4xn_kernelILj128ELj1ELj16EdEEvi20rocsparse_direction_NS_24const_host_device_scalarIT2_EEPKiS6_PKS3_S8_S4_PS3_21rocsparse_index_base_b
	.p2align	8
	.type	_ZN9rocsparseL19gebsrmvn_4xn_kernelILj128ELj1ELj16EdEEvi20rocsparse_direction_NS_24const_host_device_scalarIT2_EEPKiS6_PKS3_S8_S4_PS3_21rocsparse_index_base_b,@function
_ZN9rocsparseL19gebsrmvn_4xn_kernelILj128ELj1ELj16EdEEvi20rocsparse_direction_NS_24const_host_device_scalarIT2_EEPKiS6_PKS3_S8_S4_PS3_21rocsparse_index_base_b: ; @_ZN9rocsparseL19gebsrmvn_4xn_kernelILj128ELj1ELj16EdEEvi20rocsparse_direction_NS_24const_host_device_scalarIT2_EEPKiS6_PKS3_S8_S4_PS3_21rocsparse_index_base_b
; %bb.0:
	s_clause 0x2
	s_load_b64 s[12:13], s[0:1], 0x40
	s_load_b64 s[4:5], s[0:1], 0x8
	s_load_b64 s[2:3], s[0:1], 0x30
	s_waitcnt lgkmcnt(0)
	s_bitcmp1_b32 s13, 0
	v_dual_mov_b32 v1, s4 :: v_dual_mov_b32 v2, s5
	s_cselect_b32 s6, -1, 0
	s_delay_alu instid0(SALU_CYCLE_1)
	s_and_b32 vcc_lo, exec_lo, s6
	s_xor_b32 s6, s6, -1
	s_cbranch_vccnz .LBB39_2
; %bb.1:
	v_dual_mov_b32 v1, s4 :: v_dual_mov_b32 v2, s5
	flat_load_b64 v[1:2], v[1:2]
.LBB39_2:
	v_dual_mov_b32 v4, s3 :: v_dual_mov_b32 v3, s2
	s_and_not1_b32 vcc_lo, exec_lo, s6
	s_cbranch_vccnz .LBB39_4
; %bb.3:
	v_dual_mov_b32 v4, s3 :: v_dual_mov_b32 v3, s2
	flat_load_b64 v[3:4], v[3:4]
.LBB39_4:
	s_waitcnt vmcnt(0) lgkmcnt(0)
	v_cmp_neq_f64_e32 vcc_lo, 0, v[1:2]
	v_cmp_neq_f64_e64 s2, 1.0, v[3:4]
	s_delay_alu instid0(VALU_DEP_1) | instskip(NEXT) | instid1(SALU_CYCLE_1)
	s_or_b32 s2, vcc_lo, s2
	s_and_saveexec_b32 s3, s2
	s_cbranch_execz .LBB39_23
; %bb.5:
	s_load_b64 s[2:3], s[0:1], 0x0
	v_lshrrev_b32_e32 v5, 4, v0
	s_delay_alu instid0(VALU_DEP_1) | instskip(SKIP_1) | instid1(VALU_DEP_1)
	v_lshl_or_b32 v5, s15, 3, v5
	s_waitcnt lgkmcnt(0)
	v_cmp_gt_i32_e32 vcc_lo, s2, v5
	s_and_b32 exec_lo, exec_lo, vcc_lo
	s_cbranch_execz .LBB39_23
; %bb.6:
	s_load_b256 s[4:11], s[0:1], 0x10
	v_ashrrev_i32_e32 v6, 31, v5
	v_and_b32_e32 v0, 15, v0
	s_cmp_lg_u32 s3, 0
	s_delay_alu instid0(VALU_DEP_2) | instskip(SKIP_1) | instid1(VALU_DEP_1)
	v_lshlrev_b64 v[6:7], 2, v[5:6]
	s_waitcnt lgkmcnt(0)
	v_add_co_u32 v6, vcc_lo, s4, v6
	s_delay_alu instid0(VALU_DEP_2) | instskip(SKIP_4) | instid1(VALU_DEP_2)
	v_add_co_ci_u32_e32 v7, vcc_lo, s5, v7, vcc_lo
	global_load_b64 v[6:7], v[6:7], off
	s_waitcnt vmcnt(0)
	v_subrev_nc_u32_e32 v6, s12, v6
	v_subrev_nc_u32_e32 v19, s12, v7
	v_add_nc_u32_e32 v14, v6, v0
	s_delay_alu instid0(VALU_DEP_1)
	v_cmp_lt_i32_e64 s2, v14, v19
	s_cbranch_scc0 .LBB39_12
; %bb.7:
	v_mov_b32_e32 v6, 0
	v_mov_b32_e32 v7, 0
	s_delay_alu instid0(VALU_DEP_1)
	v_dual_mov_b32 v9, v7 :: v_dual_mov_b32 v8, v6
	v_dual_mov_b32 v11, v7 :: v_dual_mov_b32 v10, v6
	;; [unrolled: 1-line block ×3, first 2 shown]
	s_and_saveexec_b32 s3, s2
	s_cbranch_execz .LBB39_11
; %bb.8:
	v_dual_mov_b32 v6, 0 :: v_dual_lshlrev_b32 v15, 2, v14
	v_dual_mov_b32 v7, 0 :: v_dual_mov_b32 v16, 0
	v_mov_b32_e32 v17, v14
	s_mov_b32 s4, 0
	s_delay_alu instid0(VALU_DEP_2)
	v_dual_mov_b32 v9, v7 :: v_dual_mov_b32 v8, v6
	v_dual_mov_b32 v11, v7 :: v_dual_mov_b32 v10, v6
	v_dual_mov_b32 v13, v7 :: v_dual_mov_b32 v12, v6
	s_set_inst_prefetch_distance 0x1
	.p2align	6
.LBB39_9:                               ; =>This Inner Loop Header: Depth=1
	v_ashrrev_i32_e32 v18, 31, v17
	v_mov_b32_e32 v25, v16
	s_delay_alu instid0(VALU_DEP_2) | instskip(SKIP_1) | instid1(VALU_DEP_2)
	v_lshlrev_b64 v[20:21], 2, v[17:18]
	v_add_nc_u32_e32 v17, 16, v17
	v_add_co_u32 v20, vcc_lo, s6, v20
	s_delay_alu instid0(VALU_DEP_3) | instskip(SKIP_3) | instid1(VALU_DEP_2)
	v_add_co_ci_u32_e32 v21, vcc_lo, s7, v21, vcc_lo
	global_load_b32 v18, v[20:21], off
	v_lshlrev_b64 v[20:21], 3, v[15:16]
	v_add_nc_u32_e32 v15, 64, v15
	v_add_co_u32 v26, vcc_lo, s8, v20
	s_delay_alu instid0(VALU_DEP_3) | instskip(SKIP_3) | instid1(VALU_DEP_1)
	v_add_co_ci_u32_e32 v27, vcc_lo, s9, v21, vcc_lo
	global_load_b128 v[20:23], v[26:27], off offset:16
	s_waitcnt vmcnt(1)
	v_subrev_nc_u32_e32 v24, s12, v18
	v_lshlrev_b64 v[24:25], 3, v[24:25]
	s_delay_alu instid0(VALU_DEP_1) | instskip(NEXT) | instid1(VALU_DEP_2)
	v_add_co_u32 v28, vcc_lo, s10, v24
	v_add_co_ci_u32_e32 v29, vcc_lo, s11, v25, vcc_lo
	v_cmp_ge_i32_e32 vcc_lo, v17, v19
	global_load_b128 v[24:27], v[26:27], off
	global_load_b64 v[28:29], v[28:29], off
	s_or_b32 s4, vcc_lo, s4
	s_waitcnt vmcnt(0)
	v_fma_f64 v[6:7], v[24:25], v[28:29], v[6:7]
	v_fma_f64 v[12:13], v[26:27], v[28:29], v[12:13]
	;; [unrolled: 1-line block ×4, first 2 shown]
	s_and_not1_b32 exec_lo, exec_lo, s4
	s_cbranch_execnz .LBB39_9
; %bb.10:
	s_set_inst_prefetch_distance 0x2
	s_or_b32 exec_lo, exec_lo, s4
.LBB39_11:
	s_delay_alu instid0(SALU_CYCLE_1)
	s_or_b32 exec_lo, exec_lo, s3
	s_cbranch_execz .LBB39_13
	s_branch .LBB39_18
.LBB39_12:
                                        ; implicit-def: $vgpr6_vgpr7
                                        ; implicit-def: $vgpr8_vgpr9
                                        ; implicit-def: $vgpr10_vgpr11
                                        ; implicit-def: $vgpr12_vgpr13
.LBB39_13:
	v_mov_b32_e32 v6, 0
	v_mov_b32_e32 v7, 0
	s_delay_alu instid0(VALU_DEP_1)
	v_dual_mov_b32 v9, v7 :: v_dual_mov_b32 v8, v6
	v_dual_mov_b32 v11, v7 :: v_dual_mov_b32 v10, v6
	v_dual_mov_b32 v13, v7 :: v_dual_mov_b32 v12, v6
	s_and_saveexec_b32 s3, s2
	s_cbranch_execz .LBB39_17
; %bb.14:
	v_dual_mov_b32 v6, 0 :: v_dual_mov_b32 v17, 0
	v_dual_mov_b32 v7, 0 :: v_dual_lshlrev_b32 v16, 2, v14
	s_mov_b32 s2, 0
	s_delay_alu instid0(VALU_DEP_1)
	v_dual_mov_b32 v9, v7 :: v_dual_mov_b32 v8, v6
	v_dual_mov_b32 v11, v7 :: v_dual_mov_b32 v10, v6
	v_dual_mov_b32 v13, v7 :: v_dual_mov_b32 v12, v6
	s_set_inst_prefetch_distance 0x1
	.p2align	6
.LBB39_15:                              ; =>This Inner Loop Header: Depth=1
	v_ashrrev_i32_e32 v15, 31, v14
	v_mov_b32_e32 v25, v17
	s_delay_alu instid0(VALU_DEP_2) | instskip(SKIP_1) | instid1(VALU_DEP_2)
	v_lshlrev_b64 v[20:21], 2, v[14:15]
	v_add_nc_u32_e32 v14, 16, v14
	v_add_co_u32 v20, vcc_lo, s6, v20
	s_delay_alu instid0(VALU_DEP_3) | instskip(SKIP_3) | instid1(VALU_DEP_2)
	v_add_co_ci_u32_e32 v21, vcc_lo, s7, v21, vcc_lo
	global_load_b32 v15, v[20:21], off
	v_lshlrev_b64 v[20:21], 3, v[16:17]
	v_add_nc_u32_e32 v16, 64, v16
	v_add_co_u32 v26, vcc_lo, s8, v20
	s_delay_alu instid0(VALU_DEP_3) | instskip(SKIP_3) | instid1(VALU_DEP_1)
	v_add_co_ci_u32_e32 v27, vcc_lo, s9, v21, vcc_lo
	global_load_b128 v[20:23], v[26:27], off offset:16
	s_waitcnt vmcnt(1)
	v_subrev_nc_u32_e32 v24, s12, v15
	v_lshlrev_b64 v[24:25], 3, v[24:25]
	s_delay_alu instid0(VALU_DEP_1) | instskip(NEXT) | instid1(VALU_DEP_2)
	v_add_co_u32 v28, vcc_lo, s10, v24
	v_add_co_ci_u32_e32 v29, vcc_lo, s11, v25, vcc_lo
	v_cmp_ge_i32_e32 vcc_lo, v14, v19
	global_load_b128 v[24:27], v[26:27], off
	global_load_b64 v[28:29], v[28:29], off
	s_or_b32 s2, vcc_lo, s2
	s_waitcnt vmcnt(0)
	v_fma_f64 v[6:7], v[24:25], v[28:29], v[6:7]
	v_fma_f64 v[12:13], v[26:27], v[28:29], v[12:13]
	;; [unrolled: 1-line block ×4, first 2 shown]
	s_and_not1_b32 exec_lo, exec_lo, s2
	s_cbranch_execnz .LBB39_15
; %bb.16:
	s_set_inst_prefetch_distance 0x2
	s_or_b32 exec_lo, exec_lo, s2
.LBB39_17:
	s_delay_alu instid0(SALU_CYCLE_1)
	s_or_b32 exec_lo, exec_lo, s3
.LBB39_18:
	v_mbcnt_lo_u32_b32 v24, -1, 0
	s_delay_alu instid0(VALU_DEP_1) | instskip(NEXT) | instid1(VALU_DEP_1)
	v_xor_b32_e32 v14, 8, v24
	v_cmp_gt_i32_e32 vcc_lo, 32, v14
	v_cndmask_b32_e32 v14, v24, v14, vcc_lo
	s_delay_alu instid0(VALU_DEP_1)
	v_lshlrev_b32_e32 v21, 2, v14
	ds_bpermute_b32 v14, v21, v6
	ds_bpermute_b32 v15, v21, v7
	;; [unrolled: 1-line block ×8, first 2 shown]
	s_waitcnt lgkmcnt(6)
	v_add_f64 v[6:7], v[6:7], v[14:15]
	v_xor_b32_e32 v14, 4, v24
	s_waitcnt lgkmcnt(4)
	v_add_f64 v[12:13], v[12:13], v[16:17]
	s_waitcnt lgkmcnt(2)
	v_add_f64 v[10:11], v[10:11], v[18:19]
	s_waitcnt lgkmcnt(0)
	v_add_f64 v[8:9], v[8:9], v[20:21]
	v_cmp_gt_i32_e32 vcc_lo, 32, v14
	v_cndmask_b32_e32 v14, v24, v14, vcc_lo
	s_delay_alu instid0(VALU_DEP_1)
	v_lshlrev_b32_e32 v21, 2, v14
	ds_bpermute_b32 v14, v21, v6
	ds_bpermute_b32 v15, v21, v7
	;; [unrolled: 1-line block ×8, first 2 shown]
	s_waitcnt lgkmcnt(6)
	v_add_f64 v[6:7], v[6:7], v[14:15]
	s_waitcnt lgkmcnt(4)
	v_add_f64 v[12:13], v[12:13], v[16:17]
	;; [unrolled: 2-line block ×4, first 2 shown]
	v_xor_b32_e32 v8, 2, v24
	s_delay_alu instid0(VALU_DEP_1) | instskip(SKIP_1) | instid1(VALU_DEP_1)
	v_cmp_gt_i32_e32 vcc_lo, 32, v8
	v_cndmask_b32_e32 v8, v24, v8, vcc_lo
	v_lshlrev_b32_e32 v10, 2, v8
	ds_bpermute_b32 v8, v10, v6
	ds_bpermute_b32 v9, v10, v7
	ds_bpermute_b32 v18, v10, v12
	ds_bpermute_b32 v19, v10, v13
	ds_bpermute_b32 v20, v10, v14
	ds_bpermute_b32 v21, v10, v15
	ds_bpermute_b32 v22, v10, v16
	ds_bpermute_b32 v23, v10, v17
	s_waitcnt lgkmcnt(6)
	v_add_f64 v[10:11], v[6:7], v[8:9]
	s_waitcnt lgkmcnt(4)
	v_add_f64 v[8:9], v[12:13], v[18:19]
	v_xor_b32_e32 v12, 1, v24
	s_waitcnt lgkmcnt(2)
	v_add_f64 v[6:7], v[14:15], v[20:21]
	s_waitcnt lgkmcnt(0)
	v_add_f64 v[14:15], v[16:17], v[22:23]
	v_cmp_gt_i32_e32 vcc_lo, 32, v12
	v_cndmask_b32_e32 v12, v24, v12, vcc_lo
	v_cmp_eq_u32_e32 vcc_lo, 15, v0
	s_delay_alu instid0(VALU_DEP_2)
	v_lshlrev_b32_e32 v17, 2, v12
	ds_bpermute_b32 v12, v17, v10
	ds_bpermute_b32 v13, v17, v11
	;; [unrolled: 1-line block ×8, first 2 shown]
	s_and_b32 exec_lo, exec_lo, vcc_lo
	s_cbranch_execz .LBB39_23
; %bb.19:
	s_waitcnt lgkmcnt(6)
	v_add_f64 v[12:13], v[10:11], v[12:13]
	s_waitcnt lgkmcnt(4)
	v_add_f64 v[10:11], v[8:9], v[20:21]
	;; [unrolled: 2-line block ×4, first 2 shown]
	s_load_b64 s[0:1], s[0:1], 0x38
	s_mov_b32 s2, exec_lo
	v_cmpx_eq_f64_e32 0, v[3:4]
	s_xor_b32 s2, exec_lo, s2
	s_cbranch_execz .LBB39_21
; %bb.20:
	v_mul_f64 v[12:13], v[1:2], v[12:13]
	v_mul_f64 v[14:15], v[1:2], v[10:11]
	;; [unrolled: 1-line block ×4, first 2 shown]
	v_lshlrev_b32_e32 v0, 2, v5
                                        ; implicit-def: $vgpr5
                                        ; implicit-def: $vgpr3_vgpr4
                                        ; implicit-def: $vgpr6_vgpr7
	s_delay_alu instid0(VALU_DEP_1) | instskip(NEXT) | instid1(VALU_DEP_1)
	v_ashrrev_i32_e32 v1, 31, v0
	v_lshlrev_b64 v[0:1], 3, v[0:1]
	s_waitcnt lgkmcnt(0)
	s_delay_alu instid0(VALU_DEP_1) | instskip(NEXT) | instid1(VALU_DEP_2)
	v_add_co_u32 v0, vcc_lo, s0, v0
	v_add_co_ci_u32_e32 v1, vcc_lo, s1, v1, vcc_lo
	s_clause 0x1
	global_store_b128 v[0:1], v[12:15], off
	global_store_b128 v[0:1], v[8:11], off offset:16
                                        ; implicit-def: $vgpr1_vgpr2
                                        ; implicit-def: $vgpr12_vgpr13
                                        ; implicit-def: $vgpr10_vgpr11
                                        ; implicit-def: $vgpr8_vgpr9
.LBB39_21:
	s_and_not1_saveexec_b32 s2, s2
	s_cbranch_execz .LBB39_23
; %bb.22:
	v_lshlrev_b32_e32 v14, 2, v5
	v_mul_f64 v[12:13], v[1:2], v[12:13]
	v_mul_f64 v[10:11], v[1:2], v[10:11]
	;; [unrolled: 1-line block ×4, first 2 shown]
	v_ashrrev_i32_e32 v15, 31, v14
	s_delay_alu instid0(VALU_DEP_1) | instskip(SKIP_1) | instid1(VALU_DEP_1)
	v_lshlrev_b64 v[14:15], 3, v[14:15]
	s_waitcnt lgkmcnt(0)
	v_add_co_u32 v22, vcc_lo, s0, v14
	s_delay_alu instid0(VALU_DEP_2)
	v_add_co_ci_u32_e32 v23, vcc_lo, s1, v15, vcc_lo
	s_clause 0x1
	global_load_b128 v[14:17], v[22:23], off
	global_load_b128 v[18:21], v[22:23], off offset:16
	s_waitcnt vmcnt(1)
	v_fma_f64 v[5:6], v[3:4], v[14:15], v[12:13]
	v_fma_f64 v[7:8], v[3:4], v[16:17], v[10:11]
	s_waitcnt vmcnt(0)
	v_fma_f64 v[0:1], v[3:4], v[18:19], v[24:25]
	v_fma_f64 v[2:3], v[3:4], v[20:21], v[26:27]
	s_clause 0x1
	global_store_b128 v[22:23], v[5:8], off
	global_store_b128 v[22:23], v[0:3], off offset:16
.LBB39_23:
	s_nop 0
	s_sendmsg sendmsg(MSG_DEALLOC_VGPRS)
	s_endpgm
	.section	.rodata,"a",@progbits
	.p2align	6, 0x0
	.amdhsa_kernel _ZN9rocsparseL19gebsrmvn_4xn_kernelILj128ELj1ELj16EdEEvi20rocsparse_direction_NS_24const_host_device_scalarIT2_EEPKiS6_PKS3_S8_S4_PS3_21rocsparse_index_base_b
		.amdhsa_group_segment_fixed_size 0
		.amdhsa_private_segment_fixed_size 0
		.amdhsa_kernarg_size 72
		.amdhsa_user_sgpr_count 15
		.amdhsa_user_sgpr_dispatch_ptr 0
		.amdhsa_user_sgpr_queue_ptr 0
		.amdhsa_user_sgpr_kernarg_segment_ptr 1
		.amdhsa_user_sgpr_dispatch_id 0
		.amdhsa_user_sgpr_private_segment_size 0
		.amdhsa_wavefront_size32 1
		.amdhsa_uses_dynamic_stack 0
		.amdhsa_enable_private_segment 0
		.amdhsa_system_sgpr_workgroup_id_x 1
		.amdhsa_system_sgpr_workgroup_id_y 0
		.amdhsa_system_sgpr_workgroup_id_z 0
		.amdhsa_system_sgpr_workgroup_info 0
		.amdhsa_system_vgpr_workitem_id 0
		.amdhsa_next_free_vgpr 30
		.amdhsa_next_free_sgpr 16
		.amdhsa_reserve_vcc 1
		.amdhsa_float_round_mode_32 0
		.amdhsa_float_round_mode_16_64 0
		.amdhsa_float_denorm_mode_32 3
		.amdhsa_float_denorm_mode_16_64 3
		.amdhsa_dx10_clamp 1
		.amdhsa_ieee_mode 1
		.amdhsa_fp16_overflow 0
		.amdhsa_workgroup_processor_mode 1
		.amdhsa_memory_ordered 1
		.amdhsa_forward_progress 0
		.amdhsa_shared_vgpr_count 0
		.amdhsa_exception_fp_ieee_invalid_op 0
		.amdhsa_exception_fp_denorm_src 0
		.amdhsa_exception_fp_ieee_div_zero 0
		.amdhsa_exception_fp_ieee_overflow 0
		.amdhsa_exception_fp_ieee_underflow 0
		.amdhsa_exception_fp_ieee_inexact 0
		.amdhsa_exception_int_div_zero 0
	.end_amdhsa_kernel
	.section	.text._ZN9rocsparseL19gebsrmvn_4xn_kernelILj128ELj1ELj16EdEEvi20rocsparse_direction_NS_24const_host_device_scalarIT2_EEPKiS6_PKS3_S8_S4_PS3_21rocsparse_index_base_b,"axG",@progbits,_ZN9rocsparseL19gebsrmvn_4xn_kernelILj128ELj1ELj16EdEEvi20rocsparse_direction_NS_24const_host_device_scalarIT2_EEPKiS6_PKS3_S8_S4_PS3_21rocsparse_index_base_b,comdat
.Lfunc_end39:
	.size	_ZN9rocsparseL19gebsrmvn_4xn_kernelILj128ELj1ELj16EdEEvi20rocsparse_direction_NS_24const_host_device_scalarIT2_EEPKiS6_PKS3_S8_S4_PS3_21rocsparse_index_base_b, .Lfunc_end39-_ZN9rocsparseL19gebsrmvn_4xn_kernelILj128ELj1ELj16EdEEvi20rocsparse_direction_NS_24const_host_device_scalarIT2_EEPKiS6_PKS3_S8_S4_PS3_21rocsparse_index_base_b
                                        ; -- End function
	.section	.AMDGPU.csdata,"",@progbits
; Kernel info:
; codeLenInByte = 1720
; NumSgprs: 18
; NumVgprs: 30
; ScratchSize: 0
; MemoryBound: 0
; FloatMode: 240
; IeeeMode: 1
; LDSByteSize: 0 bytes/workgroup (compile time only)
; SGPRBlocks: 2
; VGPRBlocks: 3
; NumSGPRsForWavesPerEU: 18
; NumVGPRsForWavesPerEU: 30
; Occupancy: 16
; WaveLimiterHint : 1
; COMPUTE_PGM_RSRC2:SCRATCH_EN: 0
; COMPUTE_PGM_RSRC2:USER_SGPR: 15
; COMPUTE_PGM_RSRC2:TRAP_HANDLER: 0
; COMPUTE_PGM_RSRC2:TGID_X_EN: 1
; COMPUTE_PGM_RSRC2:TGID_Y_EN: 0
; COMPUTE_PGM_RSRC2:TGID_Z_EN: 0
; COMPUTE_PGM_RSRC2:TIDIG_COMP_CNT: 0
	.section	.text._ZN9rocsparseL19gebsrmvn_4xn_kernelILj128ELj1ELj32EdEEvi20rocsparse_direction_NS_24const_host_device_scalarIT2_EEPKiS6_PKS3_S8_S4_PS3_21rocsparse_index_base_b,"axG",@progbits,_ZN9rocsparseL19gebsrmvn_4xn_kernelILj128ELj1ELj32EdEEvi20rocsparse_direction_NS_24const_host_device_scalarIT2_EEPKiS6_PKS3_S8_S4_PS3_21rocsparse_index_base_b,comdat
	.globl	_ZN9rocsparseL19gebsrmvn_4xn_kernelILj128ELj1ELj32EdEEvi20rocsparse_direction_NS_24const_host_device_scalarIT2_EEPKiS6_PKS3_S8_S4_PS3_21rocsparse_index_base_b ; -- Begin function _ZN9rocsparseL19gebsrmvn_4xn_kernelILj128ELj1ELj32EdEEvi20rocsparse_direction_NS_24const_host_device_scalarIT2_EEPKiS6_PKS3_S8_S4_PS3_21rocsparse_index_base_b
	.p2align	8
	.type	_ZN9rocsparseL19gebsrmvn_4xn_kernelILj128ELj1ELj32EdEEvi20rocsparse_direction_NS_24const_host_device_scalarIT2_EEPKiS6_PKS3_S8_S4_PS3_21rocsparse_index_base_b,@function
_ZN9rocsparseL19gebsrmvn_4xn_kernelILj128ELj1ELj32EdEEvi20rocsparse_direction_NS_24const_host_device_scalarIT2_EEPKiS6_PKS3_S8_S4_PS3_21rocsparse_index_base_b: ; @_ZN9rocsparseL19gebsrmvn_4xn_kernelILj128ELj1ELj32EdEEvi20rocsparse_direction_NS_24const_host_device_scalarIT2_EEPKiS6_PKS3_S8_S4_PS3_21rocsparse_index_base_b
; %bb.0:
	s_clause 0x2
	s_load_b64 s[12:13], s[0:1], 0x40
	s_load_b64 s[4:5], s[0:1], 0x8
	;; [unrolled: 1-line block ×3, first 2 shown]
	s_waitcnt lgkmcnt(0)
	s_bitcmp1_b32 s13, 0
	v_dual_mov_b32 v1, s4 :: v_dual_mov_b32 v2, s5
	s_cselect_b32 s6, -1, 0
	s_delay_alu instid0(SALU_CYCLE_1)
	s_and_b32 vcc_lo, exec_lo, s6
	s_xor_b32 s6, s6, -1
	s_cbranch_vccnz .LBB40_2
; %bb.1:
	v_dual_mov_b32 v1, s4 :: v_dual_mov_b32 v2, s5
	flat_load_b64 v[1:2], v[1:2]
.LBB40_2:
	v_dual_mov_b32 v4, s3 :: v_dual_mov_b32 v3, s2
	s_and_not1_b32 vcc_lo, exec_lo, s6
	s_cbranch_vccnz .LBB40_4
; %bb.3:
	v_dual_mov_b32 v4, s3 :: v_dual_mov_b32 v3, s2
	flat_load_b64 v[3:4], v[3:4]
.LBB40_4:
	s_waitcnt vmcnt(0) lgkmcnt(0)
	v_cmp_neq_f64_e32 vcc_lo, 0, v[1:2]
	v_cmp_neq_f64_e64 s2, 1.0, v[3:4]
	s_delay_alu instid0(VALU_DEP_1) | instskip(NEXT) | instid1(SALU_CYCLE_1)
	s_or_b32 s2, vcc_lo, s2
	s_and_saveexec_b32 s3, s2
	s_cbranch_execz .LBB40_23
; %bb.5:
	s_load_b64 s[2:3], s[0:1], 0x0
	v_lshrrev_b32_e32 v5, 5, v0
	s_delay_alu instid0(VALU_DEP_1) | instskip(SKIP_1) | instid1(VALU_DEP_1)
	v_lshl_or_b32 v5, s15, 2, v5
	s_waitcnt lgkmcnt(0)
	v_cmp_gt_i32_e32 vcc_lo, s2, v5
	s_and_b32 exec_lo, exec_lo, vcc_lo
	s_cbranch_execz .LBB40_23
; %bb.6:
	s_load_b256 s[4:11], s[0:1], 0x10
	v_ashrrev_i32_e32 v6, 31, v5
	v_and_b32_e32 v0, 31, v0
	s_cmp_lg_u32 s3, 0
	s_delay_alu instid0(VALU_DEP_2) | instskip(SKIP_1) | instid1(VALU_DEP_1)
	v_lshlrev_b64 v[6:7], 2, v[5:6]
	s_waitcnt lgkmcnt(0)
	v_add_co_u32 v6, vcc_lo, s4, v6
	s_delay_alu instid0(VALU_DEP_2) | instskip(SKIP_4) | instid1(VALU_DEP_2)
	v_add_co_ci_u32_e32 v7, vcc_lo, s5, v7, vcc_lo
	global_load_b64 v[6:7], v[6:7], off
	s_waitcnt vmcnt(0)
	v_subrev_nc_u32_e32 v6, s12, v6
	v_subrev_nc_u32_e32 v19, s12, v7
	v_add_nc_u32_e32 v14, v6, v0
	s_delay_alu instid0(VALU_DEP_1)
	v_cmp_lt_i32_e64 s2, v14, v19
	s_cbranch_scc0 .LBB40_12
; %bb.7:
	v_mov_b32_e32 v6, 0
	v_mov_b32_e32 v7, 0
	s_delay_alu instid0(VALU_DEP_1)
	v_dual_mov_b32 v9, v7 :: v_dual_mov_b32 v8, v6
	v_dual_mov_b32 v11, v7 :: v_dual_mov_b32 v10, v6
	;; [unrolled: 1-line block ×3, first 2 shown]
	s_and_saveexec_b32 s3, s2
	s_cbranch_execz .LBB40_11
; %bb.8:
	v_dual_mov_b32 v6, 0 :: v_dual_lshlrev_b32 v15, 2, v14
	v_dual_mov_b32 v7, 0 :: v_dual_mov_b32 v16, 0
	v_mov_b32_e32 v17, v14
	s_mov_b32 s4, 0
	s_delay_alu instid0(VALU_DEP_2)
	v_dual_mov_b32 v9, v7 :: v_dual_mov_b32 v8, v6
	v_dual_mov_b32 v11, v7 :: v_dual_mov_b32 v10, v6
	;; [unrolled: 1-line block ×3, first 2 shown]
	s_set_inst_prefetch_distance 0x1
	.p2align	6
.LBB40_9:                               ; =>This Inner Loop Header: Depth=1
	v_ashrrev_i32_e32 v18, 31, v17
	v_mov_b32_e32 v25, v16
	s_delay_alu instid0(VALU_DEP_2) | instskip(SKIP_1) | instid1(VALU_DEP_2)
	v_lshlrev_b64 v[20:21], 2, v[17:18]
	v_add_nc_u32_e32 v17, 32, v17
	v_add_co_u32 v20, vcc_lo, s6, v20
	s_delay_alu instid0(VALU_DEP_3) | instskip(SKIP_3) | instid1(VALU_DEP_2)
	v_add_co_ci_u32_e32 v21, vcc_lo, s7, v21, vcc_lo
	global_load_b32 v18, v[20:21], off
	v_lshlrev_b64 v[20:21], 3, v[15:16]
	v_add_nc_u32_e32 v15, 0x80, v15
	v_add_co_u32 v26, vcc_lo, s8, v20
	s_delay_alu instid0(VALU_DEP_3) | instskip(SKIP_3) | instid1(VALU_DEP_1)
	v_add_co_ci_u32_e32 v27, vcc_lo, s9, v21, vcc_lo
	global_load_b128 v[20:23], v[26:27], off offset:16
	s_waitcnt vmcnt(1)
	v_subrev_nc_u32_e32 v24, s12, v18
	v_lshlrev_b64 v[24:25], 3, v[24:25]
	s_delay_alu instid0(VALU_DEP_1) | instskip(NEXT) | instid1(VALU_DEP_2)
	v_add_co_u32 v28, vcc_lo, s10, v24
	v_add_co_ci_u32_e32 v29, vcc_lo, s11, v25, vcc_lo
	v_cmp_ge_i32_e32 vcc_lo, v17, v19
	global_load_b128 v[24:27], v[26:27], off
	global_load_b64 v[28:29], v[28:29], off
	s_or_b32 s4, vcc_lo, s4
	s_waitcnt vmcnt(0)
	v_fma_f64 v[6:7], v[24:25], v[28:29], v[6:7]
	v_fma_f64 v[12:13], v[26:27], v[28:29], v[12:13]
	;; [unrolled: 1-line block ×4, first 2 shown]
	s_and_not1_b32 exec_lo, exec_lo, s4
	s_cbranch_execnz .LBB40_9
; %bb.10:
	s_set_inst_prefetch_distance 0x2
	s_or_b32 exec_lo, exec_lo, s4
.LBB40_11:
	s_delay_alu instid0(SALU_CYCLE_1)
	s_or_b32 exec_lo, exec_lo, s3
	s_cbranch_execz .LBB40_13
	s_branch .LBB40_18
.LBB40_12:
                                        ; implicit-def: $vgpr6_vgpr7
                                        ; implicit-def: $vgpr8_vgpr9
                                        ; implicit-def: $vgpr10_vgpr11
                                        ; implicit-def: $vgpr12_vgpr13
.LBB40_13:
	v_mov_b32_e32 v6, 0
	v_mov_b32_e32 v7, 0
	s_delay_alu instid0(VALU_DEP_1)
	v_dual_mov_b32 v9, v7 :: v_dual_mov_b32 v8, v6
	v_dual_mov_b32 v11, v7 :: v_dual_mov_b32 v10, v6
	;; [unrolled: 1-line block ×3, first 2 shown]
	s_and_saveexec_b32 s3, s2
	s_cbranch_execz .LBB40_17
; %bb.14:
	v_dual_mov_b32 v6, 0 :: v_dual_mov_b32 v17, 0
	v_dual_mov_b32 v7, 0 :: v_dual_lshlrev_b32 v16, 2, v14
	s_mov_b32 s2, 0
	s_delay_alu instid0(VALU_DEP_1)
	v_dual_mov_b32 v9, v7 :: v_dual_mov_b32 v8, v6
	v_dual_mov_b32 v11, v7 :: v_dual_mov_b32 v10, v6
	;; [unrolled: 1-line block ×3, first 2 shown]
	s_set_inst_prefetch_distance 0x1
	.p2align	6
.LBB40_15:                              ; =>This Inner Loop Header: Depth=1
	v_ashrrev_i32_e32 v15, 31, v14
	v_mov_b32_e32 v25, v17
	s_delay_alu instid0(VALU_DEP_2) | instskip(SKIP_1) | instid1(VALU_DEP_2)
	v_lshlrev_b64 v[20:21], 2, v[14:15]
	v_add_nc_u32_e32 v14, 32, v14
	v_add_co_u32 v20, vcc_lo, s6, v20
	s_delay_alu instid0(VALU_DEP_3) | instskip(SKIP_3) | instid1(VALU_DEP_2)
	v_add_co_ci_u32_e32 v21, vcc_lo, s7, v21, vcc_lo
	global_load_b32 v15, v[20:21], off
	v_lshlrev_b64 v[20:21], 3, v[16:17]
	v_add_nc_u32_e32 v16, 0x80, v16
	v_add_co_u32 v26, vcc_lo, s8, v20
	s_delay_alu instid0(VALU_DEP_3) | instskip(SKIP_3) | instid1(VALU_DEP_1)
	v_add_co_ci_u32_e32 v27, vcc_lo, s9, v21, vcc_lo
	global_load_b128 v[20:23], v[26:27], off offset:16
	s_waitcnt vmcnt(1)
	v_subrev_nc_u32_e32 v24, s12, v15
	v_lshlrev_b64 v[24:25], 3, v[24:25]
	s_delay_alu instid0(VALU_DEP_1) | instskip(NEXT) | instid1(VALU_DEP_2)
	v_add_co_u32 v28, vcc_lo, s10, v24
	v_add_co_ci_u32_e32 v29, vcc_lo, s11, v25, vcc_lo
	v_cmp_ge_i32_e32 vcc_lo, v14, v19
	global_load_b128 v[24:27], v[26:27], off
	global_load_b64 v[28:29], v[28:29], off
	s_or_b32 s2, vcc_lo, s2
	s_waitcnt vmcnt(0)
	v_fma_f64 v[6:7], v[24:25], v[28:29], v[6:7]
	v_fma_f64 v[12:13], v[26:27], v[28:29], v[12:13]
	;; [unrolled: 1-line block ×4, first 2 shown]
	s_and_not1_b32 exec_lo, exec_lo, s2
	s_cbranch_execnz .LBB40_15
; %bb.16:
	s_set_inst_prefetch_distance 0x2
	s_or_b32 exec_lo, exec_lo, s2
.LBB40_17:
	s_delay_alu instid0(SALU_CYCLE_1)
	s_or_b32 exec_lo, exec_lo, s3
.LBB40_18:
	v_mbcnt_lo_u32_b32 v24, -1, 0
	s_delay_alu instid0(VALU_DEP_1) | instskip(NEXT) | instid1(VALU_DEP_1)
	v_xor_b32_e32 v14, 16, v24
	v_cmp_gt_i32_e32 vcc_lo, 32, v14
	v_cndmask_b32_e32 v14, v24, v14, vcc_lo
	s_delay_alu instid0(VALU_DEP_1)
	v_lshlrev_b32_e32 v21, 2, v14
	ds_bpermute_b32 v14, v21, v6
	ds_bpermute_b32 v15, v21, v7
	;; [unrolled: 1-line block ×8, first 2 shown]
	s_waitcnt lgkmcnt(6)
	v_add_f64 v[6:7], v[6:7], v[14:15]
	v_xor_b32_e32 v14, 8, v24
	s_waitcnt lgkmcnt(4)
	v_add_f64 v[12:13], v[12:13], v[16:17]
	s_waitcnt lgkmcnt(2)
	v_add_f64 v[10:11], v[10:11], v[18:19]
	;; [unrolled: 2-line block ×3, first 2 shown]
	v_cmp_gt_i32_e32 vcc_lo, 32, v14
	v_cndmask_b32_e32 v14, v24, v14, vcc_lo
	s_delay_alu instid0(VALU_DEP_1)
	v_lshlrev_b32_e32 v21, 2, v14
	ds_bpermute_b32 v14, v21, v6
	ds_bpermute_b32 v15, v21, v7
	;; [unrolled: 1-line block ×8, first 2 shown]
	s_waitcnt lgkmcnt(6)
	v_add_f64 v[6:7], v[6:7], v[14:15]
	v_xor_b32_e32 v14, 4, v24
	s_waitcnt lgkmcnt(4)
	v_add_f64 v[12:13], v[12:13], v[16:17]
	s_waitcnt lgkmcnt(2)
	v_add_f64 v[10:11], v[10:11], v[18:19]
	;; [unrolled: 2-line block ×3, first 2 shown]
	v_cmp_gt_i32_e32 vcc_lo, 32, v14
	v_cndmask_b32_e32 v14, v24, v14, vcc_lo
	s_delay_alu instid0(VALU_DEP_1)
	v_lshlrev_b32_e32 v21, 2, v14
	ds_bpermute_b32 v14, v21, v6
	ds_bpermute_b32 v15, v21, v7
	;; [unrolled: 1-line block ×8, first 2 shown]
	s_waitcnt lgkmcnt(6)
	v_add_f64 v[6:7], v[6:7], v[14:15]
	s_waitcnt lgkmcnt(4)
	v_add_f64 v[12:13], v[12:13], v[16:17]
	;; [unrolled: 2-line block ×4, first 2 shown]
	v_xor_b32_e32 v8, 2, v24
	s_delay_alu instid0(VALU_DEP_1) | instskip(SKIP_1) | instid1(VALU_DEP_1)
	v_cmp_gt_i32_e32 vcc_lo, 32, v8
	v_cndmask_b32_e32 v8, v24, v8, vcc_lo
	v_lshlrev_b32_e32 v10, 2, v8
	ds_bpermute_b32 v8, v10, v6
	ds_bpermute_b32 v9, v10, v7
	;; [unrolled: 1-line block ×8, first 2 shown]
	s_waitcnt lgkmcnt(6)
	v_add_f64 v[10:11], v[6:7], v[8:9]
	s_waitcnt lgkmcnt(4)
	v_add_f64 v[8:9], v[12:13], v[18:19]
	v_xor_b32_e32 v12, 1, v24
	s_waitcnt lgkmcnt(2)
	v_add_f64 v[6:7], v[14:15], v[20:21]
	s_waitcnt lgkmcnt(0)
	v_add_f64 v[14:15], v[16:17], v[22:23]
	v_cmp_gt_i32_e32 vcc_lo, 32, v12
	v_cndmask_b32_e32 v12, v24, v12, vcc_lo
	v_cmp_eq_u32_e32 vcc_lo, 31, v0
	s_delay_alu instid0(VALU_DEP_2)
	v_lshlrev_b32_e32 v17, 2, v12
	ds_bpermute_b32 v12, v17, v10
	ds_bpermute_b32 v13, v17, v11
	;; [unrolled: 1-line block ×8, first 2 shown]
	s_and_b32 exec_lo, exec_lo, vcc_lo
	s_cbranch_execz .LBB40_23
; %bb.19:
	s_waitcnt lgkmcnt(6)
	v_add_f64 v[12:13], v[10:11], v[12:13]
	s_waitcnt lgkmcnt(4)
	v_add_f64 v[10:11], v[8:9], v[20:21]
	;; [unrolled: 2-line block ×4, first 2 shown]
	s_load_b64 s[0:1], s[0:1], 0x38
	s_mov_b32 s2, exec_lo
	v_cmpx_eq_f64_e32 0, v[3:4]
	s_xor_b32 s2, exec_lo, s2
	s_cbranch_execz .LBB40_21
; %bb.20:
	v_mul_f64 v[12:13], v[1:2], v[12:13]
	v_mul_f64 v[14:15], v[1:2], v[10:11]
	;; [unrolled: 1-line block ×4, first 2 shown]
	v_lshlrev_b32_e32 v0, 2, v5
                                        ; implicit-def: $vgpr5
                                        ; implicit-def: $vgpr3_vgpr4
                                        ; implicit-def: $vgpr6_vgpr7
	s_delay_alu instid0(VALU_DEP_1) | instskip(NEXT) | instid1(VALU_DEP_1)
	v_ashrrev_i32_e32 v1, 31, v0
	v_lshlrev_b64 v[0:1], 3, v[0:1]
	s_waitcnt lgkmcnt(0)
	s_delay_alu instid0(VALU_DEP_1) | instskip(NEXT) | instid1(VALU_DEP_2)
	v_add_co_u32 v0, vcc_lo, s0, v0
	v_add_co_ci_u32_e32 v1, vcc_lo, s1, v1, vcc_lo
	s_clause 0x1
	global_store_b128 v[0:1], v[12:15], off
	global_store_b128 v[0:1], v[8:11], off offset:16
                                        ; implicit-def: $vgpr1_vgpr2
                                        ; implicit-def: $vgpr12_vgpr13
                                        ; implicit-def: $vgpr10_vgpr11
                                        ; implicit-def: $vgpr8_vgpr9
.LBB40_21:
	s_and_not1_saveexec_b32 s2, s2
	s_cbranch_execz .LBB40_23
; %bb.22:
	v_lshlrev_b32_e32 v14, 2, v5
	v_mul_f64 v[12:13], v[1:2], v[12:13]
	v_mul_f64 v[10:11], v[1:2], v[10:11]
	;; [unrolled: 1-line block ×4, first 2 shown]
	v_ashrrev_i32_e32 v15, 31, v14
	s_delay_alu instid0(VALU_DEP_1) | instskip(SKIP_1) | instid1(VALU_DEP_1)
	v_lshlrev_b64 v[14:15], 3, v[14:15]
	s_waitcnt lgkmcnt(0)
	v_add_co_u32 v22, vcc_lo, s0, v14
	s_delay_alu instid0(VALU_DEP_2)
	v_add_co_ci_u32_e32 v23, vcc_lo, s1, v15, vcc_lo
	s_clause 0x1
	global_load_b128 v[14:17], v[22:23], off
	global_load_b128 v[18:21], v[22:23], off offset:16
	s_waitcnt vmcnt(1)
	v_fma_f64 v[5:6], v[3:4], v[14:15], v[12:13]
	v_fma_f64 v[7:8], v[3:4], v[16:17], v[10:11]
	s_waitcnt vmcnt(0)
	v_fma_f64 v[0:1], v[3:4], v[18:19], v[24:25]
	v_fma_f64 v[2:3], v[3:4], v[20:21], v[26:27]
	s_clause 0x1
	global_store_b128 v[22:23], v[5:8], off
	global_store_b128 v[22:23], v[0:3], off offset:16
.LBB40_23:
	s_nop 0
	s_sendmsg sendmsg(MSG_DEALLOC_VGPRS)
	s_endpgm
	.section	.rodata,"a",@progbits
	.p2align	6, 0x0
	.amdhsa_kernel _ZN9rocsparseL19gebsrmvn_4xn_kernelILj128ELj1ELj32EdEEvi20rocsparse_direction_NS_24const_host_device_scalarIT2_EEPKiS6_PKS3_S8_S4_PS3_21rocsparse_index_base_b
		.amdhsa_group_segment_fixed_size 0
		.amdhsa_private_segment_fixed_size 0
		.amdhsa_kernarg_size 72
		.amdhsa_user_sgpr_count 15
		.amdhsa_user_sgpr_dispatch_ptr 0
		.amdhsa_user_sgpr_queue_ptr 0
		.amdhsa_user_sgpr_kernarg_segment_ptr 1
		.amdhsa_user_sgpr_dispatch_id 0
		.amdhsa_user_sgpr_private_segment_size 0
		.amdhsa_wavefront_size32 1
		.amdhsa_uses_dynamic_stack 0
		.amdhsa_enable_private_segment 0
		.amdhsa_system_sgpr_workgroup_id_x 1
		.amdhsa_system_sgpr_workgroup_id_y 0
		.amdhsa_system_sgpr_workgroup_id_z 0
		.amdhsa_system_sgpr_workgroup_info 0
		.amdhsa_system_vgpr_workitem_id 0
		.amdhsa_next_free_vgpr 30
		.amdhsa_next_free_sgpr 16
		.amdhsa_reserve_vcc 1
		.amdhsa_float_round_mode_32 0
		.amdhsa_float_round_mode_16_64 0
		.amdhsa_float_denorm_mode_32 3
		.amdhsa_float_denorm_mode_16_64 3
		.amdhsa_dx10_clamp 1
		.amdhsa_ieee_mode 1
		.amdhsa_fp16_overflow 0
		.amdhsa_workgroup_processor_mode 1
		.amdhsa_memory_ordered 1
		.amdhsa_forward_progress 0
		.amdhsa_shared_vgpr_count 0
		.amdhsa_exception_fp_ieee_invalid_op 0
		.amdhsa_exception_fp_denorm_src 0
		.amdhsa_exception_fp_ieee_div_zero 0
		.amdhsa_exception_fp_ieee_overflow 0
		.amdhsa_exception_fp_ieee_underflow 0
		.amdhsa_exception_fp_ieee_inexact 0
		.amdhsa_exception_int_div_zero 0
	.end_amdhsa_kernel
	.section	.text._ZN9rocsparseL19gebsrmvn_4xn_kernelILj128ELj1ELj32EdEEvi20rocsparse_direction_NS_24const_host_device_scalarIT2_EEPKiS6_PKS3_S8_S4_PS3_21rocsparse_index_base_b,"axG",@progbits,_ZN9rocsparseL19gebsrmvn_4xn_kernelILj128ELj1ELj32EdEEvi20rocsparse_direction_NS_24const_host_device_scalarIT2_EEPKiS6_PKS3_S8_S4_PS3_21rocsparse_index_base_b,comdat
.Lfunc_end40:
	.size	_ZN9rocsparseL19gebsrmvn_4xn_kernelILj128ELj1ELj32EdEEvi20rocsparse_direction_NS_24const_host_device_scalarIT2_EEPKiS6_PKS3_S8_S4_PS3_21rocsparse_index_base_b, .Lfunc_end40-_ZN9rocsparseL19gebsrmvn_4xn_kernelILj128ELj1ELj32EdEEvi20rocsparse_direction_NS_24const_host_device_scalarIT2_EEPKiS6_PKS3_S8_S4_PS3_21rocsparse_index_base_b
                                        ; -- End function
	.section	.AMDGPU.csdata,"",@progbits
; Kernel info:
; codeLenInByte = 1860
; NumSgprs: 18
; NumVgprs: 30
; ScratchSize: 0
; MemoryBound: 0
; FloatMode: 240
; IeeeMode: 1
; LDSByteSize: 0 bytes/workgroup (compile time only)
; SGPRBlocks: 2
; VGPRBlocks: 3
; NumSGPRsForWavesPerEU: 18
; NumVGPRsForWavesPerEU: 30
; Occupancy: 16
; WaveLimiterHint : 1
; COMPUTE_PGM_RSRC2:SCRATCH_EN: 0
; COMPUTE_PGM_RSRC2:USER_SGPR: 15
; COMPUTE_PGM_RSRC2:TRAP_HANDLER: 0
; COMPUTE_PGM_RSRC2:TGID_X_EN: 1
; COMPUTE_PGM_RSRC2:TGID_Y_EN: 0
; COMPUTE_PGM_RSRC2:TGID_Z_EN: 0
; COMPUTE_PGM_RSRC2:TIDIG_COMP_CNT: 0
	.section	.text._ZN9rocsparseL19gebsrmvn_4xn_kernelILj128ELj1ELj64EdEEvi20rocsparse_direction_NS_24const_host_device_scalarIT2_EEPKiS6_PKS3_S8_S4_PS3_21rocsparse_index_base_b,"axG",@progbits,_ZN9rocsparseL19gebsrmvn_4xn_kernelILj128ELj1ELj64EdEEvi20rocsparse_direction_NS_24const_host_device_scalarIT2_EEPKiS6_PKS3_S8_S4_PS3_21rocsparse_index_base_b,comdat
	.globl	_ZN9rocsparseL19gebsrmvn_4xn_kernelILj128ELj1ELj64EdEEvi20rocsparse_direction_NS_24const_host_device_scalarIT2_EEPKiS6_PKS3_S8_S4_PS3_21rocsparse_index_base_b ; -- Begin function _ZN9rocsparseL19gebsrmvn_4xn_kernelILj128ELj1ELj64EdEEvi20rocsparse_direction_NS_24const_host_device_scalarIT2_EEPKiS6_PKS3_S8_S4_PS3_21rocsparse_index_base_b
	.p2align	8
	.type	_ZN9rocsparseL19gebsrmvn_4xn_kernelILj128ELj1ELj64EdEEvi20rocsparse_direction_NS_24const_host_device_scalarIT2_EEPKiS6_PKS3_S8_S4_PS3_21rocsparse_index_base_b,@function
_ZN9rocsparseL19gebsrmvn_4xn_kernelILj128ELj1ELj64EdEEvi20rocsparse_direction_NS_24const_host_device_scalarIT2_EEPKiS6_PKS3_S8_S4_PS3_21rocsparse_index_base_b: ; @_ZN9rocsparseL19gebsrmvn_4xn_kernelILj128ELj1ELj64EdEEvi20rocsparse_direction_NS_24const_host_device_scalarIT2_EEPKiS6_PKS3_S8_S4_PS3_21rocsparse_index_base_b
; %bb.0:
	s_clause 0x2
	s_load_b64 s[12:13], s[0:1], 0x40
	s_load_b64 s[4:5], s[0:1], 0x8
	;; [unrolled: 1-line block ×3, first 2 shown]
	s_waitcnt lgkmcnt(0)
	s_bitcmp1_b32 s13, 0
	v_dual_mov_b32 v1, s4 :: v_dual_mov_b32 v2, s5
	s_cselect_b32 s6, -1, 0
	s_delay_alu instid0(SALU_CYCLE_1)
	s_and_b32 vcc_lo, exec_lo, s6
	s_xor_b32 s6, s6, -1
	s_cbranch_vccnz .LBB41_2
; %bb.1:
	v_dual_mov_b32 v1, s4 :: v_dual_mov_b32 v2, s5
	flat_load_b64 v[1:2], v[1:2]
.LBB41_2:
	v_dual_mov_b32 v4, s3 :: v_dual_mov_b32 v3, s2
	s_and_not1_b32 vcc_lo, exec_lo, s6
	s_cbranch_vccnz .LBB41_4
; %bb.3:
	v_dual_mov_b32 v4, s3 :: v_dual_mov_b32 v3, s2
	flat_load_b64 v[3:4], v[3:4]
.LBB41_4:
	s_waitcnt vmcnt(0) lgkmcnt(0)
	v_cmp_neq_f64_e32 vcc_lo, 0, v[1:2]
	v_cmp_neq_f64_e64 s2, 1.0, v[3:4]
	s_delay_alu instid0(VALU_DEP_1) | instskip(NEXT) | instid1(SALU_CYCLE_1)
	s_or_b32 s2, vcc_lo, s2
	s_and_saveexec_b32 s3, s2
	s_cbranch_execz .LBB41_23
; %bb.5:
	s_load_b64 s[2:3], s[0:1], 0x0
	v_lshrrev_b32_e32 v5, 6, v0
	s_delay_alu instid0(VALU_DEP_1) | instskip(SKIP_1) | instid1(VALU_DEP_1)
	v_lshl_or_b32 v5, s15, 1, v5
	s_waitcnt lgkmcnt(0)
	v_cmp_gt_i32_e32 vcc_lo, s2, v5
	s_and_b32 exec_lo, exec_lo, vcc_lo
	s_cbranch_execz .LBB41_23
; %bb.6:
	s_load_b256 s[4:11], s[0:1], 0x10
	v_ashrrev_i32_e32 v6, 31, v5
	v_and_b32_e32 v0, 63, v0
	s_cmp_lg_u32 s3, 0
	s_delay_alu instid0(VALU_DEP_2) | instskip(SKIP_1) | instid1(VALU_DEP_1)
	v_lshlrev_b64 v[6:7], 2, v[5:6]
	s_waitcnt lgkmcnt(0)
	v_add_co_u32 v6, vcc_lo, s4, v6
	s_delay_alu instid0(VALU_DEP_2) | instskip(SKIP_4) | instid1(VALU_DEP_2)
	v_add_co_ci_u32_e32 v7, vcc_lo, s5, v7, vcc_lo
	global_load_b64 v[6:7], v[6:7], off
	s_waitcnt vmcnt(0)
	v_subrev_nc_u32_e32 v6, s12, v6
	v_subrev_nc_u32_e32 v19, s12, v7
	v_add_nc_u32_e32 v14, v6, v0
	s_delay_alu instid0(VALU_DEP_1)
	v_cmp_lt_i32_e64 s2, v14, v19
	s_cbranch_scc0 .LBB41_12
; %bb.7:
	v_mov_b32_e32 v6, 0
	v_mov_b32_e32 v7, 0
	s_delay_alu instid0(VALU_DEP_1)
	v_dual_mov_b32 v9, v7 :: v_dual_mov_b32 v8, v6
	v_dual_mov_b32 v11, v7 :: v_dual_mov_b32 v10, v6
	;; [unrolled: 1-line block ×3, first 2 shown]
	s_and_saveexec_b32 s3, s2
	s_cbranch_execz .LBB41_11
; %bb.8:
	v_dual_mov_b32 v6, 0 :: v_dual_lshlrev_b32 v15, 2, v14
	v_dual_mov_b32 v7, 0 :: v_dual_mov_b32 v16, 0
	v_mov_b32_e32 v17, v14
	s_mov_b32 s4, 0
	s_delay_alu instid0(VALU_DEP_2)
	v_dual_mov_b32 v9, v7 :: v_dual_mov_b32 v8, v6
	v_dual_mov_b32 v11, v7 :: v_dual_mov_b32 v10, v6
	;; [unrolled: 1-line block ×3, first 2 shown]
	s_set_inst_prefetch_distance 0x1
	.p2align	6
.LBB41_9:                               ; =>This Inner Loop Header: Depth=1
	v_ashrrev_i32_e32 v18, 31, v17
	v_mov_b32_e32 v25, v16
	s_delay_alu instid0(VALU_DEP_2) | instskip(SKIP_1) | instid1(VALU_DEP_2)
	v_lshlrev_b64 v[20:21], 2, v[17:18]
	v_add_nc_u32_e32 v17, 64, v17
	v_add_co_u32 v20, vcc_lo, s6, v20
	s_delay_alu instid0(VALU_DEP_3) | instskip(SKIP_3) | instid1(VALU_DEP_2)
	v_add_co_ci_u32_e32 v21, vcc_lo, s7, v21, vcc_lo
	global_load_b32 v18, v[20:21], off
	v_lshlrev_b64 v[20:21], 3, v[15:16]
	v_add_nc_u32_e32 v15, 0x100, v15
	v_add_co_u32 v26, vcc_lo, s8, v20
	s_delay_alu instid0(VALU_DEP_3) | instskip(SKIP_3) | instid1(VALU_DEP_1)
	v_add_co_ci_u32_e32 v27, vcc_lo, s9, v21, vcc_lo
	global_load_b128 v[20:23], v[26:27], off offset:16
	s_waitcnt vmcnt(1)
	v_subrev_nc_u32_e32 v24, s12, v18
	v_lshlrev_b64 v[24:25], 3, v[24:25]
	s_delay_alu instid0(VALU_DEP_1) | instskip(NEXT) | instid1(VALU_DEP_2)
	v_add_co_u32 v28, vcc_lo, s10, v24
	v_add_co_ci_u32_e32 v29, vcc_lo, s11, v25, vcc_lo
	v_cmp_ge_i32_e32 vcc_lo, v17, v19
	global_load_b128 v[24:27], v[26:27], off
	global_load_b64 v[28:29], v[28:29], off
	s_or_b32 s4, vcc_lo, s4
	s_waitcnt vmcnt(0)
	v_fma_f64 v[6:7], v[24:25], v[28:29], v[6:7]
	v_fma_f64 v[12:13], v[26:27], v[28:29], v[12:13]
	v_fma_f64 v[10:11], v[20:21], v[28:29], v[10:11]
	v_fma_f64 v[8:9], v[22:23], v[28:29], v[8:9]
	s_and_not1_b32 exec_lo, exec_lo, s4
	s_cbranch_execnz .LBB41_9
; %bb.10:
	s_set_inst_prefetch_distance 0x2
	s_or_b32 exec_lo, exec_lo, s4
.LBB41_11:
	s_delay_alu instid0(SALU_CYCLE_1)
	s_or_b32 exec_lo, exec_lo, s3
	s_cbranch_execz .LBB41_13
	s_branch .LBB41_18
.LBB41_12:
                                        ; implicit-def: $vgpr6_vgpr7
                                        ; implicit-def: $vgpr8_vgpr9
                                        ; implicit-def: $vgpr10_vgpr11
                                        ; implicit-def: $vgpr12_vgpr13
.LBB41_13:
	v_mov_b32_e32 v6, 0
	v_mov_b32_e32 v7, 0
	s_delay_alu instid0(VALU_DEP_1)
	v_dual_mov_b32 v9, v7 :: v_dual_mov_b32 v8, v6
	v_dual_mov_b32 v11, v7 :: v_dual_mov_b32 v10, v6
	;; [unrolled: 1-line block ×3, first 2 shown]
	s_and_saveexec_b32 s3, s2
	s_cbranch_execz .LBB41_17
; %bb.14:
	v_dual_mov_b32 v6, 0 :: v_dual_mov_b32 v17, 0
	v_dual_mov_b32 v7, 0 :: v_dual_lshlrev_b32 v16, 2, v14
	s_mov_b32 s2, 0
	s_delay_alu instid0(VALU_DEP_1)
	v_dual_mov_b32 v9, v7 :: v_dual_mov_b32 v8, v6
	v_dual_mov_b32 v11, v7 :: v_dual_mov_b32 v10, v6
	;; [unrolled: 1-line block ×3, first 2 shown]
	s_set_inst_prefetch_distance 0x1
	.p2align	6
.LBB41_15:                              ; =>This Inner Loop Header: Depth=1
	v_ashrrev_i32_e32 v15, 31, v14
	v_mov_b32_e32 v25, v17
	s_delay_alu instid0(VALU_DEP_2) | instskip(SKIP_1) | instid1(VALU_DEP_2)
	v_lshlrev_b64 v[20:21], 2, v[14:15]
	v_add_nc_u32_e32 v14, 64, v14
	v_add_co_u32 v20, vcc_lo, s6, v20
	s_delay_alu instid0(VALU_DEP_3) | instskip(SKIP_3) | instid1(VALU_DEP_2)
	v_add_co_ci_u32_e32 v21, vcc_lo, s7, v21, vcc_lo
	global_load_b32 v15, v[20:21], off
	v_lshlrev_b64 v[20:21], 3, v[16:17]
	v_add_nc_u32_e32 v16, 0x100, v16
	v_add_co_u32 v26, vcc_lo, s8, v20
	s_delay_alu instid0(VALU_DEP_3) | instskip(SKIP_3) | instid1(VALU_DEP_1)
	v_add_co_ci_u32_e32 v27, vcc_lo, s9, v21, vcc_lo
	global_load_b128 v[20:23], v[26:27], off offset:16
	s_waitcnt vmcnt(1)
	v_subrev_nc_u32_e32 v24, s12, v15
	v_lshlrev_b64 v[24:25], 3, v[24:25]
	s_delay_alu instid0(VALU_DEP_1) | instskip(NEXT) | instid1(VALU_DEP_2)
	v_add_co_u32 v28, vcc_lo, s10, v24
	v_add_co_ci_u32_e32 v29, vcc_lo, s11, v25, vcc_lo
	v_cmp_ge_i32_e32 vcc_lo, v14, v19
	global_load_b128 v[24:27], v[26:27], off
	global_load_b64 v[28:29], v[28:29], off
	s_or_b32 s2, vcc_lo, s2
	s_waitcnt vmcnt(0)
	v_fma_f64 v[6:7], v[24:25], v[28:29], v[6:7]
	v_fma_f64 v[12:13], v[26:27], v[28:29], v[12:13]
	;; [unrolled: 1-line block ×4, first 2 shown]
	s_and_not1_b32 exec_lo, exec_lo, s2
	s_cbranch_execnz .LBB41_15
; %bb.16:
	s_set_inst_prefetch_distance 0x2
	s_or_b32 exec_lo, exec_lo, s2
.LBB41_17:
	s_delay_alu instid0(SALU_CYCLE_1)
	s_or_b32 exec_lo, exec_lo, s3
.LBB41_18:
	v_mbcnt_lo_u32_b32 v24, -1, 0
	s_delay_alu instid0(VALU_DEP_1) | instskip(NEXT) | instid1(VALU_DEP_1)
	v_or_b32_e32 v14, 32, v24
	v_cmp_gt_i32_e32 vcc_lo, 32, v14
	v_cndmask_b32_e32 v14, v24, v14, vcc_lo
	s_delay_alu instid0(VALU_DEP_1)
	v_lshlrev_b32_e32 v21, 2, v14
	ds_bpermute_b32 v14, v21, v6
	ds_bpermute_b32 v15, v21, v7
	ds_bpermute_b32 v16, v21, v12
	ds_bpermute_b32 v17, v21, v13
	ds_bpermute_b32 v18, v21, v10
	ds_bpermute_b32 v19, v21, v11
	ds_bpermute_b32 v20, v21, v8
	ds_bpermute_b32 v21, v21, v9
	s_waitcnt lgkmcnt(6)
	v_add_f64 v[6:7], v[6:7], v[14:15]
	v_xor_b32_e32 v14, 16, v24
	s_waitcnt lgkmcnt(4)
	v_add_f64 v[12:13], v[12:13], v[16:17]
	s_waitcnt lgkmcnt(2)
	v_add_f64 v[10:11], v[10:11], v[18:19]
	s_waitcnt lgkmcnt(0)
	v_add_f64 v[8:9], v[8:9], v[20:21]
	v_cmp_gt_i32_e32 vcc_lo, 32, v14
	v_cndmask_b32_e32 v14, v24, v14, vcc_lo
	s_delay_alu instid0(VALU_DEP_1)
	v_lshlrev_b32_e32 v21, 2, v14
	ds_bpermute_b32 v14, v21, v6
	ds_bpermute_b32 v15, v21, v7
	ds_bpermute_b32 v16, v21, v12
	ds_bpermute_b32 v17, v21, v13
	ds_bpermute_b32 v18, v21, v10
	ds_bpermute_b32 v19, v21, v11
	ds_bpermute_b32 v20, v21, v8
	ds_bpermute_b32 v21, v21, v9
	s_waitcnt lgkmcnt(6)
	v_add_f64 v[6:7], v[6:7], v[14:15]
	v_xor_b32_e32 v14, 8, v24
	s_waitcnt lgkmcnt(4)
	v_add_f64 v[12:13], v[12:13], v[16:17]
	s_waitcnt lgkmcnt(2)
	v_add_f64 v[10:11], v[10:11], v[18:19]
	s_waitcnt lgkmcnt(0)
	v_add_f64 v[8:9], v[8:9], v[20:21]
	;; [unrolled: 21-line block ×3, first 2 shown]
	v_cmp_gt_i32_e32 vcc_lo, 32, v14
	v_cndmask_b32_e32 v14, v24, v14, vcc_lo
	s_delay_alu instid0(VALU_DEP_1)
	v_lshlrev_b32_e32 v21, 2, v14
	ds_bpermute_b32 v14, v21, v6
	ds_bpermute_b32 v15, v21, v7
	;; [unrolled: 1-line block ×8, first 2 shown]
	s_waitcnt lgkmcnt(6)
	v_add_f64 v[6:7], v[6:7], v[14:15]
	s_waitcnt lgkmcnt(4)
	v_add_f64 v[12:13], v[12:13], v[16:17]
	;; [unrolled: 2-line block ×4, first 2 shown]
	v_xor_b32_e32 v8, 2, v24
	s_delay_alu instid0(VALU_DEP_1) | instskip(SKIP_1) | instid1(VALU_DEP_1)
	v_cmp_gt_i32_e32 vcc_lo, 32, v8
	v_cndmask_b32_e32 v8, v24, v8, vcc_lo
	v_lshlrev_b32_e32 v10, 2, v8
	ds_bpermute_b32 v8, v10, v6
	ds_bpermute_b32 v9, v10, v7
	;; [unrolled: 1-line block ×8, first 2 shown]
	s_waitcnt lgkmcnt(6)
	v_add_f64 v[10:11], v[6:7], v[8:9]
	s_waitcnt lgkmcnt(4)
	v_add_f64 v[8:9], v[12:13], v[18:19]
	v_xor_b32_e32 v12, 1, v24
	s_waitcnt lgkmcnt(2)
	v_add_f64 v[6:7], v[14:15], v[20:21]
	s_waitcnt lgkmcnt(0)
	v_add_f64 v[14:15], v[16:17], v[22:23]
	v_cmp_gt_i32_e32 vcc_lo, 32, v12
	v_cndmask_b32_e32 v12, v24, v12, vcc_lo
	v_cmp_eq_u32_e32 vcc_lo, 63, v0
	s_delay_alu instid0(VALU_DEP_2)
	v_lshlrev_b32_e32 v17, 2, v12
	ds_bpermute_b32 v12, v17, v10
	ds_bpermute_b32 v13, v17, v11
	;; [unrolled: 1-line block ×8, first 2 shown]
	s_and_b32 exec_lo, exec_lo, vcc_lo
	s_cbranch_execz .LBB41_23
; %bb.19:
	s_waitcnt lgkmcnt(6)
	v_add_f64 v[12:13], v[10:11], v[12:13]
	s_waitcnt lgkmcnt(4)
	v_add_f64 v[10:11], v[8:9], v[20:21]
	;; [unrolled: 2-line block ×4, first 2 shown]
	s_load_b64 s[0:1], s[0:1], 0x38
	s_mov_b32 s2, exec_lo
	v_cmpx_eq_f64_e32 0, v[3:4]
	s_xor_b32 s2, exec_lo, s2
	s_cbranch_execz .LBB41_21
; %bb.20:
	v_mul_f64 v[12:13], v[1:2], v[12:13]
	v_mul_f64 v[14:15], v[1:2], v[10:11]
	;; [unrolled: 1-line block ×4, first 2 shown]
	v_lshlrev_b32_e32 v0, 2, v5
                                        ; implicit-def: $vgpr5
                                        ; implicit-def: $vgpr3_vgpr4
                                        ; implicit-def: $vgpr6_vgpr7
	s_delay_alu instid0(VALU_DEP_1) | instskip(NEXT) | instid1(VALU_DEP_1)
	v_ashrrev_i32_e32 v1, 31, v0
	v_lshlrev_b64 v[0:1], 3, v[0:1]
	s_waitcnt lgkmcnt(0)
	s_delay_alu instid0(VALU_DEP_1) | instskip(NEXT) | instid1(VALU_DEP_2)
	v_add_co_u32 v0, vcc_lo, s0, v0
	v_add_co_ci_u32_e32 v1, vcc_lo, s1, v1, vcc_lo
	s_clause 0x1
	global_store_b128 v[0:1], v[12:15], off
	global_store_b128 v[0:1], v[8:11], off offset:16
                                        ; implicit-def: $vgpr1_vgpr2
                                        ; implicit-def: $vgpr12_vgpr13
                                        ; implicit-def: $vgpr10_vgpr11
                                        ; implicit-def: $vgpr8_vgpr9
.LBB41_21:
	s_and_not1_saveexec_b32 s2, s2
	s_cbranch_execz .LBB41_23
; %bb.22:
	v_lshlrev_b32_e32 v14, 2, v5
	v_mul_f64 v[12:13], v[1:2], v[12:13]
	v_mul_f64 v[10:11], v[1:2], v[10:11]
	;; [unrolled: 1-line block ×4, first 2 shown]
	v_ashrrev_i32_e32 v15, 31, v14
	s_delay_alu instid0(VALU_DEP_1) | instskip(SKIP_1) | instid1(VALU_DEP_1)
	v_lshlrev_b64 v[14:15], 3, v[14:15]
	s_waitcnt lgkmcnt(0)
	v_add_co_u32 v22, vcc_lo, s0, v14
	s_delay_alu instid0(VALU_DEP_2)
	v_add_co_ci_u32_e32 v23, vcc_lo, s1, v15, vcc_lo
	s_clause 0x1
	global_load_b128 v[14:17], v[22:23], off
	global_load_b128 v[18:21], v[22:23], off offset:16
	s_waitcnt vmcnt(1)
	v_fma_f64 v[5:6], v[3:4], v[14:15], v[12:13]
	v_fma_f64 v[7:8], v[3:4], v[16:17], v[10:11]
	s_waitcnt vmcnt(0)
	v_fma_f64 v[0:1], v[3:4], v[18:19], v[24:25]
	v_fma_f64 v[2:3], v[3:4], v[20:21], v[26:27]
	s_clause 0x1
	global_store_b128 v[22:23], v[5:8], off
	global_store_b128 v[22:23], v[0:3], off offset:16
.LBB41_23:
	s_nop 0
	s_sendmsg sendmsg(MSG_DEALLOC_VGPRS)
	s_endpgm
	.section	.rodata,"a",@progbits
	.p2align	6, 0x0
	.amdhsa_kernel _ZN9rocsparseL19gebsrmvn_4xn_kernelILj128ELj1ELj64EdEEvi20rocsparse_direction_NS_24const_host_device_scalarIT2_EEPKiS6_PKS3_S8_S4_PS3_21rocsparse_index_base_b
		.amdhsa_group_segment_fixed_size 0
		.amdhsa_private_segment_fixed_size 0
		.amdhsa_kernarg_size 72
		.amdhsa_user_sgpr_count 15
		.amdhsa_user_sgpr_dispatch_ptr 0
		.amdhsa_user_sgpr_queue_ptr 0
		.amdhsa_user_sgpr_kernarg_segment_ptr 1
		.amdhsa_user_sgpr_dispatch_id 0
		.amdhsa_user_sgpr_private_segment_size 0
		.amdhsa_wavefront_size32 1
		.amdhsa_uses_dynamic_stack 0
		.amdhsa_enable_private_segment 0
		.amdhsa_system_sgpr_workgroup_id_x 1
		.amdhsa_system_sgpr_workgroup_id_y 0
		.amdhsa_system_sgpr_workgroup_id_z 0
		.amdhsa_system_sgpr_workgroup_info 0
		.amdhsa_system_vgpr_workitem_id 0
		.amdhsa_next_free_vgpr 30
		.amdhsa_next_free_sgpr 16
		.amdhsa_reserve_vcc 1
		.amdhsa_float_round_mode_32 0
		.amdhsa_float_round_mode_16_64 0
		.amdhsa_float_denorm_mode_32 3
		.amdhsa_float_denorm_mode_16_64 3
		.amdhsa_dx10_clamp 1
		.amdhsa_ieee_mode 1
		.amdhsa_fp16_overflow 0
		.amdhsa_workgroup_processor_mode 1
		.amdhsa_memory_ordered 1
		.amdhsa_forward_progress 0
		.amdhsa_shared_vgpr_count 0
		.amdhsa_exception_fp_ieee_invalid_op 0
		.amdhsa_exception_fp_denorm_src 0
		.amdhsa_exception_fp_ieee_div_zero 0
		.amdhsa_exception_fp_ieee_overflow 0
		.amdhsa_exception_fp_ieee_underflow 0
		.amdhsa_exception_fp_ieee_inexact 0
		.amdhsa_exception_int_div_zero 0
	.end_amdhsa_kernel
	.section	.text._ZN9rocsparseL19gebsrmvn_4xn_kernelILj128ELj1ELj64EdEEvi20rocsparse_direction_NS_24const_host_device_scalarIT2_EEPKiS6_PKS3_S8_S4_PS3_21rocsparse_index_base_b,"axG",@progbits,_ZN9rocsparseL19gebsrmvn_4xn_kernelILj128ELj1ELj64EdEEvi20rocsparse_direction_NS_24const_host_device_scalarIT2_EEPKiS6_PKS3_S8_S4_PS3_21rocsparse_index_base_b,comdat
.Lfunc_end41:
	.size	_ZN9rocsparseL19gebsrmvn_4xn_kernelILj128ELj1ELj64EdEEvi20rocsparse_direction_NS_24const_host_device_scalarIT2_EEPKiS6_PKS3_S8_S4_PS3_21rocsparse_index_base_b, .Lfunc_end41-_ZN9rocsparseL19gebsrmvn_4xn_kernelILj128ELj1ELj64EdEEvi20rocsparse_direction_NS_24const_host_device_scalarIT2_EEPKiS6_PKS3_S8_S4_PS3_21rocsparse_index_base_b
                                        ; -- End function
	.section	.AMDGPU.csdata,"",@progbits
; Kernel info:
; codeLenInByte = 1992
; NumSgprs: 18
; NumVgprs: 30
; ScratchSize: 0
; MemoryBound: 0
; FloatMode: 240
; IeeeMode: 1
; LDSByteSize: 0 bytes/workgroup (compile time only)
; SGPRBlocks: 2
; VGPRBlocks: 3
; NumSGPRsForWavesPerEU: 18
; NumVGPRsForWavesPerEU: 30
; Occupancy: 16
; WaveLimiterHint : 1
; COMPUTE_PGM_RSRC2:SCRATCH_EN: 0
; COMPUTE_PGM_RSRC2:USER_SGPR: 15
; COMPUTE_PGM_RSRC2:TRAP_HANDLER: 0
; COMPUTE_PGM_RSRC2:TGID_X_EN: 1
; COMPUTE_PGM_RSRC2:TGID_Y_EN: 0
; COMPUTE_PGM_RSRC2:TGID_Z_EN: 0
; COMPUTE_PGM_RSRC2:TIDIG_COMP_CNT: 0
	.section	.text._ZN9rocsparseL19gebsrmvn_4xn_kernelILj128ELj2ELj4EdEEvi20rocsparse_direction_NS_24const_host_device_scalarIT2_EEPKiS6_PKS3_S8_S4_PS3_21rocsparse_index_base_b,"axG",@progbits,_ZN9rocsparseL19gebsrmvn_4xn_kernelILj128ELj2ELj4EdEEvi20rocsparse_direction_NS_24const_host_device_scalarIT2_EEPKiS6_PKS3_S8_S4_PS3_21rocsparse_index_base_b,comdat
	.globl	_ZN9rocsparseL19gebsrmvn_4xn_kernelILj128ELj2ELj4EdEEvi20rocsparse_direction_NS_24const_host_device_scalarIT2_EEPKiS6_PKS3_S8_S4_PS3_21rocsparse_index_base_b ; -- Begin function _ZN9rocsparseL19gebsrmvn_4xn_kernelILj128ELj2ELj4EdEEvi20rocsparse_direction_NS_24const_host_device_scalarIT2_EEPKiS6_PKS3_S8_S4_PS3_21rocsparse_index_base_b
	.p2align	8
	.type	_ZN9rocsparseL19gebsrmvn_4xn_kernelILj128ELj2ELj4EdEEvi20rocsparse_direction_NS_24const_host_device_scalarIT2_EEPKiS6_PKS3_S8_S4_PS3_21rocsparse_index_base_b,@function
_ZN9rocsparseL19gebsrmvn_4xn_kernelILj128ELj2ELj4EdEEvi20rocsparse_direction_NS_24const_host_device_scalarIT2_EEPKiS6_PKS3_S8_S4_PS3_21rocsparse_index_base_b: ; @_ZN9rocsparseL19gebsrmvn_4xn_kernelILj128ELj2ELj4EdEEvi20rocsparse_direction_NS_24const_host_device_scalarIT2_EEPKiS6_PKS3_S8_S4_PS3_21rocsparse_index_base_b
; %bb.0:
	s_clause 0x2
	s_load_b64 s[12:13], s[0:1], 0x40
	s_load_b64 s[4:5], s[0:1], 0x8
	;; [unrolled: 1-line block ×3, first 2 shown]
	s_waitcnt lgkmcnt(0)
	s_bitcmp1_b32 s13, 0
	v_dual_mov_b32 v1, s4 :: v_dual_mov_b32 v2, s5
	s_cselect_b32 s6, -1, 0
	s_delay_alu instid0(SALU_CYCLE_1)
	s_and_b32 vcc_lo, exec_lo, s6
	s_xor_b32 s6, s6, -1
	s_cbranch_vccnz .LBB42_2
; %bb.1:
	v_dual_mov_b32 v1, s4 :: v_dual_mov_b32 v2, s5
	flat_load_b64 v[1:2], v[1:2]
.LBB42_2:
	v_dual_mov_b32 v4, s3 :: v_dual_mov_b32 v3, s2
	s_and_not1_b32 vcc_lo, exec_lo, s6
	s_cbranch_vccnz .LBB42_4
; %bb.3:
	v_dual_mov_b32 v4, s3 :: v_dual_mov_b32 v3, s2
	flat_load_b64 v[3:4], v[3:4]
.LBB42_4:
	s_waitcnt vmcnt(0) lgkmcnt(0)
	v_cmp_neq_f64_e32 vcc_lo, 0, v[1:2]
	v_cmp_neq_f64_e64 s2, 1.0, v[3:4]
	s_delay_alu instid0(VALU_DEP_1) | instskip(NEXT) | instid1(SALU_CYCLE_1)
	s_or_b32 s2, vcc_lo, s2
	s_and_saveexec_b32 s3, s2
	s_cbranch_execz .LBB42_23
; %bb.5:
	s_load_b64 s[2:3], s[0:1], 0x0
	v_lshrrev_b32_e32 v5, 2, v0
	s_delay_alu instid0(VALU_DEP_1) | instskip(SKIP_1) | instid1(VALU_DEP_1)
	v_lshl_or_b32 v5, s15, 5, v5
	s_waitcnt lgkmcnt(0)
	v_cmp_gt_i32_e32 vcc_lo, s2, v5
	s_and_b32 exec_lo, exec_lo, vcc_lo
	s_cbranch_execz .LBB42_23
; %bb.6:
	s_load_b256 s[4:11], s[0:1], 0x10
	v_ashrrev_i32_e32 v6, 31, v5
	v_and_b32_e32 v0, 3, v0
	s_cmp_lg_u32 s3, 0
	s_delay_alu instid0(VALU_DEP_2) | instskip(SKIP_1) | instid1(VALU_DEP_1)
	v_lshlrev_b64 v[6:7], 2, v[5:6]
	s_waitcnt lgkmcnt(0)
	v_add_co_u32 v6, vcc_lo, s4, v6
	s_delay_alu instid0(VALU_DEP_2) | instskip(SKIP_4) | instid1(VALU_DEP_2)
	v_add_co_ci_u32_e32 v7, vcc_lo, s5, v7, vcc_lo
	global_load_b64 v[6:7], v[6:7], off
	s_waitcnt vmcnt(0)
	v_subrev_nc_u32_e32 v6, s12, v6
	v_subrev_nc_u32_e32 v19, s12, v7
	v_add_nc_u32_e32 v14, v6, v0
	s_delay_alu instid0(VALU_DEP_1)
	v_cmp_lt_i32_e64 s2, v14, v19
	s_cbranch_scc0 .LBB42_12
; %bb.7:
	v_mov_b32_e32 v6, 0
	v_mov_b32_e32 v7, 0
	s_delay_alu instid0(VALU_DEP_1)
	v_dual_mov_b32 v9, v7 :: v_dual_mov_b32 v8, v6
	v_dual_mov_b32 v11, v7 :: v_dual_mov_b32 v10, v6
	;; [unrolled: 1-line block ×3, first 2 shown]
	s_and_saveexec_b32 s3, s2
	s_cbranch_execz .LBB42_11
; %bb.8:
	v_dual_mov_b32 v6, 0 :: v_dual_lshlrev_b32 v15, 3, v14
	v_dual_mov_b32 v7, 0 :: v_dual_mov_b32 v16, 0
	v_mov_b32_e32 v17, v14
	s_mov_b32 s4, 0
	s_delay_alu instid0(VALU_DEP_2)
	v_dual_mov_b32 v9, v7 :: v_dual_mov_b32 v8, v6
	v_dual_mov_b32 v11, v7 :: v_dual_mov_b32 v10, v6
	;; [unrolled: 1-line block ×3, first 2 shown]
.LBB42_9:                               ; =>This Inner Loop Header: Depth=1
	v_ashrrev_i32_e32 v18, 31, v17
	s_delay_alu instid0(VALU_DEP_1) | instskip(SKIP_1) | instid1(VALU_DEP_2)
	v_lshlrev_b64 v[20:21], 2, v[17:18]
	v_add_nc_u32_e32 v17, 4, v17
	v_add_co_u32 v20, vcc_lo, s6, v20
	s_delay_alu instid0(VALU_DEP_3) | instskip(SKIP_3) | instid1(VALU_DEP_2)
	v_add_co_ci_u32_e32 v21, vcc_lo, s7, v21, vcc_lo
	global_load_b32 v18, v[20:21], off
	v_lshlrev_b64 v[20:21], 3, v[15:16]
	v_add_nc_u32_e32 v15, 32, v15
	v_add_co_u32 v36, vcc_lo, s8, v20
	s_delay_alu instid0(VALU_DEP_3) | instskip(SKIP_3) | instid1(VALU_DEP_1)
	v_add_co_ci_u32_e32 v37, vcc_lo, s9, v21, vcc_lo
	global_load_b128 v[20:23], v[36:37], off offset:16
	s_waitcnt vmcnt(1)
	v_subrev_nc_u32_e32 v18, s12, v18
	v_dual_mov_b32 v25, v16 :: v_dual_lshlrev_b32 v24, 1, v18
	s_delay_alu instid0(VALU_DEP_1) | instskip(NEXT) | instid1(VALU_DEP_1)
	v_lshlrev_b64 v[24:25], 3, v[24:25]
	v_add_co_u32 v28, vcc_lo, s10, v24
	s_delay_alu instid0(VALU_DEP_2)
	v_add_co_ci_u32_e32 v29, vcc_lo, s11, v25, vcc_lo
	v_cmp_ge_i32_e32 vcc_lo, v17, v19
	global_load_b128 v[24:27], v[36:37], off
	global_load_b128 v[28:31], v[28:29], off
	s_clause 0x1
	global_load_b128 v[32:35], v[36:37], off offset:32
	global_load_b128 v[36:39], v[36:37], off offset:48
	s_or_b32 s4, vcc_lo, s4
	s_waitcnt vmcnt(2)
	v_fma_f64 v[6:7], v[24:25], v[28:29], v[6:7]
	v_fma_f64 v[12:13], v[26:27], v[28:29], v[12:13]
	;; [unrolled: 1-line block ×4, first 2 shown]
	s_waitcnt vmcnt(1)
	s_delay_alu instid0(VALU_DEP_4) | instskip(NEXT) | instid1(VALU_DEP_4)
	v_fma_f64 v[6:7], v[32:33], v[30:31], v[6:7]
	v_fma_f64 v[12:13], v[34:35], v[30:31], v[12:13]
	s_waitcnt vmcnt(0)
	s_delay_alu instid0(VALU_DEP_4) | instskip(NEXT) | instid1(VALU_DEP_4)
	v_fma_f64 v[10:11], v[36:37], v[30:31], v[10:11]
	v_fma_f64 v[8:9], v[38:39], v[30:31], v[8:9]
	s_and_not1_b32 exec_lo, exec_lo, s4
	s_cbranch_execnz .LBB42_9
; %bb.10:
	s_or_b32 exec_lo, exec_lo, s4
.LBB42_11:
	s_delay_alu instid0(SALU_CYCLE_1)
	s_or_b32 exec_lo, exec_lo, s3
	s_cbranch_execz .LBB42_13
	s_branch .LBB42_18
.LBB42_12:
                                        ; implicit-def: $vgpr6_vgpr7
                                        ; implicit-def: $vgpr8_vgpr9
                                        ; implicit-def: $vgpr10_vgpr11
                                        ; implicit-def: $vgpr12_vgpr13
.LBB42_13:
	v_mov_b32_e32 v6, 0
	v_mov_b32_e32 v7, 0
	s_delay_alu instid0(VALU_DEP_1)
	v_dual_mov_b32 v9, v7 :: v_dual_mov_b32 v8, v6
	v_dual_mov_b32 v11, v7 :: v_dual_mov_b32 v10, v6
	;; [unrolled: 1-line block ×3, first 2 shown]
	s_and_saveexec_b32 s3, s2
	s_cbranch_execz .LBB42_17
; %bb.14:
	v_dual_mov_b32 v6, 0 :: v_dual_mov_b32 v17, 0
	v_dual_mov_b32 v7, 0 :: v_dual_lshlrev_b32 v16, 3, v14
	s_mov_b32 s2, 0
	s_delay_alu instid0(VALU_DEP_1)
	v_dual_mov_b32 v9, v7 :: v_dual_mov_b32 v8, v6
	v_dual_mov_b32 v11, v7 :: v_dual_mov_b32 v10, v6
	;; [unrolled: 1-line block ×3, first 2 shown]
.LBB42_15:                              ; =>This Inner Loop Header: Depth=1
	v_ashrrev_i32_e32 v15, 31, v14
	s_delay_alu instid0(VALU_DEP_1) | instskip(SKIP_1) | instid1(VALU_DEP_2)
	v_lshlrev_b64 v[20:21], 2, v[14:15]
	v_add_nc_u32_e32 v14, 4, v14
	v_add_co_u32 v20, vcc_lo, s6, v20
	s_delay_alu instid0(VALU_DEP_3) | instskip(SKIP_3) | instid1(VALU_DEP_2)
	v_add_co_ci_u32_e32 v21, vcc_lo, s7, v21, vcc_lo
	global_load_b32 v15, v[20:21], off
	v_lshlrev_b64 v[20:21], 3, v[16:17]
	v_add_nc_u32_e32 v16, 32, v16
	v_add_co_u32 v34, vcc_lo, s8, v20
	s_delay_alu instid0(VALU_DEP_3)
	v_add_co_ci_u32_e32 v35, vcc_lo, s9, v21, vcc_lo
	s_clause 0x2
	global_load_b128 v[20:23], v[34:35], off offset:48
	global_load_b128 v[24:27], v[34:35], off offset:32
	;; [unrolled: 1-line block ×3, first 2 shown]
	s_waitcnt vmcnt(3)
	v_subrev_nc_u32_e32 v15, s12, v15
	s_delay_alu instid0(VALU_DEP_1) | instskip(NEXT) | instid1(VALU_DEP_1)
	v_dual_mov_b32 v33, v17 :: v_dual_lshlrev_b32 v32, 1, v15
	v_lshlrev_b64 v[32:33], 3, v[32:33]
	s_delay_alu instid0(VALU_DEP_1) | instskip(NEXT) | instid1(VALU_DEP_2)
	v_add_co_u32 v36, vcc_lo, s10, v32
	v_add_co_ci_u32_e32 v37, vcc_lo, s11, v33, vcc_lo
	v_cmp_ge_i32_e32 vcc_lo, v14, v19
	global_load_b128 v[32:35], v[34:35], off
	global_load_b128 v[36:39], v[36:37], off
	s_or_b32 s2, vcc_lo, s2
	s_waitcnt vmcnt(0)
	v_fma_f64 v[6:7], v[32:33], v[36:37], v[6:7]
	v_fma_f64 v[12:13], v[28:29], v[36:37], v[12:13]
	;; [unrolled: 1-line block ×4, first 2 shown]
	s_delay_alu instid0(VALU_DEP_4) | instskip(NEXT) | instid1(VALU_DEP_4)
	v_fma_f64 v[6:7], v[34:35], v[38:39], v[6:7]
	v_fma_f64 v[12:13], v[30:31], v[38:39], v[12:13]
	s_delay_alu instid0(VALU_DEP_4) | instskip(NEXT) | instid1(VALU_DEP_4)
	v_fma_f64 v[10:11], v[26:27], v[38:39], v[10:11]
	v_fma_f64 v[8:9], v[22:23], v[38:39], v[8:9]
	s_and_not1_b32 exec_lo, exec_lo, s2
	s_cbranch_execnz .LBB42_15
; %bb.16:
	s_or_b32 exec_lo, exec_lo, s2
.LBB42_17:
	s_delay_alu instid0(SALU_CYCLE_1)
	s_or_b32 exec_lo, exec_lo, s3
.LBB42_18:
	v_mbcnt_lo_u32_b32 v24, -1, 0
	s_delay_alu instid0(VALU_DEP_1) | instskip(NEXT) | instid1(VALU_DEP_1)
	v_xor_b32_e32 v14, 2, v24
	v_cmp_gt_i32_e32 vcc_lo, 32, v14
	v_cndmask_b32_e32 v14, v24, v14, vcc_lo
	s_delay_alu instid0(VALU_DEP_1)
	v_lshlrev_b32_e32 v18, 2, v14
	ds_bpermute_b32 v14, v18, v6
	ds_bpermute_b32 v15, v18, v7
	;; [unrolled: 1-line block ×8, first 2 shown]
	s_waitcnt lgkmcnt(6)
	v_add_f64 v[18:19], v[6:7], v[14:15]
	s_waitcnt lgkmcnt(4)
	v_add_f64 v[16:17], v[12:13], v[16:17]
	;; [unrolled: 2-line block ×4, first 2 shown]
	v_xor_b32_e32 v8, 1, v24
	s_delay_alu instid0(VALU_DEP_1) | instskip(SKIP_2) | instid1(VALU_DEP_2)
	v_cmp_gt_i32_e32 vcc_lo, 32, v8
	v_cndmask_b32_e32 v8, v24, v8, vcc_lo
	v_cmp_eq_u32_e32 vcc_lo, 3, v0
	v_lshlrev_b32_e32 v21, 2, v8
	ds_bpermute_b32 v12, v21, v18
	ds_bpermute_b32 v13, v21, v19
	;; [unrolled: 1-line block ×8, first 2 shown]
	s_and_b32 exec_lo, exec_lo, vcc_lo
	s_cbranch_execz .LBB42_23
; %bb.19:
	s_waitcnt lgkmcnt(6)
	v_add_f64 v[12:13], v[18:19], v[12:13]
	s_waitcnt lgkmcnt(4)
	v_add_f64 v[10:11], v[16:17], v[10:11]
	;; [unrolled: 2-line block ×4, first 2 shown]
	s_load_b64 s[0:1], s[0:1], 0x38
	s_mov_b32 s2, exec_lo
	v_cmpx_eq_f64_e32 0, v[3:4]
	s_xor_b32 s2, exec_lo, s2
	s_cbranch_execz .LBB42_21
; %bb.20:
	v_mul_f64 v[12:13], v[1:2], v[12:13]
	v_mul_f64 v[14:15], v[1:2], v[10:11]
	;; [unrolled: 1-line block ×4, first 2 shown]
	v_lshlrev_b32_e32 v0, 2, v5
                                        ; implicit-def: $vgpr5
                                        ; implicit-def: $vgpr3_vgpr4
                                        ; implicit-def: $vgpr6_vgpr7
	s_delay_alu instid0(VALU_DEP_1) | instskip(NEXT) | instid1(VALU_DEP_1)
	v_ashrrev_i32_e32 v1, 31, v0
	v_lshlrev_b64 v[0:1], 3, v[0:1]
	s_waitcnt lgkmcnt(0)
	s_delay_alu instid0(VALU_DEP_1) | instskip(NEXT) | instid1(VALU_DEP_2)
	v_add_co_u32 v0, vcc_lo, s0, v0
	v_add_co_ci_u32_e32 v1, vcc_lo, s1, v1, vcc_lo
	s_clause 0x1
	global_store_b128 v[0:1], v[12:15], off
	global_store_b128 v[0:1], v[8:11], off offset:16
                                        ; implicit-def: $vgpr1_vgpr2
                                        ; implicit-def: $vgpr12_vgpr13
                                        ; implicit-def: $vgpr10_vgpr11
                                        ; implicit-def: $vgpr8_vgpr9
.LBB42_21:
	s_and_not1_saveexec_b32 s2, s2
	s_cbranch_execz .LBB42_23
; %bb.22:
	v_lshlrev_b32_e32 v14, 2, v5
	v_mul_f64 v[12:13], v[1:2], v[12:13]
	v_mul_f64 v[10:11], v[1:2], v[10:11]
	;; [unrolled: 1-line block ×4, first 2 shown]
	v_ashrrev_i32_e32 v15, 31, v14
	s_delay_alu instid0(VALU_DEP_1) | instskip(SKIP_1) | instid1(VALU_DEP_1)
	v_lshlrev_b64 v[14:15], 3, v[14:15]
	s_waitcnt lgkmcnt(0)
	v_add_co_u32 v22, vcc_lo, s0, v14
	s_delay_alu instid0(VALU_DEP_2)
	v_add_co_ci_u32_e32 v23, vcc_lo, s1, v15, vcc_lo
	s_clause 0x1
	global_load_b128 v[14:17], v[22:23], off
	global_load_b128 v[18:21], v[22:23], off offset:16
	s_waitcnt vmcnt(1)
	v_fma_f64 v[5:6], v[3:4], v[14:15], v[12:13]
	v_fma_f64 v[7:8], v[3:4], v[16:17], v[10:11]
	s_waitcnt vmcnt(0)
	v_fma_f64 v[0:1], v[3:4], v[18:19], v[24:25]
	v_fma_f64 v[2:3], v[3:4], v[20:21], v[26:27]
	s_clause 0x1
	global_store_b128 v[22:23], v[5:8], off
	global_store_b128 v[22:23], v[0:3], off offset:16
.LBB42_23:
	s_nop 0
	s_sendmsg sendmsg(MSG_DEALLOC_VGPRS)
	s_endpgm
	.section	.rodata,"a",@progbits
	.p2align	6, 0x0
	.amdhsa_kernel _ZN9rocsparseL19gebsrmvn_4xn_kernelILj128ELj2ELj4EdEEvi20rocsparse_direction_NS_24const_host_device_scalarIT2_EEPKiS6_PKS3_S8_S4_PS3_21rocsparse_index_base_b
		.amdhsa_group_segment_fixed_size 0
		.amdhsa_private_segment_fixed_size 0
		.amdhsa_kernarg_size 72
		.amdhsa_user_sgpr_count 15
		.amdhsa_user_sgpr_dispatch_ptr 0
		.amdhsa_user_sgpr_queue_ptr 0
		.amdhsa_user_sgpr_kernarg_segment_ptr 1
		.amdhsa_user_sgpr_dispatch_id 0
		.amdhsa_user_sgpr_private_segment_size 0
		.amdhsa_wavefront_size32 1
		.amdhsa_uses_dynamic_stack 0
		.amdhsa_enable_private_segment 0
		.amdhsa_system_sgpr_workgroup_id_x 1
		.amdhsa_system_sgpr_workgroup_id_y 0
		.amdhsa_system_sgpr_workgroup_id_z 0
		.amdhsa_system_sgpr_workgroup_info 0
		.amdhsa_system_vgpr_workitem_id 0
		.amdhsa_next_free_vgpr 40
		.amdhsa_next_free_sgpr 16
		.amdhsa_reserve_vcc 1
		.amdhsa_float_round_mode_32 0
		.amdhsa_float_round_mode_16_64 0
		.amdhsa_float_denorm_mode_32 3
		.amdhsa_float_denorm_mode_16_64 3
		.amdhsa_dx10_clamp 1
		.amdhsa_ieee_mode 1
		.amdhsa_fp16_overflow 0
		.amdhsa_workgroup_processor_mode 1
		.amdhsa_memory_ordered 1
		.amdhsa_forward_progress 0
		.amdhsa_shared_vgpr_count 0
		.amdhsa_exception_fp_ieee_invalid_op 0
		.amdhsa_exception_fp_denorm_src 0
		.amdhsa_exception_fp_ieee_div_zero 0
		.amdhsa_exception_fp_ieee_overflow 0
		.amdhsa_exception_fp_ieee_underflow 0
		.amdhsa_exception_fp_ieee_inexact 0
		.amdhsa_exception_int_div_zero 0
	.end_amdhsa_kernel
	.section	.text._ZN9rocsparseL19gebsrmvn_4xn_kernelILj128ELj2ELj4EdEEvi20rocsparse_direction_NS_24const_host_device_scalarIT2_EEPKiS6_PKS3_S8_S4_PS3_21rocsparse_index_base_b,"axG",@progbits,_ZN9rocsparseL19gebsrmvn_4xn_kernelILj128ELj2ELj4EdEEvi20rocsparse_direction_NS_24const_host_device_scalarIT2_EEPKiS6_PKS3_S8_S4_PS3_21rocsparse_index_base_b,comdat
.Lfunc_end42:
	.size	_ZN9rocsparseL19gebsrmvn_4xn_kernelILj128ELj2ELj4EdEEvi20rocsparse_direction_NS_24const_host_device_scalarIT2_EEPKiS6_PKS3_S8_S4_PS3_21rocsparse_index_base_b, .Lfunc_end42-_ZN9rocsparseL19gebsrmvn_4xn_kernelILj128ELj2ELj4EdEEvi20rocsparse_direction_NS_24const_host_device_scalarIT2_EEPKiS6_PKS3_S8_S4_PS3_21rocsparse_index_base_b
                                        ; -- End function
	.section	.AMDGPU.csdata,"",@progbits
; Kernel info:
; codeLenInByte = 1584
; NumSgprs: 18
; NumVgprs: 40
; ScratchSize: 0
; MemoryBound: 0
; FloatMode: 240
; IeeeMode: 1
; LDSByteSize: 0 bytes/workgroup (compile time only)
; SGPRBlocks: 2
; VGPRBlocks: 4
; NumSGPRsForWavesPerEU: 18
; NumVGPRsForWavesPerEU: 40
; Occupancy: 16
; WaveLimiterHint : 1
; COMPUTE_PGM_RSRC2:SCRATCH_EN: 0
; COMPUTE_PGM_RSRC2:USER_SGPR: 15
; COMPUTE_PGM_RSRC2:TRAP_HANDLER: 0
; COMPUTE_PGM_RSRC2:TGID_X_EN: 1
; COMPUTE_PGM_RSRC2:TGID_Y_EN: 0
; COMPUTE_PGM_RSRC2:TGID_Z_EN: 0
; COMPUTE_PGM_RSRC2:TIDIG_COMP_CNT: 0
	.section	.text._ZN9rocsparseL19gebsrmvn_4xn_kernelILj128ELj2ELj8EdEEvi20rocsparse_direction_NS_24const_host_device_scalarIT2_EEPKiS6_PKS3_S8_S4_PS3_21rocsparse_index_base_b,"axG",@progbits,_ZN9rocsparseL19gebsrmvn_4xn_kernelILj128ELj2ELj8EdEEvi20rocsparse_direction_NS_24const_host_device_scalarIT2_EEPKiS6_PKS3_S8_S4_PS3_21rocsparse_index_base_b,comdat
	.globl	_ZN9rocsparseL19gebsrmvn_4xn_kernelILj128ELj2ELj8EdEEvi20rocsparse_direction_NS_24const_host_device_scalarIT2_EEPKiS6_PKS3_S8_S4_PS3_21rocsparse_index_base_b ; -- Begin function _ZN9rocsparseL19gebsrmvn_4xn_kernelILj128ELj2ELj8EdEEvi20rocsparse_direction_NS_24const_host_device_scalarIT2_EEPKiS6_PKS3_S8_S4_PS3_21rocsparse_index_base_b
	.p2align	8
	.type	_ZN9rocsparseL19gebsrmvn_4xn_kernelILj128ELj2ELj8EdEEvi20rocsparse_direction_NS_24const_host_device_scalarIT2_EEPKiS6_PKS3_S8_S4_PS3_21rocsparse_index_base_b,@function
_ZN9rocsparseL19gebsrmvn_4xn_kernelILj128ELj2ELj8EdEEvi20rocsparse_direction_NS_24const_host_device_scalarIT2_EEPKiS6_PKS3_S8_S4_PS3_21rocsparse_index_base_b: ; @_ZN9rocsparseL19gebsrmvn_4xn_kernelILj128ELj2ELj8EdEEvi20rocsparse_direction_NS_24const_host_device_scalarIT2_EEPKiS6_PKS3_S8_S4_PS3_21rocsparse_index_base_b
; %bb.0:
	s_clause 0x2
	s_load_b64 s[12:13], s[0:1], 0x40
	s_load_b64 s[4:5], s[0:1], 0x8
	s_load_b64 s[2:3], s[0:1], 0x30
	s_waitcnt lgkmcnt(0)
	s_bitcmp1_b32 s13, 0
	v_dual_mov_b32 v1, s4 :: v_dual_mov_b32 v2, s5
	s_cselect_b32 s6, -1, 0
	s_delay_alu instid0(SALU_CYCLE_1)
	s_and_b32 vcc_lo, exec_lo, s6
	s_xor_b32 s6, s6, -1
	s_cbranch_vccnz .LBB43_2
; %bb.1:
	v_dual_mov_b32 v1, s4 :: v_dual_mov_b32 v2, s5
	flat_load_b64 v[1:2], v[1:2]
.LBB43_2:
	v_dual_mov_b32 v4, s3 :: v_dual_mov_b32 v3, s2
	s_and_not1_b32 vcc_lo, exec_lo, s6
	s_cbranch_vccnz .LBB43_4
; %bb.3:
	v_dual_mov_b32 v4, s3 :: v_dual_mov_b32 v3, s2
	flat_load_b64 v[3:4], v[3:4]
.LBB43_4:
	s_waitcnt vmcnt(0) lgkmcnt(0)
	v_cmp_neq_f64_e32 vcc_lo, 0, v[1:2]
	v_cmp_neq_f64_e64 s2, 1.0, v[3:4]
	s_delay_alu instid0(VALU_DEP_1) | instskip(NEXT) | instid1(SALU_CYCLE_1)
	s_or_b32 s2, vcc_lo, s2
	s_and_saveexec_b32 s3, s2
	s_cbranch_execz .LBB43_23
; %bb.5:
	s_load_b64 s[2:3], s[0:1], 0x0
	v_lshrrev_b32_e32 v5, 3, v0
	s_delay_alu instid0(VALU_DEP_1) | instskip(SKIP_1) | instid1(VALU_DEP_1)
	v_lshl_or_b32 v5, s15, 4, v5
	s_waitcnt lgkmcnt(0)
	v_cmp_gt_i32_e32 vcc_lo, s2, v5
	s_and_b32 exec_lo, exec_lo, vcc_lo
	s_cbranch_execz .LBB43_23
; %bb.6:
	s_load_b256 s[4:11], s[0:1], 0x10
	v_ashrrev_i32_e32 v6, 31, v5
	v_and_b32_e32 v0, 7, v0
	s_cmp_lg_u32 s3, 0
	s_delay_alu instid0(VALU_DEP_2) | instskip(SKIP_1) | instid1(VALU_DEP_1)
	v_lshlrev_b64 v[6:7], 2, v[5:6]
	s_waitcnt lgkmcnt(0)
	v_add_co_u32 v6, vcc_lo, s4, v6
	s_delay_alu instid0(VALU_DEP_2) | instskip(SKIP_4) | instid1(VALU_DEP_2)
	v_add_co_ci_u32_e32 v7, vcc_lo, s5, v7, vcc_lo
	global_load_b64 v[6:7], v[6:7], off
	s_waitcnt vmcnt(0)
	v_subrev_nc_u32_e32 v6, s12, v6
	v_subrev_nc_u32_e32 v19, s12, v7
	v_add_nc_u32_e32 v14, v6, v0
	s_delay_alu instid0(VALU_DEP_1)
	v_cmp_lt_i32_e64 s2, v14, v19
	s_cbranch_scc0 .LBB43_12
; %bb.7:
	v_mov_b32_e32 v6, 0
	v_mov_b32_e32 v7, 0
	s_delay_alu instid0(VALU_DEP_1)
	v_dual_mov_b32 v9, v7 :: v_dual_mov_b32 v8, v6
	v_dual_mov_b32 v11, v7 :: v_dual_mov_b32 v10, v6
	;; [unrolled: 1-line block ×3, first 2 shown]
	s_and_saveexec_b32 s3, s2
	s_cbranch_execz .LBB43_11
; %bb.8:
	v_dual_mov_b32 v6, 0 :: v_dual_lshlrev_b32 v15, 3, v14
	v_dual_mov_b32 v7, 0 :: v_dual_mov_b32 v16, 0
	v_mov_b32_e32 v17, v14
	s_mov_b32 s4, 0
	s_delay_alu instid0(VALU_DEP_2)
	v_dual_mov_b32 v9, v7 :: v_dual_mov_b32 v8, v6
	v_dual_mov_b32 v11, v7 :: v_dual_mov_b32 v10, v6
	;; [unrolled: 1-line block ×3, first 2 shown]
.LBB43_9:                               ; =>This Inner Loop Header: Depth=1
	v_ashrrev_i32_e32 v18, 31, v17
	s_delay_alu instid0(VALU_DEP_1) | instskip(SKIP_1) | instid1(VALU_DEP_2)
	v_lshlrev_b64 v[20:21], 2, v[17:18]
	v_add_nc_u32_e32 v17, 8, v17
	v_add_co_u32 v20, vcc_lo, s6, v20
	s_delay_alu instid0(VALU_DEP_3) | instskip(SKIP_3) | instid1(VALU_DEP_2)
	v_add_co_ci_u32_e32 v21, vcc_lo, s7, v21, vcc_lo
	global_load_b32 v18, v[20:21], off
	v_lshlrev_b64 v[20:21], 3, v[15:16]
	v_add_nc_u32_e32 v15, 64, v15
	v_add_co_u32 v36, vcc_lo, s8, v20
	s_delay_alu instid0(VALU_DEP_3) | instskip(SKIP_3) | instid1(VALU_DEP_1)
	v_add_co_ci_u32_e32 v37, vcc_lo, s9, v21, vcc_lo
	global_load_b128 v[20:23], v[36:37], off offset:16
	s_waitcnt vmcnt(1)
	v_subrev_nc_u32_e32 v18, s12, v18
	v_dual_mov_b32 v25, v16 :: v_dual_lshlrev_b32 v24, 1, v18
	s_delay_alu instid0(VALU_DEP_1) | instskip(NEXT) | instid1(VALU_DEP_1)
	v_lshlrev_b64 v[24:25], 3, v[24:25]
	v_add_co_u32 v28, vcc_lo, s10, v24
	s_delay_alu instid0(VALU_DEP_2)
	v_add_co_ci_u32_e32 v29, vcc_lo, s11, v25, vcc_lo
	v_cmp_ge_i32_e32 vcc_lo, v17, v19
	global_load_b128 v[24:27], v[36:37], off
	global_load_b128 v[28:31], v[28:29], off
	s_clause 0x1
	global_load_b128 v[32:35], v[36:37], off offset:32
	global_load_b128 v[36:39], v[36:37], off offset:48
	s_or_b32 s4, vcc_lo, s4
	s_waitcnt vmcnt(2)
	v_fma_f64 v[6:7], v[24:25], v[28:29], v[6:7]
	v_fma_f64 v[12:13], v[26:27], v[28:29], v[12:13]
	v_fma_f64 v[10:11], v[20:21], v[28:29], v[10:11]
	v_fma_f64 v[8:9], v[22:23], v[28:29], v[8:9]
	s_waitcnt vmcnt(1)
	s_delay_alu instid0(VALU_DEP_4) | instskip(NEXT) | instid1(VALU_DEP_4)
	v_fma_f64 v[6:7], v[32:33], v[30:31], v[6:7]
	v_fma_f64 v[12:13], v[34:35], v[30:31], v[12:13]
	s_waitcnt vmcnt(0)
	s_delay_alu instid0(VALU_DEP_4) | instskip(NEXT) | instid1(VALU_DEP_4)
	v_fma_f64 v[10:11], v[36:37], v[30:31], v[10:11]
	v_fma_f64 v[8:9], v[38:39], v[30:31], v[8:9]
	s_and_not1_b32 exec_lo, exec_lo, s4
	s_cbranch_execnz .LBB43_9
; %bb.10:
	s_or_b32 exec_lo, exec_lo, s4
.LBB43_11:
	s_delay_alu instid0(SALU_CYCLE_1)
	s_or_b32 exec_lo, exec_lo, s3
	s_cbranch_execz .LBB43_13
	s_branch .LBB43_18
.LBB43_12:
                                        ; implicit-def: $vgpr6_vgpr7
                                        ; implicit-def: $vgpr8_vgpr9
                                        ; implicit-def: $vgpr10_vgpr11
                                        ; implicit-def: $vgpr12_vgpr13
.LBB43_13:
	v_mov_b32_e32 v6, 0
	v_mov_b32_e32 v7, 0
	s_delay_alu instid0(VALU_DEP_1)
	v_dual_mov_b32 v9, v7 :: v_dual_mov_b32 v8, v6
	v_dual_mov_b32 v11, v7 :: v_dual_mov_b32 v10, v6
	;; [unrolled: 1-line block ×3, first 2 shown]
	s_and_saveexec_b32 s3, s2
	s_cbranch_execz .LBB43_17
; %bb.14:
	v_dual_mov_b32 v6, 0 :: v_dual_mov_b32 v17, 0
	v_dual_mov_b32 v7, 0 :: v_dual_lshlrev_b32 v16, 3, v14
	s_mov_b32 s2, 0
	s_delay_alu instid0(VALU_DEP_1)
	v_dual_mov_b32 v9, v7 :: v_dual_mov_b32 v8, v6
	v_dual_mov_b32 v11, v7 :: v_dual_mov_b32 v10, v6
	;; [unrolled: 1-line block ×3, first 2 shown]
.LBB43_15:                              ; =>This Inner Loop Header: Depth=1
	v_ashrrev_i32_e32 v15, 31, v14
	s_delay_alu instid0(VALU_DEP_1) | instskip(SKIP_1) | instid1(VALU_DEP_2)
	v_lshlrev_b64 v[20:21], 2, v[14:15]
	v_add_nc_u32_e32 v14, 8, v14
	v_add_co_u32 v20, vcc_lo, s6, v20
	s_delay_alu instid0(VALU_DEP_3) | instskip(SKIP_3) | instid1(VALU_DEP_2)
	v_add_co_ci_u32_e32 v21, vcc_lo, s7, v21, vcc_lo
	global_load_b32 v15, v[20:21], off
	v_lshlrev_b64 v[20:21], 3, v[16:17]
	v_add_nc_u32_e32 v16, 64, v16
	v_add_co_u32 v34, vcc_lo, s8, v20
	s_delay_alu instid0(VALU_DEP_3)
	v_add_co_ci_u32_e32 v35, vcc_lo, s9, v21, vcc_lo
	s_clause 0x2
	global_load_b128 v[20:23], v[34:35], off offset:48
	global_load_b128 v[24:27], v[34:35], off offset:32
	;; [unrolled: 1-line block ×3, first 2 shown]
	s_waitcnt vmcnt(3)
	v_subrev_nc_u32_e32 v15, s12, v15
	s_delay_alu instid0(VALU_DEP_1) | instskip(NEXT) | instid1(VALU_DEP_1)
	v_dual_mov_b32 v33, v17 :: v_dual_lshlrev_b32 v32, 1, v15
	v_lshlrev_b64 v[32:33], 3, v[32:33]
	s_delay_alu instid0(VALU_DEP_1) | instskip(NEXT) | instid1(VALU_DEP_2)
	v_add_co_u32 v36, vcc_lo, s10, v32
	v_add_co_ci_u32_e32 v37, vcc_lo, s11, v33, vcc_lo
	v_cmp_ge_i32_e32 vcc_lo, v14, v19
	global_load_b128 v[32:35], v[34:35], off
	global_load_b128 v[36:39], v[36:37], off
	s_or_b32 s2, vcc_lo, s2
	s_waitcnt vmcnt(0)
	v_fma_f64 v[6:7], v[32:33], v[36:37], v[6:7]
	v_fma_f64 v[12:13], v[28:29], v[36:37], v[12:13]
	;; [unrolled: 1-line block ×4, first 2 shown]
	s_delay_alu instid0(VALU_DEP_4) | instskip(NEXT) | instid1(VALU_DEP_4)
	v_fma_f64 v[6:7], v[34:35], v[38:39], v[6:7]
	v_fma_f64 v[12:13], v[30:31], v[38:39], v[12:13]
	s_delay_alu instid0(VALU_DEP_4) | instskip(NEXT) | instid1(VALU_DEP_4)
	v_fma_f64 v[10:11], v[26:27], v[38:39], v[10:11]
	v_fma_f64 v[8:9], v[22:23], v[38:39], v[8:9]
	s_and_not1_b32 exec_lo, exec_lo, s2
	s_cbranch_execnz .LBB43_15
; %bb.16:
	s_or_b32 exec_lo, exec_lo, s2
.LBB43_17:
	s_delay_alu instid0(SALU_CYCLE_1)
	s_or_b32 exec_lo, exec_lo, s3
.LBB43_18:
	v_mbcnt_lo_u32_b32 v24, -1, 0
	s_delay_alu instid0(VALU_DEP_1) | instskip(NEXT) | instid1(VALU_DEP_1)
	v_xor_b32_e32 v14, 4, v24
	v_cmp_gt_i32_e32 vcc_lo, 32, v14
	v_cndmask_b32_e32 v14, v24, v14, vcc_lo
	s_delay_alu instid0(VALU_DEP_1)
	v_lshlrev_b32_e32 v21, 2, v14
	ds_bpermute_b32 v14, v21, v6
	ds_bpermute_b32 v15, v21, v7
	ds_bpermute_b32 v16, v21, v12
	ds_bpermute_b32 v17, v21, v13
	ds_bpermute_b32 v18, v21, v10
	ds_bpermute_b32 v19, v21, v11
	ds_bpermute_b32 v20, v21, v8
	ds_bpermute_b32 v21, v21, v9
	s_waitcnt lgkmcnt(6)
	v_add_f64 v[6:7], v[6:7], v[14:15]
	s_waitcnt lgkmcnt(4)
	v_add_f64 v[12:13], v[12:13], v[16:17]
	;; [unrolled: 2-line block ×4, first 2 shown]
	v_xor_b32_e32 v8, 2, v24
	s_delay_alu instid0(VALU_DEP_1) | instskip(SKIP_1) | instid1(VALU_DEP_1)
	v_cmp_gt_i32_e32 vcc_lo, 32, v8
	v_cndmask_b32_e32 v8, v24, v8, vcc_lo
	v_lshlrev_b32_e32 v10, 2, v8
	ds_bpermute_b32 v8, v10, v6
	ds_bpermute_b32 v9, v10, v7
	;; [unrolled: 1-line block ×8, first 2 shown]
	s_waitcnt lgkmcnt(6)
	v_add_f64 v[10:11], v[6:7], v[8:9]
	s_waitcnt lgkmcnt(4)
	v_add_f64 v[8:9], v[12:13], v[18:19]
	v_xor_b32_e32 v12, 1, v24
	s_waitcnt lgkmcnt(2)
	v_add_f64 v[6:7], v[14:15], v[20:21]
	s_waitcnt lgkmcnt(0)
	v_add_f64 v[14:15], v[16:17], v[22:23]
	v_cmp_gt_i32_e32 vcc_lo, 32, v12
	v_cndmask_b32_e32 v12, v24, v12, vcc_lo
	v_cmp_eq_u32_e32 vcc_lo, 7, v0
	s_delay_alu instid0(VALU_DEP_2)
	v_lshlrev_b32_e32 v17, 2, v12
	ds_bpermute_b32 v12, v17, v10
	ds_bpermute_b32 v13, v17, v11
	;; [unrolled: 1-line block ×8, first 2 shown]
	s_and_b32 exec_lo, exec_lo, vcc_lo
	s_cbranch_execz .LBB43_23
; %bb.19:
	s_waitcnt lgkmcnt(6)
	v_add_f64 v[12:13], v[10:11], v[12:13]
	s_waitcnt lgkmcnt(4)
	v_add_f64 v[10:11], v[8:9], v[20:21]
	;; [unrolled: 2-line block ×4, first 2 shown]
	s_load_b64 s[0:1], s[0:1], 0x38
	s_mov_b32 s2, exec_lo
	v_cmpx_eq_f64_e32 0, v[3:4]
	s_xor_b32 s2, exec_lo, s2
	s_cbranch_execz .LBB43_21
; %bb.20:
	v_mul_f64 v[12:13], v[1:2], v[12:13]
	v_mul_f64 v[14:15], v[1:2], v[10:11]
	;; [unrolled: 1-line block ×4, first 2 shown]
	v_lshlrev_b32_e32 v0, 2, v5
                                        ; implicit-def: $vgpr5
                                        ; implicit-def: $vgpr3_vgpr4
                                        ; implicit-def: $vgpr6_vgpr7
	s_delay_alu instid0(VALU_DEP_1) | instskip(NEXT) | instid1(VALU_DEP_1)
	v_ashrrev_i32_e32 v1, 31, v0
	v_lshlrev_b64 v[0:1], 3, v[0:1]
	s_waitcnt lgkmcnt(0)
	s_delay_alu instid0(VALU_DEP_1) | instskip(NEXT) | instid1(VALU_DEP_2)
	v_add_co_u32 v0, vcc_lo, s0, v0
	v_add_co_ci_u32_e32 v1, vcc_lo, s1, v1, vcc_lo
	s_clause 0x1
	global_store_b128 v[0:1], v[12:15], off
	global_store_b128 v[0:1], v[8:11], off offset:16
                                        ; implicit-def: $vgpr1_vgpr2
                                        ; implicit-def: $vgpr12_vgpr13
                                        ; implicit-def: $vgpr10_vgpr11
                                        ; implicit-def: $vgpr8_vgpr9
.LBB43_21:
	s_and_not1_saveexec_b32 s2, s2
	s_cbranch_execz .LBB43_23
; %bb.22:
	v_lshlrev_b32_e32 v14, 2, v5
	v_mul_f64 v[12:13], v[1:2], v[12:13]
	v_mul_f64 v[10:11], v[1:2], v[10:11]
	v_mul_f64 v[24:25], v[1:2], v[8:9]
	v_mul_f64 v[26:27], v[1:2], v[6:7]
	v_ashrrev_i32_e32 v15, 31, v14
	s_delay_alu instid0(VALU_DEP_1) | instskip(SKIP_1) | instid1(VALU_DEP_1)
	v_lshlrev_b64 v[14:15], 3, v[14:15]
	s_waitcnt lgkmcnt(0)
	v_add_co_u32 v22, vcc_lo, s0, v14
	s_delay_alu instid0(VALU_DEP_2)
	v_add_co_ci_u32_e32 v23, vcc_lo, s1, v15, vcc_lo
	s_clause 0x1
	global_load_b128 v[14:17], v[22:23], off
	global_load_b128 v[18:21], v[22:23], off offset:16
	s_waitcnt vmcnt(1)
	v_fma_f64 v[5:6], v[3:4], v[14:15], v[12:13]
	v_fma_f64 v[7:8], v[3:4], v[16:17], v[10:11]
	s_waitcnt vmcnt(0)
	v_fma_f64 v[0:1], v[3:4], v[18:19], v[24:25]
	v_fma_f64 v[2:3], v[3:4], v[20:21], v[26:27]
	s_clause 0x1
	global_store_b128 v[22:23], v[5:8], off
	global_store_b128 v[22:23], v[0:3], off offset:16
.LBB43_23:
	s_nop 0
	s_sendmsg sendmsg(MSG_DEALLOC_VGPRS)
	s_endpgm
	.section	.rodata,"a",@progbits
	.p2align	6, 0x0
	.amdhsa_kernel _ZN9rocsparseL19gebsrmvn_4xn_kernelILj128ELj2ELj8EdEEvi20rocsparse_direction_NS_24const_host_device_scalarIT2_EEPKiS6_PKS3_S8_S4_PS3_21rocsparse_index_base_b
		.amdhsa_group_segment_fixed_size 0
		.amdhsa_private_segment_fixed_size 0
		.amdhsa_kernarg_size 72
		.amdhsa_user_sgpr_count 15
		.amdhsa_user_sgpr_dispatch_ptr 0
		.amdhsa_user_sgpr_queue_ptr 0
		.amdhsa_user_sgpr_kernarg_segment_ptr 1
		.amdhsa_user_sgpr_dispatch_id 0
		.amdhsa_user_sgpr_private_segment_size 0
		.amdhsa_wavefront_size32 1
		.amdhsa_uses_dynamic_stack 0
		.amdhsa_enable_private_segment 0
		.amdhsa_system_sgpr_workgroup_id_x 1
		.amdhsa_system_sgpr_workgroup_id_y 0
		.amdhsa_system_sgpr_workgroup_id_z 0
		.amdhsa_system_sgpr_workgroup_info 0
		.amdhsa_system_vgpr_workitem_id 0
		.amdhsa_next_free_vgpr 40
		.amdhsa_next_free_sgpr 16
		.amdhsa_reserve_vcc 1
		.amdhsa_float_round_mode_32 0
		.amdhsa_float_round_mode_16_64 0
		.amdhsa_float_denorm_mode_32 3
		.amdhsa_float_denorm_mode_16_64 3
		.amdhsa_dx10_clamp 1
		.amdhsa_ieee_mode 1
		.amdhsa_fp16_overflow 0
		.amdhsa_workgroup_processor_mode 1
		.amdhsa_memory_ordered 1
		.amdhsa_forward_progress 0
		.amdhsa_shared_vgpr_count 0
		.amdhsa_exception_fp_ieee_invalid_op 0
		.amdhsa_exception_fp_denorm_src 0
		.amdhsa_exception_fp_ieee_div_zero 0
		.amdhsa_exception_fp_ieee_overflow 0
		.amdhsa_exception_fp_ieee_underflow 0
		.amdhsa_exception_fp_ieee_inexact 0
		.amdhsa_exception_int_div_zero 0
	.end_amdhsa_kernel
	.section	.text._ZN9rocsparseL19gebsrmvn_4xn_kernelILj128ELj2ELj8EdEEvi20rocsparse_direction_NS_24const_host_device_scalarIT2_EEPKiS6_PKS3_S8_S4_PS3_21rocsparse_index_base_b,"axG",@progbits,_ZN9rocsparseL19gebsrmvn_4xn_kernelILj128ELj2ELj8EdEEvi20rocsparse_direction_NS_24const_host_device_scalarIT2_EEPKiS6_PKS3_S8_S4_PS3_21rocsparse_index_base_b,comdat
.Lfunc_end43:
	.size	_ZN9rocsparseL19gebsrmvn_4xn_kernelILj128ELj2ELj8EdEEvi20rocsparse_direction_NS_24const_host_device_scalarIT2_EEPKiS6_PKS3_S8_S4_PS3_21rocsparse_index_base_b, .Lfunc_end43-_ZN9rocsparseL19gebsrmvn_4xn_kernelILj128ELj2ELj8EdEEvi20rocsparse_direction_NS_24const_host_device_scalarIT2_EEPKiS6_PKS3_S8_S4_PS3_21rocsparse_index_base_b
                                        ; -- End function
	.section	.AMDGPU.csdata,"",@progbits
; Kernel info:
; codeLenInByte = 1716
; NumSgprs: 18
; NumVgprs: 40
; ScratchSize: 0
; MemoryBound: 0
; FloatMode: 240
; IeeeMode: 1
; LDSByteSize: 0 bytes/workgroup (compile time only)
; SGPRBlocks: 2
; VGPRBlocks: 4
; NumSGPRsForWavesPerEU: 18
; NumVGPRsForWavesPerEU: 40
; Occupancy: 16
; WaveLimiterHint : 1
; COMPUTE_PGM_RSRC2:SCRATCH_EN: 0
; COMPUTE_PGM_RSRC2:USER_SGPR: 15
; COMPUTE_PGM_RSRC2:TRAP_HANDLER: 0
; COMPUTE_PGM_RSRC2:TGID_X_EN: 1
; COMPUTE_PGM_RSRC2:TGID_Y_EN: 0
; COMPUTE_PGM_RSRC2:TGID_Z_EN: 0
; COMPUTE_PGM_RSRC2:TIDIG_COMP_CNT: 0
	.section	.text._ZN9rocsparseL19gebsrmvn_4xn_kernelILj128ELj2ELj16EdEEvi20rocsparse_direction_NS_24const_host_device_scalarIT2_EEPKiS6_PKS3_S8_S4_PS3_21rocsparse_index_base_b,"axG",@progbits,_ZN9rocsparseL19gebsrmvn_4xn_kernelILj128ELj2ELj16EdEEvi20rocsparse_direction_NS_24const_host_device_scalarIT2_EEPKiS6_PKS3_S8_S4_PS3_21rocsparse_index_base_b,comdat
	.globl	_ZN9rocsparseL19gebsrmvn_4xn_kernelILj128ELj2ELj16EdEEvi20rocsparse_direction_NS_24const_host_device_scalarIT2_EEPKiS6_PKS3_S8_S4_PS3_21rocsparse_index_base_b ; -- Begin function _ZN9rocsparseL19gebsrmvn_4xn_kernelILj128ELj2ELj16EdEEvi20rocsparse_direction_NS_24const_host_device_scalarIT2_EEPKiS6_PKS3_S8_S4_PS3_21rocsparse_index_base_b
	.p2align	8
	.type	_ZN9rocsparseL19gebsrmvn_4xn_kernelILj128ELj2ELj16EdEEvi20rocsparse_direction_NS_24const_host_device_scalarIT2_EEPKiS6_PKS3_S8_S4_PS3_21rocsparse_index_base_b,@function
_ZN9rocsparseL19gebsrmvn_4xn_kernelILj128ELj2ELj16EdEEvi20rocsparse_direction_NS_24const_host_device_scalarIT2_EEPKiS6_PKS3_S8_S4_PS3_21rocsparse_index_base_b: ; @_ZN9rocsparseL19gebsrmvn_4xn_kernelILj128ELj2ELj16EdEEvi20rocsparse_direction_NS_24const_host_device_scalarIT2_EEPKiS6_PKS3_S8_S4_PS3_21rocsparse_index_base_b
; %bb.0:
	s_clause 0x2
	s_load_b64 s[12:13], s[0:1], 0x40
	s_load_b64 s[4:5], s[0:1], 0x8
	;; [unrolled: 1-line block ×3, first 2 shown]
	s_waitcnt lgkmcnt(0)
	s_bitcmp1_b32 s13, 0
	v_dual_mov_b32 v1, s4 :: v_dual_mov_b32 v2, s5
	s_cselect_b32 s6, -1, 0
	s_delay_alu instid0(SALU_CYCLE_1)
	s_and_b32 vcc_lo, exec_lo, s6
	s_xor_b32 s6, s6, -1
	s_cbranch_vccnz .LBB44_2
; %bb.1:
	v_dual_mov_b32 v1, s4 :: v_dual_mov_b32 v2, s5
	flat_load_b64 v[1:2], v[1:2]
.LBB44_2:
	v_dual_mov_b32 v4, s3 :: v_dual_mov_b32 v3, s2
	s_and_not1_b32 vcc_lo, exec_lo, s6
	s_cbranch_vccnz .LBB44_4
; %bb.3:
	v_dual_mov_b32 v4, s3 :: v_dual_mov_b32 v3, s2
	flat_load_b64 v[3:4], v[3:4]
.LBB44_4:
	s_waitcnt vmcnt(0) lgkmcnt(0)
	v_cmp_neq_f64_e32 vcc_lo, 0, v[1:2]
	v_cmp_neq_f64_e64 s2, 1.0, v[3:4]
	s_delay_alu instid0(VALU_DEP_1) | instskip(NEXT) | instid1(SALU_CYCLE_1)
	s_or_b32 s2, vcc_lo, s2
	s_and_saveexec_b32 s3, s2
	s_cbranch_execz .LBB44_23
; %bb.5:
	s_load_b64 s[2:3], s[0:1], 0x0
	v_lshrrev_b32_e32 v5, 4, v0
	s_delay_alu instid0(VALU_DEP_1) | instskip(SKIP_1) | instid1(VALU_DEP_1)
	v_lshl_or_b32 v5, s15, 3, v5
	s_waitcnt lgkmcnt(0)
	v_cmp_gt_i32_e32 vcc_lo, s2, v5
	s_and_b32 exec_lo, exec_lo, vcc_lo
	s_cbranch_execz .LBB44_23
; %bb.6:
	s_load_b256 s[4:11], s[0:1], 0x10
	v_ashrrev_i32_e32 v6, 31, v5
	v_and_b32_e32 v0, 15, v0
	s_cmp_lg_u32 s3, 0
	s_delay_alu instid0(VALU_DEP_2) | instskip(SKIP_1) | instid1(VALU_DEP_1)
	v_lshlrev_b64 v[6:7], 2, v[5:6]
	s_waitcnt lgkmcnt(0)
	v_add_co_u32 v6, vcc_lo, s4, v6
	s_delay_alu instid0(VALU_DEP_2) | instskip(SKIP_4) | instid1(VALU_DEP_2)
	v_add_co_ci_u32_e32 v7, vcc_lo, s5, v7, vcc_lo
	global_load_b64 v[6:7], v[6:7], off
	s_waitcnt vmcnt(0)
	v_subrev_nc_u32_e32 v6, s12, v6
	v_subrev_nc_u32_e32 v19, s12, v7
	v_add_nc_u32_e32 v14, v6, v0
	s_delay_alu instid0(VALU_DEP_1)
	v_cmp_lt_i32_e64 s2, v14, v19
	s_cbranch_scc0 .LBB44_12
; %bb.7:
	v_mov_b32_e32 v6, 0
	v_mov_b32_e32 v7, 0
	s_delay_alu instid0(VALU_DEP_1)
	v_dual_mov_b32 v9, v7 :: v_dual_mov_b32 v8, v6
	v_dual_mov_b32 v11, v7 :: v_dual_mov_b32 v10, v6
	;; [unrolled: 1-line block ×3, first 2 shown]
	s_and_saveexec_b32 s3, s2
	s_cbranch_execz .LBB44_11
; %bb.8:
	v_dual_mov_b32 v6, 0 :: v_dual_lshlrev_b32 v15, 3, v14
	v_dual_mov_b32 v7, 0 :: v_dual_mov_b32 v16, 0
	v_mov_b32_e32 v17, v14
	s_mov_b32 s4, 0
	s_delay_alu instid0(VALU_DEP_2)
	v_dual_mov_b32 v9, v7 :: v_dual_mov_b32 v8, v6
	v_dual_mov_b32 v11, v7 :: v_dual_mov_b32 v10, v6
	;; [unrolled: 1-line block ×3, first 2 shown]
.LBB44_9:                               ; =>This Inner Loop Header: Depth=1
	v_ashrrev_i32_e32 v18, 31, v17
	s_delay_alu instid0(VALU_DEP_1) | instskip(SKIP_1) | instid1(VALU_DEP_2)
	v_lshlrev_b64 v[20:21], 2, v[17:18]
	v_add_nc_u32_e32 v17, 16, v17
	v_add_co_u32 v20, vcc_lo, s6, v20
	s_delay_alu instid0(VALU_DEP_3) | instskip(SKIP_3) | instid1(VALU_DEP_2)
	v_add_co_ci_u32_e32 v21, vcc_lo, s7, v21, vcc_lo
	global_load_b32 v18, v[20:21], off
	v_lshlrev_b64 v[20:21], 3, v[15:16]
	v_add_nc_u32_e32 v15, 0x80, v15
	v_add_co_u32 v36, vcc_lo, s8, v20
	s_delay_alu instid0(VALU_DEP_3) | instskip(SKIP_3) | instid1(VALU_DEP_1)
	v_add_co_ci_u32_e32 v37, vcc_lo, s9, v21, vcc_lo
	global_load_b128 v[20:23], v[36:37], off offset:16
	s_waitcnt vmcnt(1)
	v_subrev_nc_u32_e32 v18, s12, v18
	v_dual_mov_b32 v25, v16 :: v_dual_lshlrev_b32 v24, 1, v18
	s_delay_alu instid0(VALU_DEP_1) | instskip(NEXT) | instid1(VALU_DEP_1)
	v_lshlrev_b64 v[24:25], 3, v[24:25]
	v_add_co_u32 v28, vcc_lo, s10, v24
	s_delay_alu instid0(VALU_DEP_2)
	v_add_co_ci_u32_e32 v29, vcc_lo, s11, v25, vcc_lo
	v_cmp_ge_i32_e32 vcc_lo, v17, v19
	global_load_b128 v[24:27], v[36:37], off
	global_load_b128 v[28:31], v[28:29], off
	s_clause 0x1
	global_load_b128 v[32:35], v[36:37], off offset:32
	global_load_b128 v[36:39], v[36:37], off offset:48
	s_or_b32 s4, vcc_lo, s4
	s_waitcnt vmcnt(2)
	v_fma_f64 v[6:7], v[24:25], v[28:29], v[6:7]
	v_fma_f64 v[12:13], v[26:27], v[28:29], v[12:13]
	;; [unrolled: 1-line block ×4, first 2 shown]
	s_waitcnt vmcnt(1)
	s_delay_alu instid0(VALU_DEP_4) | instskip(NEXT) | instid1(VALU_DEP_4)
	v_fma_f64 v[6:7], v[32:33], v[30:31], v[6:7]
	v_fma_f64 v[12:13], v[34:35], v[30:31], v[12:13]
	s_waitcnt vmcnt(0)
	s_delay_alu instid0(VALU_DEP_4) | instskip(NEXT) | instid1(VALU_DEP_4)
	v_fma_f64 v[10:11], v[36:37], v[30:31], v[10:11]
	v_fma_f64 v[8:9], v[38:39], v[30:31], v[8:9]
	s_and_not1_b32 exec_lo, exec_lo, s4
	s_cbranch_execnz .LBB44_9
; %bb.10:
	s_or_b32 exec_lo, exec_lo, s4
.LBB44_11:
	s_delay_alu instid0(SALU_CYCLE_1)
	s_or_b32 exec_lo, exec_lo, s3
	s_cbranch_execz .LBB44_13
	s_branch .LBB44_18
.LBB44_12:
                                        ; implicit-def: $vgpr6_vgpr7
                                        ; implicit-def: $vgpr8_vgpr9
                                        ; implicit-def: $vgpr10_vgpr11
                                        ; implicit-def: $vgpr12_vgpr13
.LBB44_13:
	v_mov_b32_e32 v6, 0
	v_mov_b32_e32 v7, 0
	s_delay_alu instid0(VALU_DEP_1)
	v_dual_mov_b32 v9, v7 :: v_dual_mov_b32 v8, v6
	v_dual_mov_b32 v11, v7 :: v_dual_mov_b32 v10, v6
	;; [unrolled: 1-line block ×3, first 2 shown]
	s_and_saveexec_b32 s3, s2
	s_cbranch_execz .LBB44_17
; %bb.14:
	v_dual_mov_b32 v6, 0 :: v_dual_mov_b32 v17, 0
	v_dual_mov_b32 v7, 0 :: v_dual_lshlrev_b32 v16, 3, v14
	s_mov_b32 s2, 0
	s_delay_alu instid0(VALU_DEP_1)
	v_dual_mov_b32 v9, v7 :: v_dual_mov_b32 v8, v6
	v_dual_mov_b32 v11, v7 :: v_dual_mov_b32 v10, v6
	;; [unrolled: 1-line block ×3, first 2 shown]
.LBB44_15:                              ; =>This Inner Loop Header: Depth=1
	v_ashrrev_i32_e32 v15, 31, v14
	s_delay_alu instid0(VALU_DEP_1) | instskip(SKIP_1) | instid1(VALU_DEP_2)
	v_lshlrev_b64 v[20:21], 2, v[14:15]
	v_add_nc_u32_e32 v14, 16, v14
	v_add_co_u32 v20, vcc_lo, s6, v20
	s_delay_alu instid0(VALU_DEP_3) | instskip(SKIP_3) | instid1(VALU_DEP_2)
	v_add_co_ci_u32_e32 v21, vcc_lo, s7, v21, vcc_lo
	global_load_b32 v15, v[20:21], off
	v_lshlrev_b64 v[20:21], 3, v[16:17]
	v_add_nc_u32_e32 v16, 0x80, v16
	v_add_co_u32 v34, vcc_lo, s8, v20
	s_delay_alu instid0(VALU_DEP_3)
	v_add_co_ci_u32_e32 v35, vcc_lo, s9, v21, vcc_lo
	s_clause 0x2
	global_load_b128 v[20:23], v[34:35], off offset:48
	global_load_b128 v[24:27], v[34:35], off offset:32
	;; [unrolled: 1-line block ×3, first 2 shown]
	s_waitcnt vmcnt(3)
	v_subrev_nc_u32_e32 v15, s12, v15
	s_delay_alu instid0(VALU_DEP_1) | instskip(NEXT) | instid1(VALU_DEP_1)
	v_dual_mov_b32 v33, v17 :: v_dual_lshlrev_b32 v32, 1, v15
	v_lshlrev_b64 v[32:33], 3, v[32:33]
	s_delay_alu instid0(VALU_DEP_1) | instskip(NEXT) | instid1(VALU_DEP_2)
	v_add_co_u32 v36, vcc_lo, s10, v32
	v_add_co_ci_u32_e32 v37, vcc_lo, s11, v33, vcc_lo
	v_cmp_ge_i32_e32 vcc_lo, v14, v19
	global_load_b128 v[32:35], v[34:35], off
	global_load_b128 v[36:39], v[36:37], off
	s_or_b32 s2, vcc_lo, s2
	s_waitcnt vmcnt(0)
	v_fma_f64 v[6:7], v[32:33], v[36:37], v[6:7]
	v_fma_f64 v[12:13], v[28:29], v[36:37], v[12:13]
	;; [unrolled: 1-line block ×4, first 2 shown]
	s_delay_alu instid0(VALU_DEP_4) | instskip(NEXT) | instid1(VALU_DEP_4)
	v_fma_f64 v[6:7], v[34:35], v[38:39], v[6:7]
	v_fma_f64 v[12:13], v[30:31], v[38:39], v[12:13]
	s_delay_alu instid0(VALU_DEP_4) | instskip(NEXT) | instid1(VALU_DEP_4)
	v_fma_f64 v[10:11], v[26:27], v[38:39], v[10:11]
	v_fma_f64 v[8:9], v[22:23], v[38:39], v[8:9]
	s_and_not1_b32 exec_lo, exec_lo, s2
	s_cbranch_execnz .LBB44_15
; %bb.16:
	s_or_b32 exec_lo, exec_lo, s2
.LBB44_17:
	s_delay_alu instid0(SALU_CYCLE_1)
	s_or_b32 exec_lo, exec_lo, s3
.LBB44_18:
	v_mbcnt_lo_u32_b32 v24, -1, 0
	s_delay_alu instid0(VALU_DEP_1) | instskip(NEXT) | instid1(VALU_DEP_1)
	v_xor_b32_e32 v14, 8, v24
	v_cmp_gt_i32_e32 vcc_lo, 32, v14
	v_cndmask_b32_e32 v14, v24, v14, vcc_lo
	s_delay_alu instid0(VALU_DEP_1)
	v_lshlrev_b32_e32 v21, 2, v14
	ds_bpermute_b32 v14, v21, v6
	ds_bpermute_b32 v15, v21, v7
	;; [unrolled: 1-line block ×8, first 2 shown]
	s_waitcnt lgkmcnt(6)
	v_add_f64 v[6:7], v[6:7], v[14:15]
	v_xor_b32_e32 v14, 4, v24
	s_waitcnt lgkmcnt(4)
	v_add_f64 v[12:13], v[12:13], v[16:17]
	s_waitcnt lgkmcnt(2)
	v_add_f64 v[10:11], v[10:11], v[18:19]
	s_waitcnt lgkmcnt(0)
	v_add_f64 v[8:9], v[8:9], v[20:21]
	v_cmp_gt_i32_e32 vcc_lo, 32, v14
	v_cndmask_b32_e32 v14, v24, v14, vcc_lo
	s_delay_alu instid0(VALU_DEP_1)
	v_lshlrev_b32_e32 v21, 2, v14
	ds_bpermute_b32 v14, v21, v6
	ds_bpermute_b32 v15, v21, v7
	;; [unrolled: 1-line block ×8, first 2 shown]
	s_waitcnt lgkmcnt(6)
	v_add_f64 v[6:7], v[6:7], v[14:15]
	s_waitcnt lgkmcnt(4)
	v_add_f64 v[12:13], v[12:13], v[16:17]
	;; [unrolled: 2-line block ×4, first 2 shown]
	v_xor_b32_e32 v8, 2, v24
	s_delay_alu instid0(VALU_DEP_1) | instskip(SKIP_1) | instid1(VALU_DEP_1)
	v_cmp_gt_i32_e32 vcc_lo, 32, v8
	v_cndmask_b32_e32 v8, v24, v8, vcc_lo
	v_lshlrev_b32_e32 v10, 2, v8
	ds_bpermute_b32 v8, v10, v6
	ds_bpermute_b32 v9, v10, v7
	;; [unrolled: 1-line block ×8, first 2 shown]
	s_waitcnt lgkmcnt(6)
	v_add_f64 v[10:11], v[6:7], v[8:9]
	s_waitcnt lgkmcnt(4)
	v_add_f64 v[8:9], v[12:13], v[18:19]
	v_xor_b32_e32 v12, 1, v24
	s_waitcnt lgkmcnt(2)
	v_add_f64 v[6:7], v[14:15], v[20:21]
	s_waitcnt lgkmcnt(0)
	v_add_f64 v[14:15], v[16:17], v[22:23]
	v_cmp_gt_i32_e32 vcc_lo, 32, v12
	v_cndmask_b32_e32 v12, v24, v12, vcc_lo
	v_cmp_eq_u32_e32 vcc_lo, 15, v0
	s_delay_alu instid0(VALU_DEP_2)
	v_lshlrev_b32_e32 v17, 2, v12
	ds_bpermute_b32 v12, v17, v10
	ds_bpermute_b32 v13, v17, v11
	;; [unrolled: 1-line block ×8, first 2 shown]
	s_and_b32 exec_lo, exec_lo, vcc_lo
	s_cbranch_execz .LBB44_23
; %bb.19:
	s_waitcnt lgkmcnt(6)
	v_add_f64 v[12:13], v[10:11], v[12:13]
	s_waitcnt lgkmcnt(4)
	v_add_f64 v[10:11], v[8:9], v[20:21]
	;; [unrolled: 2-line block ×4, first 2 shown]
	s_load_b64 s[0:1], s[0:1], 0x38
	s_mov_b32 s2, exec_lo
	v_cmpx_eq_f64_e32 0, v[3:4]
	s_xor_b32 s2, exec_lo, s2
	s_cbranch_execz .LBB44_21
; %bb.20:
	v_mul_f64 v[12:13], v[1:2], v[12:13]
	v_mul_f64 v[14:15], v[1:2], v[10:11]
	;; [unrolled: 1-line block ×4, first 2 shown]
	v_lshlrev_b32_e32 v0, 2, v5
                                        ; implicit-def: $vgpr5
                                        ; implicit-def: $vgpr3_vgpr4
                                        ; implicit-def: $vgpr6_vgpr7
	s_delay_alu instid0(VALU_DEP_1) | instskip(NEXT) | instid1(VALU_DEP_1)
	v_ashrrev_i32_e32 v1, 31, v0
	v_lshlrev_b64 v[0:1], 3, v[0:1]
	s_waitcnt lgkmcnt(0)
	s_delay_alu instid0(VALU_DEP_1) | instskip(NEXT) | instid1(VALU_DEP_2)
	v_add_co_u32 v0, vcc_lo, s0, v0
	v_add_co_ci_u32_e32 v1, vcc_lo, s1, v1, vcc_lo
	s_clause 0x1
	global_store_b128 v[0:1], v[12:15], off
	global_store_b128 v[0:1], v[8:11], off offset:16
                                        ; implicit-def: $vgpr1_vgpr2
                                        ; implicit-def: $vgpr12_vgpr13
                                        ; implicit-def: $vgpr10_vgpr11
                                        ; implicit-def: $vgpr8_vgpr9
.LBB44_21:
	s_and_not1_saveexec_b32 s2, s2
	s_cbranch_execz .LBB44_23
; %bb.22:
	v_lshlrev_b32_e32 v14, 2, v5
	v_mul_f64 v[12:13], v[1:2], v[12:13]
	v_mul_f64 v[10:11], v[1:2], v[10:11]
	;; [unrolled: 1-line block ×4, first 2 shown]
	v_ashrrev_i32_e32 v15, 31, v14
	s_delay_alu instid0(VALU_DEP_1) | instskip(SKIP_1) | instid1(VALU_DEP_1)
	v_lshlrev_b64 v[14:15], 3, v[14:15]
	s_waitcnt lgkmcnt(0)
	v_add_co_u32 v22, vcc_lo, s0, v14
	s_delay_alu instid0(VALU_DEP_2)
	v_add_co_ci_u32_e32 v23, vcc_lo, s1, v15, vcc_lo
	s_clause 0x1
	global_load_b128 v[14:17], v[22:23], off
	global_load_b128 v[18:21], v[22:23], off offset:16
	s_waitcnt vmcnt(1)
	v_fma_f64 v[5:6], v[3:4], v[14:15], v[12:13]
	v_fma_f64 v[7:8], v[3:4], v[16:17], v[10:11]
	s_waitcnt vmcnt(0)
	v_fma_f64 v[0:1], v[3:4], v[18:19], v[24:25]
	v_fma_f64 v[2:3], v[3:4], v[20:21], v[26:27]
	s_clause 0x1
	global_store_b128 v[22:23], v[5:8], off
	global_store_b128 v[22:23], v[0:3], off offset:16
.LBB44_23:
	s_nop 0
	s_sendmsg sendmsg(MSG_DEALLOC_VGPRS)
	s_endpgm
	.section	.rodata,"a",@progbits
	.p2align	6, 0x0
	.amdhsa_kernel _ZN9rocsparseL19gebsrmvn_4xn_kernelILj128ELj2ELj16EdEEvi20rocsparse_direction_NS_24const_host_device_scalarIT2_EEPKiS6_PKS3_S8_S4_PS3_21rocsparse_index_base_b
		.amdhsa_group_segment_fixed_size 0
		.amdhsa_private_segment_fixed_size 0
		.amdhsa_kernarg_size 72
		.amdhsa_user_sgpr_count 15
		.amdhsa_user_sgpr_dispatch_ptr 0
		.amdhsa_user_sgpr_queue_ptr 0
		.amdhsa_user_sgpr_kernarg_segment_ptr 1
		.amdhsa_user_sgpr_dispatch_id 0
		.amdhsa_user_sgpr_private_segment_size 0
		.amdhsa_wavefront_size32 1
		.amdhsa_uses_dynamic_stack 0
		.amdhsa_enable_private_segment 0
		.amdhsa_system_sgpr_workgroup_id_x 1
		.amdhsa_system_sgpr_workgroup_id_y 0
		.amdhsa_system_sgpr_workgroup_id_z 0
		.amdhsa_system_sgpr_workgroup_info 0
		.amdhsa_system_vgpr_workitem_id 0
		.amdhsa_next_free_vgpr 40
		.amdhsa_next_free_sgpr 16
		.amdhsa_reserve_vcc 1
		.amdhsa_float_round_mode_32 0
		.amdhsa_float_round_mode_16_64 0
		.amdhsa_float_denorm_mode_32 3
		.amdhsa_float_denorm_mode_16_64 3
		.amdhsa_dx10_clamp 1
		.amdhsa_ieee_mode 1
		.amdhsa_fp16_overflow 0
		.amdhsa_workgroup_processor_mode 1
		.amdhsa_memory_ordered 1
		.amdhsa_forward_progress 0
		.amdhsa_shared_vgpr_count 0
		.amdhsa_exception_fp_ieee_invalid_op 0
		.amdhsa_exception_fp_denorm_src 0
		.amdhsa_exception_fp_ieee_div_zero 0
		.amdhsa_exception_fp_ieee_overflow 0
		.amdhsa_exception_fp_ieee_underflow 0
		.amdhsa_exception_fp_ieee_inexact 0
		.amdhsa_exception_int_div_zero 0
	.end_amdhsa_kernel
	.section	.text._ZN9rocsparseL19gebsrmvn_4xn_kernelILj128ELj2ELj16EdEEvi20rocsparse_direction_NS_24const_host_device_scalarIT2_EEPKiS6_PKS3_S8_S4_PS3_21rocsparse_index_base_b,"axG",@progbits,_ZN9rocsparseL19gebsrmvn_4xn_kernelILj128ELj2ELj16EdEEvi20rocsparse_direction_NS_24const_host_device_scalarIT2_EEPKiS6_PKS3_S8_S4_PS3_21rocsparse_index_base_b,comdat
.Lfunc_end44:
	.size	_ZN9rocsparseL19gebsrmvn_4xn_kernelILj128ELj2ELj16EdEEvi20rocsparse_direction_NS_24const_host_device_scalarIT2_EEPKiS6_PKS3_S8_S4_PS3_21rocsparse_index_base_b, .Lfunc_end44-_ZN9rocsparseL19gebsrmvn_4xn_kernelILj128ELj2ELj16EdEEvi20rocsparse_direction_NS_24const_host_device_scalarIT2_EEPKiS6_PKS3_S8_S4_PS3_21rocsparse_index_base_b
                                        ; -- End function
	.section	.AMDGPU.csdata,"",@progbits
; Kernel info:
; codeLenInByte = 1856
; NumSgprs: 18
; NumVgprs: 40
; ScratchSize: 0
; MemoryBound: 0
; FloatMode: 240
; IeeeMode: 1
; LDSByteSize: 0 bytes/workgroup (compile time only)
; SGPRBlocks: 2
; VGPRBlocks: 4
; NumSGPRsForWavesPerEU: 18
; NumVGPRsForWavesPerEU: 40
; Occupancy: 16
; WaveLimiterHint : 1
; COMPUTE_PGM_RSRC2:SCRATCH_EN: 0
; COMPUTE_PGM_RSRC2:USER_SGPR: 15
; COMPUTE_PGM_RSRC2:TRAP_HANDLER: 0
; COMPUTE_PGM_RSRC2:TGID_X_EN: 1
; COMPUTE_PGM_RSRC2:TGID_Y_EN: 0
; COMPUTE_PGM_RSRC2:TGID_Z_EN: 0
; COMPUTE_PGM_RSRC2:TIDIG_COMP_CNT: 0
	.section	.text._ZN9rocsparseL19gebsrmvn_4xn_kernelILj128ELj2ELj32EdEEvi20rocsparse_direction_NS_24const_host_device_scalarIT2_EEPKiS6_PKS3_S8_S4_PS3_21rocsparse_index_base_b,"axG",@progbits,_ZN9rocsparseL19gebsrmvn_4xn_kernelILj128ELj2ELj32EdEEvi20rocsparse_direction_NS_24const_host_device_scalarIT2_EEPKiS6_PKS3_S8_S4_PS3_21rocsparse_index_base_b,comdat
	.globl	_ZN9rocsparseL19gebsrmvn_4xn_kernelILj128ELj2ELj32EdEEvi20rocsparse_direction_NS_24const_host_device_scalarIT2_EEPKiS6_PKS3_S8_S4_PS3_21rocsparse_index_base_b ; -- Begin function _ZN9rocsparseL19gebsrmvn_4xn_kernelILj128ELj2ELj32EdEEvi20rocsparse_direction_NS_24const_host_device_scalarIT2_EEPKiS6_PKS3_S8_S4_PS3_21rocsparse_index_base_b
	.p2align	8
	.type	_ZN9rocsparseL19gebsrmvn_4xn_kernelILj128ELj2ELj32EdEEvi20rocsparse_direction_NS_24const_host_device_scalarIT2_EEPKiS6_PKS3_S8_S4_PS3_21rocsparse_index_base_b,@function
_ZN9rocsparseL19gebsrmvn_4xn_kernelILj128ELj2ELj32EdEEvi20rocsparse_direction_NS_24const_host_device_scalarIT2_EEPKiS6_PKS3_S8_S4_PS3_21rocsparse_index_base_b: ; @_ZN9rocsparseL19gebsrmvn_4xn_kernelILj128ELj2ELj32EdEEvi20rocsparse_direction_NS_24const_host_device_scalarIT2_EEPKiS6_PKS3_S8_S4_PS3_21rocsparse_index_base_b
; %bb.0:
	s_clause 0x2
	s_load_b64 s[12:13], s[0:1], 0x40
	s_load_b64 s[4:5], s[0:1], 0x8
	;; [unrolled: 1-line block ×3, first 2 shown]
	s_waitcnt lgkmcnt(0)
	s_bitcmp1_b32 s13, 0
	v_dual_mov_b32 v1, s4 :: v_dual_mov_b32 v2, s5
	s_cselect_b32 s6, -1, 0
	s_delay_alu instid0(SALU_CYCLE_1)
	s_and_b32 vcc_lo, exec_lo, s6
	s_xor_b32 s6, s6, -1
	s_cbranch_vccnz .LBB45_2
; %bb.1:
	v_dual_mov_b32 v1, s4 :: v_dual_mov_b32 v2, s5
	flat_load_b64 v[1:2], v[1:2]
.LBB45_2:
	v_dual_mov_b32 v4, s3 :: v_dual_mov_b32 v3, s2
	s_and_not1_b32 vcc_lo, exec_lo, s6
	s_cbranch_vccnz .LBB45_4
; %bb.3:
	v_dual_mov_b32 v4, s3 :: v_dual_mov_b32 v3, s2
	flat_load_b64 v[3:4], v[3:4]
.LBB45_4:
	s_waitcnt vmcnt(0) lgkmcnt(0)
	v_cmp_neq_f64_e32 vcc_lo, 0, v[1:2]
	v_cmp_neq_f64_e64 s2, 1.0, v[3:4]
	s_delay_alu instid0(VALU_DEP_1) | instskip(NEXT) | instid1(SALU_CYCLE_1)
	s_or_b32 s2, vcc_lo, s2
	s_and_saveexec_b32 s3, s2
	s_cbranch_execz .LBB45_23
; %bb.5:
	s_load_b64 s[2:3], s[0:1], 0x0
	v_lshrrev_b32_e32 v5, 5, v0
	s_delay_alu instid0(VALU_DEP_1) | instskip(SKIP_1) | instid1(VALU_DEP_1)
	v_lshl_or_b32 v5, s15, 2, v5
	s_waitcnt lgkmcnt(0)
	v_cmp_gt_i32_e32 vcc_lo, s2, v5
	s_and_b32 exec_lo, exec_lo, vcc_lo
	s_cbranch_execz .LBB45_23
; %bb.6:
	s_load_b256 s[4:11], s[0:1], 0x10
	v_ashrrev_i32_e32 v6, 31, v5
	v_and_b32_e32 v0, 31, v0
	s_cmp_lg_u32 s3, 0
	s_delay_alu instid0(VALU_DEP_2) | instskip(SKIP_1) | instid1(VALU_DEP_1)
	v_lshlrev_b64 v[6:7], 2, v[5:6]
	s_waitcnt lgkmcnt(0)
	v_add_co_u32 v6, vcc_lo, s4, v6
	s_delay_alu instid0(VALU_DEP_2) | instskip(SKIP_4) | instid1(VALU_DEP_2)
	v_add_co_ci_u32_e32 v7, vcc_lo, s5, v7, vcc_lo
	global_load_b64 v[6:7], v[6:7], off
	s_waitcnt vmcnt(0)
	v_subrev_nc_u32_e32 v6, s12, v6
	v_subrev_nc_u32_e32 v19, s12, v7
	v_add_nc_u32_e32 v14, v6, v0
	s_delay_alu instid0(VALU_DEP_1)
	v_cmp_lt_i32_e64 s2, v14, v19
	s_cbranch_scc0 .LBB45_12
; %bb.7:
	v_mov_b32_e32 v6, 0
	v_mov_b32_e32 v7, 0
	s_delay_alu instid0(VALU_DEP_1)
	v_dual_mov_b32 v9, v7 :: v_dual_mov_b32 v8, v6
	v_dual_mov_b32 v11, v7 :: v_dual_mov_b32 v10, v6
	;; [unrolled: 1-line block ×3, first 2 shown]
	s_and_saveexec_b32 s3, s2
	s_cbranch_execz .LBB45_11
; %bb.8:
	v_dual_mov_b32 v6, 0 :: v_dual_lshlrev_b32 v15, 3, v14
	v_dual_mov_b32 v7, 0 :: v_dual_mov_b32 v16, 0
	v_mov_b32_e32 v17, v14
	s_mov_b32 s4, 0
	s_delay_alu instid0(VALU_DEP_2)
	v_dual_mov_b32 v9, v7 :: v_dual_mov_b32 v8, v6
	v_dual_mov_b32 v11, v7 :: v_dual_mov_b32 v10, v6
	;; [unrolled: 1-line block ×3, first 2 shown]
.LBB45_9:                               ; =>This Inner Loop Header: Depth=1
	v_ashrrev_i32_e32 v18, 31, v17
	s_delay_alu instid0(VALU_DEP_1) | instskip(SKIP_1) | instid1(VALU_DEP_2)
	v_lshlrev_b64 v[20:21], 2, v[17:18]
	v_add_nc_u32_e32 v17, 32, v17
	v_add_co_u32 v20, vcc_lo, s6, v20
	s_delay_alu instid0(VALU_DEP_3) | instskip(SKIP_3) | instid1(VALU_DEP_2)
	v_add_co_ci_u32_e32 v21, vcc_lo, s7, v21, vcc_lo
	global_load_b32 v18, v[20:21], off
	v_lshlrev_b64 v[20:21], 3, v[15:16]
	v_add_nc_u32_e32 v15, 0x100, v15
	v_add_co_u32 v36, vcc_lo, s8, v20
	s_delay_alu instid0(VALU_DEP_3) | instskip(SKIP_3) | instid1(VALU_DEP_1)
	v_add_co_ci_u32_e32 v37, vcc_lo, s9, v21, vcc_lo
	global_load_b128 v[20:23], v[36:37], off offset:16
	s_waitcnt vmcnt(1)
	v_subrev_nc_u32_e32 v18, s12, v18
	v_dual_mov_b32 v25, v16 :: v_dual_lshlrev_b32 v24, 1, v18
	s_delay_alu instid0(VALU_DEP_1) | instskip(NEXT) | instid1(VALU_DEP_1)
	v_lshlrev_b64 v[24:25], 3, v[24:25]
	v_add_co_u32 v28, vcc_lo, s10, v24
	s_delay_alu instid0(VALU_DEP_2)
	v_add_co_ci_u32_e32 v29, vcc_lo, s11, v25, vcc_lo
	v_cmp_ge_i32_e32 vcc_lo, v17, v19
	global_load_b128 v[24:27], v[36:37], off
	global_load_b128 v[28:31], v[28:29], off
	s_clause 0x1
	global_load_b128 v[32:35], v[36:37], off offset:32
	global_load_b128 v[36:39], v[36:37], off offset:48
	s_or_b32 s4, vcc_lo, s4
	s_waitcnt vmcnt(2)
	v_fma_f64 v[6:7], v[24:25], v[28:29], v[6:7]
	v_fma_f64 v[12:13], v[26:27], v[28:29], v[12:13]
	;; [unrolled: 1-line block ×4, first 2 shown]
	s_waitcnt vmcnt(1)
	s_delay_alu instid0(VALU_DEP_4) | instskip(NEXT) | instid1(VALU_DEP_4)
	v_fma_f64 v[6:7], v[32:33], v[30:31], v[6:7]
	v_fma_f64 v[12:13], v[34:35], v[30:31], v[12:13]
	s_waitcnt vmcnt(0)
	s_delay_alu instid0(VALU_DEP_4) | instskip(NEXT) | instid1(VALU_DEP_4)
	v_fma_f64 v[10:11], v[36:37], v[30:31], v[10:11]
	v_fma_f64 v[8:9], v[38:39], v[30:31], v[8:9]
	s_and_not1_b32 exec_lo, exec_lo, s4
	s_cbranch_execnz .LBB45_9
; %bb.10:
	s_or_b32 exec_lo, exec_lo, s4
.LBB45_11:
	s_delay_alu instid0(SALU_CYCLE_1)
	s_or_b32 exec_lo, exec_lo, s3
	s_cbranch_execz .LBB45_13
	s_branch .LBB45_18
.LBB45_12:
                                        ; implicit-def: $vgpr6_vgpr7
                                        ; implicit-def: $vgpr8_vgpr9
                                        ; implicit-def: $vgpr10_vgpr11
                                        ; implicit-def: $vgpr12_vgpr13
.LBB45_13:
	v_mov_b32_e32 v6, 0
	v_mov_b32_e32 v7, 0
	s_delay_alu instid0(VALU_DEP_1)
	v_dual_mov_b32 v9, v7 :: v_dual_mov_b32 v8, v6
	v_dual_mov_b32 v11, v7 :: v_dual_mov_b32 v10, v6
	;; [unrolled: 1-line block ×3, first 2 shown]
	s_and_saveexec_b32 s3, s2
	s_cbranch_execz .LBB45_17
; %bb.14:
	v_dual_mov_b32 v6, 0 :: v_dual_mov_b32 v17, 0
	v_dual_mov_b32 v7, 0 :: v_dual_lshlrev_b32 v16, 3, v14
	s_mov_b32 s2, 0
	s_delay_alu instid0(VALU_DEP_1)
	v_dual_mov_b32 v9, v7 :: v_dual_mov_b32 v8, v6
	v_dual_mov_b32 v11, v7 :: v_dual_mov_b32 v10, v6
	;; [unrolled: 1-line block ×3, first 2 shown]
.LBB45_15:                              ; =>This Inner Loop Header: Depth=1
	v_ashrrev_i32_e32 v15, 31, v14
	s_delay_alu instid0(VALU_DEP_1) | instskip(SKIP_1) | instid1(VALU_DEP_2)
	v_lshlrev_b64 v[20:21], 2, v[14:15]
	v_add_nc_u32_e32 v14, 32, v14
	v_add_co_u32 v20, vcc_lo, s6, v20
	s_delay_alu instid0(VALU_DEP_3) | instskip(SKIP_3) | instid1(VALU_DEP_2)
	v_add_co_ci_u32_e32 v21, vcc_lo, s7, v21, vcc_lo
	global_load_b32 v15, v[20:21], off
	v_lshlrev_b64 v[20:21], 3, v[16:17]
	v_add_nc_u32_e32 v16, 0x100, v16
	v_add_co_u32 v34, vcc_lo, s8, v20
	s_delay_alu instid0(VALU_DEP_3)
	v_add_co_ci_u32_e32 v35, vcc_lo, s9, v21, vcc_lo
	s_clause 0x2
	global_load_b128 v[20:23], v[34:35], off offset:48
	global_load_b128 v[24:27], v[34:35], off offset:32
	;; [unrolled: 1-line block ×3, first 2 shown]
	s_waitcnt vmcnt(3)
	v_subrev_nc_u32_e32 v15, s12, v15
	s_delay_alu instid0(VALU_DEP_1) | instskip(NEXT) | instid1(VALU_DEP_1)
	v_dual_mov_b32 v33, v17 :: v_dual_lshlrev_b32 v32, 1, v15
	v_lshlrev_b64 v[32:33], 3, v[32:33]
	s_delay_alu instid0(VALU_DEP_1) | instskip(NEXT) | instid1(VALU_DEP_2)
	v_add_co_u32 v36, vcc_lo, s10, v32
	v_add_co_ci_u32_e32 v37, vcc_lo, s11, v33, vcc_lo
	v_cmp_ge_i32_e32 vcc_lo, v14, v19
	global_load_b128 v[32:35], v[34:35], off
	global_load_b128 v[36:39], v[36:37], off
	s_or_b32 s2, vcc_lo, s2
	s_waitcnt vmcnt(0)
	v_fma_f64 v[6:7], v[32:33], v[36:37], v[6:7]
	v_fma_f64 v[12:13], v[28:29], v[36:37], v[12:13]
	;; [unrolled: 1-line block ×4, first 2 shown]
	s_delay_alu instid0(VALU_DEP_4) | instskip(NEXT) | instid1(VALU_DEP_4)
	v_fma_f64 v[6:7], v[34:35], v[38:39], v[6:7]
	v_fma_f64 v[12:13], v[30:31], v[38:39], v[12:13]
	s_delay_alu instid0(VALU_DEP_4) | instskip(NEXT) | instid1(VALU_DEP_4)
	v_fma_f64 v[10:11], v[26:27], v[38:39], v[10:11]
	v_fma_f64 v[8:9], v[22:23], v[38:39], v[8:9]
	s_and_not1_b32 exec_lo, exec_lo, s2
	s_cbranch_execnz .LBB45_15
; %bb.16:
	s_or_b32 exec_lo, exec_lo, s2
.LBB45_17:
	s_delay_alu instid0(SALU_CYCLE_1)
	s_or_b32 exec_lo, exec_lo, s3
.LBB45_18:
	v_mbcnt_lo_u32_b32 v24, -1, 0
	s_delay_alu instid0(VALU_DEP_1) | instskip(NEXT) | instid1(VALU_DEP_1)
	v_xor_b32_e32 v14, 16, v24
	v_cmp_gt_i32_e32 vcc_lo, 32, v14
	v_cndmask_b32_e32 v14, v24, v14, vcc_lo
	s_delay_alu instid0(VALU_DEP_1)
	v_lshlrev_b32_e32 v21, 2, v14
	ds_bpermute_b32 v14, v21, v6
	ds_bpermute_b32 v15, v21, v7
	;; [unrolled: 1-line block ×8, first 2 shown]
	s_waitcnt lgkmcnt(6)
	v_add_f64 v[6:7], v[6:7], v[14:15]
	v_xor_b32_e32 v14, 8, v24
	s_waitcnt lgkmcnt(4)
	v_add_f64 v[12:13], v[12:13], v[16:17]
	s_waitcnt lgkmcnt(2)
	v_add_f64 v[10:11], v[10:11], v[18:19]
	;; [unrolled: 2-line block ×3, first 2 shown]
	v_cmp_gt_i32_e32 vcc_lo, 32, v14
	v_cndmask_b32_e32 v14, v24, v14, vcc_lo
	s_delay_alu instid0(VALU_DEP_1)
	v_lshlrev_b32_e32 v21, 2, v14
	ds_bpermute_b32 v14, v21, v6
	ds_bpermute_b32 v15, v21, v7
	;; [unrolled: 1-line block ×8, first 2 shown]
	s_waitcnt lgkmcnt(6)
	v_add_f64 v[6:7], v[6:7], v[14:15]
	v_xor_b32_e32 v14, 4, v24
	s_waitcnt lgkmcnt(4)
	v_add_f64 v[12:13], v[12:13], v[16:17]
	s_waitcnt lgkmcnt(2)
	v_add_f64 v[10:11], v[10:11], v[18:19]
	;; [unrolled: 2-line block ×3, first 2 shown]
	v_cmp_gt_i32_e32 vcc_lo, 32, v14
	v_cndmask_b32_e32 v14, v24, v14, vcc_lo
	s_delay_alu instid0(VALU_DEP_1)
	v_lshlrev_b32_e32 v21, 2, v14
	ds_bpermute_b32 v14, v21, v6
	ds_bpermute_b32 v15, v21, v7
	ds_bpermute_b32 v16, v21, v12
	ds_bpermute_b32 v17, v21, v13
	ds_bpermute_b32 v18, v21, v10
	ds_bpermute_b32 v19, v21, v11
	ds_bpermute_b32 v20, v21, v8
	ds_bpermute_b32 v21, v21, v9
	s_waitcnt lgkmcnt(6)
	v_add_f64 v[6:7], v[6:7], v[14:15]
	s_waitcnt lgkmcnt(4)
	v_add_f64 v[12:13], v[12:13], v[16:17]
	;; [unrolled: 2-line block ×4, first 2 shown]
	v_xor_b32_e32 v8, 2, v24
	s_delay_alu instid0(VALU_DEP_1) | instskip(SKIP_1) | instid1(VALU_DEP_1)
	v_cmp_gt_i32_e32 vcc_lo, 32, v8
	v_cndmask_b32_e32 v8, v24, v8, vcc_lo
	v_lshlrev_b32_e32 v10, 2, v8
	ds_bpermute_b32 v8, v10, v6
	ds_bpermute_b32 v9, v10, v7
	;; [unrolled: 1-line block ×8, first 2 shown]
	s_waitcnt lgkmcnt(6)
	v_add_f64 v[10:11], v[6:7], v[8:9]
	s_waitcnt lgkmcnt(4)
	v_add_f64 v[8:9], v[12:13], v[18:19]
	v_xor_b32_e32 v12, 1, v24
	s_waitcnt lgkmcnt(2)
	v_add_f64 v[6:7], v[14:15], v[20:21]
	s_waitcnt lgkmcnt(0)
	v_add_f64 v[14:15], v[16:17], v[22:23]
	v_cmp_gt_i32_e32 vcc_lo, 32, v12
	v_cndmask_b32_e32 v12, v24, v12, vcc_lo
	v_cmp_eq_u32_e32 vcc_lo, 31, v0
	s_delay_alu instid0(VALU_DEP_2)
	v_lshlrev_b32_e32 v17, 2, v12
	ds_bpermute_b32 v12, v17, v10
	ds_bpermute_b32 v13, v17, v11
	;; [unrolled: 1-line block ×8, first 2 shown]
	s_and_b32 exec_lo, exec_lo, vcc_lo
	s_cbranch_execz .LBB45_23
; %bb.19:
	s_waitcnt lgkmcnt(6)
	v_add_f64 v[12:13], v[10:11], v[12:13]
	s_waitcnt lgkmcnt(4)
	v_add_f64 v[10:11], v[8:9], v[20:21]
	;; [unrolled: 2-line block ×4, first 2 shown]
	s_load_b64 s[0:1], s[0:1], 0x38
	s_mov_b32 s2, exec_lo
	v_cmpx_eq_f64_e32 0, v[3:4]
	s_xor_b32 s2, exec_lo, s2
	s_cbranch_execz .LBB45_21
; %bb.20:
	v_mul_f64 v[12:13], v[1:2], v[12:13]
	v_mul_f64 v[14:15], v[1:2], v[10:11]
	;; [unrolled: 1-line block ×4, first 2 shown]
	v_lshlrev_b32_e32 v0, 2, v5
                                        ; implicit-def: $vgpr5
                                        ; implicit-def: $vgpr3_vgpr4
                                        ; implicit-def: $vgpr6_vgpr7
	s_delay_alu instid0(VALU_DEP_1) | instskip(NEXT) | instid1(VALU_DEP_1)
	v_ashrrev_i32_e32 v1, 31, v0
	v_lshlrev_b64 v[0:1], 3, v[0:1]
	s_waitcnt lgkmcnt(0)
	s_delay_alu instid0(VALU_DEP_1) | instskip(NEXT) | instid1(VALU_DEP_2)
	v_add_co_u32 v0, vcc_lo, s0, v0
	v_add_co_ci_u32_e32 v1, vcc_lo, s1, v1, vcc_lo
	s_clause 0x1
	global_store_b128 v[0:1], v[12:15], off
	global_store_b128 v[0:1], v[8:11], off offset:16
                                        ; implicit-def: $vgpr1_vgpr2
                                        ; implicit-def: $vgpr12_vgpr13
                                        ; implicit-def: $vgpr10_vgpr11
                                        ; implicit-def: $vgpr8_vgpr9
.LBB45_21:
	s_and_not1_saveexec_b32 s2, s2
	s_cbranch_execz .LBB45_23
; %bb.22:
	v_lshlrev_b32_e32 v14, 2, v5
	v_mul_f64 v[12:13], v[1:2], v[12:13]
	v_mul_f64 v[10:11], v[1:2], v[10:11]
	;; [unrolled: 1-line block ×4, first 2 shown]
	v_ashrrev_i32_e32 v15, 31, v14
	s_delay_alu instid0(VALU_DEP_1) | instskip(SKIP_1) | instid1(VALU_DEP_1)
	v_lshlrev_b64 v[14:15], 3, v[14:15]
	s_waitcnt lgkmcnt(0)
	v_add_co_u32 v22, vcc_lo, s0, v14
	s_delay_alu instid0(VALU_DEP_2)
	v_add_co_ci_u32_e32 v23, vcc_lo, s1, v15, vcc_lo
	s_clause 0x1
	global_load_b128 v[14:17], v[22:23], off
	global_load_b128 v[18:21], v[22:23], off offset:16
	s_waitcnt vmcnt(1)
	v_fma_f64 v[5:6], v[3:4], v[14:15], v[12:13]
	v_fma_f64 v[7:8], v[3:4], v[16:17], v[10:11]
	s_waitcnt vmcnt(0)
	v_fma_f64 v[0:1], v[3:4], v[18:19], v[24:25]
	v_fma_f64 v[2:3], v[3:4], v[20:21], v[26:27]
	s_clause 0x1
	global_store_b128 v[22:23], v[5:8], off
	global_store_b128 v[22:23], v[0:3], off offset:16
.LBB45_23:
	s_nop 0
	s_sendmsg sendmsg(MSG_DEALLOC_VGPRS)
	s_endpgm
	.section	.rodata,"a",@progbits
	.p2align	6, 0x0
	.amdhsa_kernel _ZN9rocsparseL19gebsrmvn_4xn_kernelILj128ELj2ELj32EdEEvi20rocsparse_direction_NS_24const_host_device_scalarIT2_EEPKiS6_PKS3_S8_S4_PS3_21rocsparse_index_base_b
		.amdhsa_group_segment_fixed_size 0
		.amdhsa_private_segment_fixed_size 0
		.amdhsa_kernarg_size 72
		.amdhsa_user_sgpr_count 15
		.amdhsa_user_sgpr_dispatch_ptr 0
		.amdhsa_user_sgpr_queue_ptr 0
		.amdhsa_user_sgpr_kernarg_segment_ptr 1
		.amdhsa_user_sgpr_dispatch_id 0
		.amdhsa_user_sgpr_private_segment_size 0
		.amdhsa_wavefront_size32 1
		.amdhsa_uses_dynamic_stack 0
		.amdhsa_enable_private_segment 0
		.amdhsa_system_sgpr_workgroup_id_x 1
		.amdhsa_system_sgpr_workgroup_id_y 0
		.amdhsa_system_sgpr_workgroup_id_z 0
		.amdhsa_system_sgpr_workgroup_info 0
		.amdhsa_system_vgpr_workitem_id 0
		.amdhsa_next_free_vgpr 40
		.amdhsa_next_free_sgpr 16
		.amdhsa_reserve_vcc 1
		.amdhsa_float_round_mode_32 0
		.amdhsa_float_round_mode_16_64 0
		.amdhsa_float_denorm_mode_32 3
		.amdhsa_float_denorm_mode_16_64 3
		.amdhsa_dx10_clamp 1
		.amdhsa_ieee_mode 1
		.amdhsa_fp16_overflow 0
		.amdhsa_workgroup_processor_mode 1
		.amdhsa_memory_ordered 1
		.amdhsa_forward_progress 0
		.amdhsa_shared_vgpr_count 0
		.amdhsa_exception_fp_ieee_invalid_op 0
		.amdhsa_exception_fp_denorm_src 0
		.amdhsa_exception_fp_ieee_div_zero 0
		.amdhsa_exception_fp_ieee_overflow 0
		.amdhsa_exception_fp_ieee_underflow 0
		.amdhsa_exception_fp_ieee_inexact 0
		.amdhsa_exception_int_div_zero 0
	.end_amdhsa_kernel
	.section	.text._ZN9rocsparseL19gebsrmvn_4xn_kernelILj128ELj2ELj32EdEEvi20rocsparse_direction_NS_24const_host_device_scalarIT2_EEPKiS6_PKS3_S8_S4_PS3_21rocsparse_index_base_b,"axG",@progbits,_ZN9rocsparseL19gebsrmvn_4xn_kernelILj128ELj2ELj32EdEEvi20rocsparse_direction_NS_24const_host_device_scalarIT2_EEPKiS6_PKS3_S8_S4_PS3_21rocsparse_index_base_b,comdat
.Lfunc_end45:
	.size	_ZN9rocsparseL19gebsrmvn_4xn_kernelILj128ELj2ELj32EdEEvi20rocsparse_direction_NS_24const_host_device_scalarIT2_EEPKiS6_PKS3_S8_S4_PS3_21rocsparse_index_base_b, .Lfunc_end45-_ZN9rocsparseL19gebsrmvn_4xn_kernelILj128ELj2ELj32EdEEvi20rocsparse_direction_NS_24const_host_device_scalarIT2_EEPKiS6_PKS3_S8_S4_PS3_21rocsparse_index_base_b
                                        ; -- End function
	.section	.AMDGPU.csdata,"",@progbits
; Kernel info:
; codeLenInByte = 1988
; NumSgprs: 18
; NumVgprs: 40
; ScratchSize: 0
; MemoryBound: 0
; FloatMode: 240
; IeeeMode: 1
; LDSByteSize: 0 bytes/workgroup (compile time only)
; SGPRBlocks: 2
; VGPRBlocks: 4
; NumSGPRsForWavesPerEU: 18
; NumVGPRsForWavesPerEU: 40
; Occupancy: 16
; WaveLimiterHint : 1
; COMPUTE_PGM_RSRC2:SCRATCH_EN: 0
; COMPUTE_PGM_RSRC2:USER_SGPR: 15
; COMPUTE_PGM_RSRC2:TRAP_HANDLER: 0
; COMPUTE_PGM_RSRC2:TGID_X_EN: 1
; COMPUTE_PGM_RSRC2:TGID_Y_EN: 0
; COMPUTE_PGM_RSRC2:TGID_Z_EN: 0
; COMPUTE_PGM_RSRC2:TIDIG_COMP_CNT: 0
	.section	.text._ZN9rocsparseL19gebsrmvn_4xn_kernelILj128ELj2ELj64EdEEvi20rocsparse_direction_NS_24const_host_device_scalarIT2_EEPKiS6_PKS3_S8_S4_PS3_21rocsparse_index_base_b,"axG",@progbits,_ZN9rocsparseL19gebsrmvn_4xn_kernelILj128ELj2ELj64EdEEvi20rocsparse_direction_NS_24const_host_device_scalarIT2_EEPKiS6_PKS3_S8_S4_PS3_21rocsparse_index_base_b,comdat
	.globl	_ZN9rocsparseL19gebsrmvn_4xn_kernelILj128ELj2ELj64EdEEvi20rocsparse_direction_NS_24const_host_device_scalarIT2_EEPKiS6_PKS3_S8_S4_PS3_21rocsparse_index_base_b ; -- Begin function _ZN9rocsparseL19gebsrmvn_4xn_kernelILj128ELj2ELj64EdEEvi20rocsparse_direction_NS_24const_host_device_scalarIT2_EEPKiS6_PKS3_S8_S4_PS3_21rocsparse_index_base_b
	.p2align	8
	.type	_ZN9rocsparseL19gebsrmvn_4xn_kernelILj128ELj2ELj64EdEEvi20rocsparse_direction_NS_24const_host_device_scalarIT2_EEPKiS6_PKS3_S8_S4_PS3_21rocsparse_index_base_b,@function
_ZN9rocsparseL19gebsrmvn_4xn_kernelILj128ELj2ELj64EdEEvi20rocsparse_direction_NS_24const_host_device_scalarIT2_EEPKiS6_PKS3_S8_S4_PS3_21rocsparse_index_base_b: ; @_ZN9rocsparseL19gebsrmvn_4xn_kernelILj128ELj2ELj64EdEEvi20rocsparse_direction_NS_24const_host_device_scalarIT2_EEPKiS6_PKS3_S8_S4_PS3_21rocsparse_index_base_b
; %bb.0:
	s_clause 0x2
	s_load_b64 s[12:13], s[0:1], 0x40
	s_load_b64 s[4:5], s[0:1], 0x8
	;; [unrolled: 1-line block ×3, first 2 shown]
	s_waitcnt lgkmcnt(0)
	s_bitcmp1_b32 s13, 0
	v_dual_mov_b32 v1, s4 :: v_dual_mov_b32 v2, s5
	s_cselect_b32 s6, -1, 0
	s_delay_alu instid0(SALU_CYCLE_1)
	s_and_b32 vcc_lo, exec_lo, s6
	s_xor_b32 s6, s6, -1
	s_cbranch_vccnz .LBB46_2
; %bb.1:
	v_dual_mov_b32 v1, s4 :: v_dual_mov_b32 v2, s5
	flat_load_b64 v[1:2], v[1:2]
.LBB46_2:
	v_dual_mov_b32 v4, s3 :: v_dual_mov_b32 v3, s2
	s_and_not1_b32 vcc_lo, exec_lo, s6
	s_cbranch_vccnz .LBB46_4
; %bb.3:
	v_dual_mov_b32 v4, s3 :: v_dual_mov_b32 v3, s2
	flat_load_b64 v[3:4], v[3:4]
.LBB46_4:
	s_waitcnt vmcnt(0) lgkmcnt(0)
	v_cmp_neq_f64_e32 vcc_lo, 0, v[1:2]
	v_cmp_neq_f64_e64 s2, 1.0, v[3:4]
	s_delay_alu instid0(VALU_DEP_1) | instskip(NEXT) | instid1(SALU_CYCLE_1)
	s_or_b32 s2, vcc_lo, s2
	s_and_saveexec_b32 s3, s2
	s_cbranch_execz .LBB46_23
; %bb.5:
	s_load_b64 s[2:3], s[0:1], 0x0
	v_lshrrev_b32_e32 v5, 6, v0
	s_delay_alu instid0(VALU_DEP_1) | instskip(SKIP_1) | instid1(VALU_DEP_1)
	v_lshl_or_b32 v5, s15, 1, v5
	s_waitcnt lgkmcnt(0)
	v_cmp_gt_i32_e32 vcc_lo, s2, v5
	s_and_b32 exec_lo, exec_lo, vcc_lo
	s_cbranch_execz .LBB46_23
; %bb.6:
	s_load_b256 s[4:11], s[0:1], 0x10
	v_ashrrev_i32_e32 v6, 31, v5
	v_and_b32_e32 v0, 63, v0
	s_cmp_lg_u32 s3, 0
	s_delay_alu instid0(VALU_DEP_2) | instskip(SKIP_1) | instid1(VALU_DEP_1)
	v_lshlrev_b64 v[6:7], 2, v[5:6]
	s_waitcnt lgkmcnt(0)
	v_add_co_u32 v6, vcc_lo, s4, v6
	s_delay_alu instid0(VALU_DEP_2) | instskip(SKIP_4) | instid1(VALU_DEP_2)
	v_add_co_ci_u32_e32 v7, vcc_lo, s5, v7, vcc_lo
	global_load_b64 v[6:7], v[6:7], off
	s_waitcnt vmcnt(0)
	v_subrev_nc_u32_e32 v6, s12, v6
	v_subrev_nc_u32_e32 v19, s12, v7
	v_add_nc_u32_e32 v14, v6, v0
	s_delay_alu instid0(VALU_DEP_1)
	v_cmp_lt_i32_e64 s2, v14, v19
	s_cbranch_scc0 .LBB46_12
; %bb.7:
	v_mov_b32_e32 v6, 0
	v_mov_b32_e32 v7, 0
	s_delay_alu instid0(VALU_DEP_1)
	v_dual_mov_b32 v9, v7 :: v_dual_mov_b32 v8, v6
	v_dual_mov_b32 v11, v7 :: v_dual_mov_b32 v10, v6
	v_dual_mov_b32 v13, v7 :: v_dual_mov_b32 v12, v6
	s_and_saveexec_b32 s3, s2
	s_cbranch_execz .LBB46_11
; %bb.8:
	v_dual_mov_b32 v6, 0 :: v_dual_lshlrev_b32 v15, 3, v14
	v_dual_mov_b32 v7, 0 :: v_dual_mov_b32 v16, 0
	v_mov_b32_e32 v17, v14
	s_mov_b32 s4, 0
	s_delay_alu instid0(VALU_DEP_2)
	v_dual_mov_b32 v9, v7 :: v_dual_mov_b32 v8, v6
	v_dual_mov_b32 v11, v7 :: v_dual_mov_b32 v10, v6
	;; [unrolled: 1-line block ×3, first 2 shown]
.LBB46_9:                               ; =>This Inner Loop Header: Depth=1
	v_ashrrev_i32_e32 v18, 31, v17
	s_delay_alu instid0(VALU_DEP_1) | instskip(SKIP_1) | instid1(VALU_DEP_2)
	v_lshlrev_b64 v[20:21], 2, v[17:18]
	v_add_nc_u32_e32 v17, 64, v17
	v_add_co_u32 v20, vcc_lo, s6, v20
	s_delay_alu instid0(VALU_DEP_3) | instskip(SKIP_3) | instid1(VALU_DEP_2)
	v_add_co_ci_u32_e32 v21, vcc_lo, s7, v21, vcc_lo
	global_load_b32 v18, v[20:21], off
	v_lshlrev_b64 v[20:21], 3, v[15:16]
	v_add_nc_u32_e32 v15, 0x200, v15
	v_add_co_u32 v36, vcc_lo, s8, v20
	s_delay_alu instid0(VALU_DEP_3) | instskip(SKIP_3) | instid1(VALU_DEP_1)
	v_add_co_ci_u32_e32 v37, vcc_lo, s9, v21, vcc_lo
	global_load_b128 v[20:23], v[36:37], off offset:16
	s_waitcnt vmcnt(1)
	v_subrev_nc_u32_e32 v18, s12, v18
	v_dual_mov_b32 v25, v16 :: v_dual_lshlrev_b32 v24, 1, v18
	s_delay_alu instid0(VALU_DEP_1) | instskip(NEXT) | instid1(VALU_DEP_1)
	v_lshlrev_b64 v[24:25], 3, v[24:25]
	v_add_co_u32 v28, vcc_lo, s10, v24
	s_delay_alu instid0(VALU_DEP_2)
	v_add_co_ci_u32_e32 v29, vcc_lo, s11, v25, vcc_lo
	v_cmp_ge_i32_e32 vcc_lo, v17, v19
	global_load_b128 v[24:27], v[36:37], off
	global_load_b128 v[28:31], v[28:29], off
	s_clause 0x1
	global_load_b128 v[32:35], v[36:37], off offset:32
	global_load_b128 v[36:39], v[36:37], off offset:48
	s_or_b32 s4, vcc_lo, s4
	s_waitcnt vmcnt(2)
	v_fma_f64 v[6:7], v[24:25], v[28:29], v[6:7]
	v_fma_f64 v[12:13], v[26:27], v[28:29], v[12:13]
	;; [unrolled: 1-line block ×4, first 2 shown]
	s_waitcnt vmcnt(1)
	s_delay_alu instid0(VALU_DEP_4) | instskip(NEXT) | instid1(VALU_DEP_4)
	v_fma_f64 v[6:7], v[32:33], v[30:31], v[6:7]
	v_fma_f64 v[12:13], v[34:35], v[30:31], v[12:13]
	s_waitcnt vmcnt(0)
	s_delay_alu instid0(VALU_DEP_4) | instskip(NEXT) | instid1(VALU_DEP_4)
	v_fma_f64 v[10:11], v[36:37], v[30:31], v[10:11]
	v_fma_f64 v[8:9], v[38:39], v[30:31], v[8:9]
	s_and_not1_b32 exec_lo, exec_lo, s4
	s_cbranch_execnz .LBB46_9
; %bb.10:
	s_or_b32 exec_lo, exec_lo, s4
.LBB46_11:
	s_delay_alu instid0(SALU_CYCLE_1)
	s_or_b32 exec_lo, exec_lo, s3
	s_cbranch_execz .LBB46_13
	s_branch .LBB46_18
.LBB46_12:
                                        ; implicit-def: $vgpr6_vgpr7
                                        ; implicit-def: $vgpr8_vgpr9
                                        ; implicit-def: $vgpr10_vgpr11
                                        ; implicit-def: $vgpr12_vgpr13
.LBB46_13:
	v_mov_b32_e32 v6, 0
	v_mov_b32_e32 v7, 0
	s_delay_alu instid0(VALU_DEP_1)
	v_dual_mov_b32 v9, v7 :: v_dual_mov_b32 v8, v6
	v_dual_mov_b32 v11, v7 :: v_dual_mov_b32 v10, v6
	;; [unrolled: 1-line block ×3, first 2 shown]
	s_and_saveexec_b32 s3, s2
	s_cbranch_execz .LBB46_17
; %bb.14:
	v_dual_mov_b32 v6, 0 :: v_dual_mov_b32 v17, 0
	v_dual_mov_b32 v7, 0 :: v_dual_lshlrev_b32 v16, 3, v14
	s_mov_b32 s2, 0
	s_delay_alu instid0(VALU_DEP_1)
	v_dual_mov_b32 v9, v7 :: v_dual_mov_b32 v8, v6
	v_dual_mov_b32 v11, v7 :: v_dual_mov_b32 v10, v6
	;; [unrolled: 1-line block ×3, first 2 shown]
.LBB46_15:                              ; =>This Inner Loop Header: Depth=1
	v_ashrrev_i32_e32 v15, 31, v14
	s_delay_alu instid0(VALU_DEP_1) | instskip(SKIP_1) | instid1(VALU_DEP_2)
	v_lshlrev_b64 v[20:21], 2, v[14:15]
	v_add_nc_u32_e32 v14, 64, v14
	v_add_co_u32 v20, vcc_lo, s6, v20
	s_delay_alu instid0(VALU_DEP_3) | instskip(SKIP_3) | instid1(VALU_DEP_2)
	v_add_co_ci_u32_e32 v21, vcc_lo, s7, v21, vcc_lo
	global_load_b32 v15, v[20:21], off
	v_lshlrev_b64 v[20:21], 3, v[16:17]
	v_add_nc_u32_e32 v16, 0x200, v16
	v_add_co_u32 v34, vcc_lo, s8, v20
	s_delay_alu instid0(VALU_DEP_3)
	v_add_co_ci_u32_e32 v35, vcc_lo, s9, v21, vcc_lo
	s_clause 0x2
	global_load_b128 v[20:23], v[34:35], off offset:48
	global_load_b128 v[24:27], v[34:35], off offset:32
	;; [unrolled: 1-line block ×3, first 2 shown]
	s_waitcnt vmcnt(3)
	v_subrev_nc_u32_e32 v15, s12, v15
	s_delay_alu instid0(VALU_DEP_1) | instskip(NEXT) | instid1(VALU_DEP_1)
	v_dual_mov_b32 v33, v17 :: v_dual_lshlrev_b32 v32, 1, v15
	v_lshlrev_b64 v[32:33], 3, v[32:33]
	s_delay_alu instid0(VALU_DEP_1) | instskip(NEXT) | instid1(VALU_DEP_2)
	v_add_co_u32 v36, vcc_lo, s10, v32
	v_add_co_ci_u32_e32 v37, vcc_lo, s11, v33, vcc_lo
	v_cmp_ge_i32_e32 vcc_lo, v14, v19
	global_load_b128 v[32:35], v[34:35], off
	global_load_b128 v[36:39], v[36:37], off
	s_or_b32 s2, vcc_lo, s2
	s_waitcnt vmcnt(0)
	v_fma_f64 v[6:7], v[32:33], v[36:37], v[6:7]
	v_fma_f64 v[12:13], v[28:29], v[36:37], v[12:13]
	;; [unrolled: 1-line block ×4, first 2 shown]
	s_delay_alu instid0(VALU_DEP_4) | instskip(NEXT) | instid1(VALU_DEP_4)
	v_fma_f64 v[6:7], v[34:35], v[38:39], v[6:7]
	v_fma_f64 v[12:13], v[30:31], v[38:39], v[12:13]
	s_delay_alu instid0(VALU_DEP_4) | instskip(NEXT) | instid1(VALU_DEP_4)
	v_fma_f64 v[10:11], v[26:27], v[38:39], v[10:11]
	v_fma_f64 v[8:9], v[22:23], v[38:39], v[8:9]
	s_and_not1_b32 exec_lo, exec_lo, s2
	s_cbranch_execnz .LBB46_15
; %bb.16:
	s_or_b32 exec_lo, exec_lo, s2
.LBB46_17:
	s_delay_alu instid0(SALU_CYCLE_1)
	s_or_b32 exec_lo, exec_lo, s3
.LBB46_18:
	v_mbcnt_lo_u32_b32 v24, -1, 0
	s_delay_alu instid0(VALU_DEP_1) | instskip(NEXT) | instid1(VALU_DEP_1)
	v_or_b32_e32 v14, 32, v24
	v_cmp_gt_i32_e32 vcc_lo, 32, v14
	v_cndmask_b32_e32 v14, v24, v14, vcc_lo
	s_delay_alu instid0(VALU_DEP_1)
	v_lshlrev_b32_e32 v21, 2, v14
	ds_bpermute_b32 v14, v21, v6
	ds_bpermute_b32 v15, v21, v7
	ds_bpermute_b32 v16, v21, v12
	ds_bpermute_b32 v17, v21, v13
	ds_bpermute_b32 v18, v21, v10
	ds_bpermute_b32 v19, v21, v11
	ds_bpermute_b32 v20, v21, v8
	ds_bpermute_b32 v21, v21, v9
	s_waitcnt lgkmcnt(6)
	v_add_f64 v[6:7], v[6:7], v[14:15]
	v_xor_b32_e32 v14, 16, v24
	s_waitcnt lgkmcnt(4)
	v_add_f64 v[12:13], v[12:13], v[16:17]
	s_waitcnt lgkmcnt(2)
	v_add_f64 v[10:11], v[10:11], v[18:19]
	s_waitcnt lgkmcnt(0)
	v_add_f64 v[8:9], v[8:9], v[20:21]
	v_cmp_gt_i32_e32 vcc_lo, 32, v14
	v_cndmask_b32_e32 v14, v24, v14, vcc_lo
	s_delay_alu instid0(VALU_DEP_1)
	v_lshlrev_b32_e32 v21, 2, v14
	ds_bpermute_b32 v14, v21, v6
	ds_bpermute_b32 v15, v21, v7
	ds_bpermute_b32 v16, v21, v12
	ds_bpermute_b32 v17, v21, v13
	ds_bpermute_b32 v18, v21, v10
	ds_bpermute_b32 v19, v21, v11
	ds_bpermute_b32 v20, v21, v8
	ds_bpermute_b32 v21, v21, v9
	s_waitcnt lgkmcnt(6)
	v_add_f64 v[6:7], v[6:7], v[14:15]
	v_xor_b32_e32 v14, 8, v24
	s_waitcnt lgkmcnt(4)
	v_add_f64 v[12:13], v[12:13], v[16:17]
	s_waitcnt lgkmcnt(2)
	v_add_f64 v[10:11], v[10:11], v[18:19]
	s_waitcnt lgkmcnt(0)
	v_add_f64 v[8:9], v[8:9], v[20:21]
	;; [unrolled: 21-line block ×3, first 2 shown]
	v_cmp_gt_i32_e32 vcc_lo, 32, v14
	v_cndmask_b32_e32 v14, v24, v14, vcc_lo
	s_delay_alu instid0(VALU_DEP_1)
	v_lshlrev_b32_e32 v21, 2, v14
	ds_bpermute_b32 v14, v21, v6
	ds_bpermute_b32 v15, v21, v7
	;; [unrolled: 1-line block ×8, first 2 shown]
	s_waitcnt lgkmcnt(6)
	v_add_f64 v[6:7], v[6:7], v[14:15]
	s_waitcnt lgkmcnt(4)
	v_add_f64 v[12:13], v[12:13], v[16:17]
	;; [unrolled: 2-line block ×4, first 2 shown]
	v_xor_b32_e32 v8, 2, v24
	s_delay_alu instid0(VALU_DEP_1) | instskip(SKIP_1) | instid1(VALU_DEP_1)
	v_cmp_gt_i32_e32 vcc_lo, 32, v8
	v_cndmask_b32_e32 v8, v24, v8, vcc_lo
	v_lshlrev_b32_e32 v10, 2, v8
	ds_bpermute_b32 v8, v10, v6
	ds_bpermute_b32 v9, v10, v7
	;; [unrolled: 1-line block ×8, first 2 shown]
	s_waitcnt lgkmcnt(6)
	v_add_f64 v[10:11], v[6:7], v[8:9]
	s_waitcnt lgkmcnt(4)
	v_add_f64 v[8:9], v[12:13], v[18:19]
	v_xor_b32_e32 v12, 1, v24
	s_waitcnt lgkmcnt(2)
	v_add_f64 v[6:7], v[14:15], v[20:21]
	s_waitcnt lgkmcnt(0)
	v_add_f64 v[14:15], v[16:17], v[22:23]
	v_cmp_gt_i32_e32 vcc_lo, 32, v12
	v_cndmask_b32_e32 v12, v24, v12, vcc_lo
	v_cmp_eq_u32_e32 vcc_lo, 63, v0
	s_delay_alu instid0(VALU_DEP_2)
	v_lshlrev_b32_e32 v17, 2, v12
	ds_bpermute_b32 v12, v17, v10
	ds_bpermute_b32 v13, v17, v11
	;; [unrolled: 1-line block ×8, first 2 shown]
	s_and_b32 exec_lo, exec_lo, vcc_lo
	s_cbranch_execz .LBB46_23
; %bb.19:
	s_waitcnt lgkmcnt(6)
	v_add_f64 v[12:13], v[10:11], v[12:13]
	s_waitcnt lgkmcnt(4)
	v_add_f64 v[10:11], v[8:9], v[20:21]
	;; [unrolled: 2-line block ×4, first 2 shown]
	s_load_b64 s[0:1], s[0:1], 0x38
	s_mov_b32 s2, exec_lo
	v_cmpx_eq_f64_e32 0, v[3:4]
	s_xor_b32 s2, exec_lo, s2
	s_cbranch_execz .LBB46_21
; %bb.20:
	v_mul_f64 v[12:13], v[1:2], v[12:13]
	v_mul_f64 v[14:15], v[1:2], v[10:11]
	;; [unrolled: 1-line block ×4, first 2 shown]
	v_lshlrev_b32_e32 v0, 2, v5
                                        ; implicit-def: $vgpr5
                                        ; implicit-def: $vgpr3_vgpr4
                                        ; implicit-def: $vgpr6_vgpr7
	s_delay_alu instid0(VALU_DEP_1) | instskip(NEXT) | instid1(VALU_DEP_1)
	v_ashrrev_i32_e32 v1, 31, v0
	v_lshlrev_b64 v[0:1], 3, v[0:1]
	s_waitcnt lgkmcnt(0)
	s_delay_alu instid0(VALU_DEP_1) | instskip(NEXT) | instid1(VALU_DEP_2)
	v_add_co_u32 v0, vcc_lo, s0, v0
	v_add_co_ci_u32_e32 v1, vcc_lo, s1, v1, vcc_lo
	s_clause 0x1
	global_store_b128 v[0:1], v[12:15], off
	global_store_b128 v[0:1], v[8:11], off offset:16
                                        ; implicit-def: $vgpr1_vgpr2
                                        ; implicit-def: $vgpr12_vgpr13
                                        ; implicit-def: $vgpr10_vgpr11
                                        ; implicit-def: $vgpr8_vgpr9
.LBB46_21:
	s_and_not1_saveexec_b32 s2, s2
	s_cbranch_execz .LBB46_23
; %bb.22:
	v_lshlrev_b32_e32 v14, 2, v5
	v_mul_f64 v[12:13], v[1:2], v[12:13]
	v_mul_f64 v[10:11], v[1:2], v[10:11]
	v_mul_f64 v[24:25], v[1:2], v[8:9]
	v_mul_f64 v[26:27], v[1:2], v[6:7]
	v_ashrrev_i32_e32 v15, 31, v14
	s_delay_alu instid0(VALU_DEP_1) | instskip(SKIP_1) | instid1(VALU_DEP_1)
	v_lshlrev_b64 v[14:15], 3, v[14:15]
	s_waitcnt lgkmcnt(0)
	v_add_co_u32 v22, vcc_lo, s0, v14
	s_delay_alu instid0(VALU_DEP_2)
	v_add_co_ci_u32_e32 v23, vcc_lo, s1, v15, vcc_lo
	s_clause 0x1
	global_load_b128 v[14:17], v[22:23], off
	global_load_b128 v[18:21], v[22:23], off offset:16
	s_waitcnt vmcnt(1)
	v_fma_f64 v[5:6], v[3:4], v[14:15], v[12:13]
	v_fma_f64 v[7:8], v[3:4], v[16:17], v[10:11]
	s_waitcnt vmcnt(0)
	v_fma_f64 v[0:1], v[3:4], v[18:19], v[24:25]
	v_fma_f64 v[2:3], v[3:4], v[20:21], v[26:27]
	s_clause 0x1
	global_store_b128 v[22:23], v[5:8], off
	global_store_b128 v[22:23], v[0:3], off offset:16
.LBB46_23:
	s_nop 0
	s_sendmsg sendmsg(MSG_DEALLOC_VGPRS)
	s_endpgm
	.section	.rodata,"a",@progbits
	.p2align	6, 0x0
	.amdhsa_kernel _ZN9rocsparseL19gebsrmvn_4xn_kernelILj128ELj2ELj64EdEEvi20rocsparse_direction_NS_24const_host_device_scalarIT2_EEPKiS6_PKS3_S8_S4_PS3_21rocsparse_index_base_b
		.amdhsa_group_segment_fixed_size 0
		.amdhsa_private_segment_fixed_size 0
		.amdhsa_kernarg_size 72
		.amdhsa_user_sgpr_count 15
		.amdhsa_user_sgpr_dispatch_ptr 0
		.amdhsa_user_sgpr_queue_ptr 0
		.amdhsa_user_sgpr_kernarg_segment_ptr 1
		.amdhsa_user_sgpr_dispatch_id 0
		.amdhsa_user_sgpr_private_segment_size 0
		.amdhsa_wavefront_size32 1
		.amdhsa_uses_dynamic_stack 0
		.amdhsa_enable_private_segment 0
		.amdhsa_system_sgpr_workgroup_id_x 1
		.amdhsa_system_sgpr_workgroup_id_y 0
		.amdhsa_system_sgpr_workgroup_id_z 0
		.amdhsa_system_sgpr_workgroup_info 0
		.amdhsa_system_vgpr_workitem_id 0
		.amdhsa_next_free_vgpr 40
		.amdhsa_next_free_sgpr 16
		.amdhsa_reserve_vcc 1
		.amdhsa_float_round_mode_32 0
		.amdhsa_float_round_mode_16_64 0
		.amdhsa_float_denorm_mode_32 3
		.amdhsa_float_denorm_mode_16_64 3
		.amdhsa_dx10_clamp 1
		.amdhsa_ieee_mode 1
		.amdhsa_fp16_overflow 0
		.amdhsa_workgroup_processor_mode 1
		.amdhsa_memory_ordered 1
		.amdhsa_forward_progress 0
		.amdhsa_shared_vgpr_count 0
		.amdhsa_exception_fp_ieee_invalid_op 0
		.amdhsa_exception_fp_denorm_src 0
		.amdhsa_exception_fp_ieee_div_zero 0
		.amdhsa_exception_fp_ieee_overflow 0
		.amdhsa_exception_fp_ieee_underflow 0
		.amdhsa_exception_fp_ieee_inexact 0
		.amdhsa_exception_int_div_zero 0
	.end_amdhsa_kernel
	.section	.text._ZN9rocsparseL19gebsrmvn_4xn_kernelILj128ELj2ELj64EdEEvi20rocsparse_direction_NS_24const_host_device_scalarIT2_EEPKiS6_PKS3_S8_S4_PS3_21rocsparse_index_base_b,"axG",@progbits,_ZN9rocsparseL19gebsrmvn_4xn_kernelILj128ELj2ELj64EdEEvi20rocsparse_direction_NS_24const_host_device_scalarIT2_EEPKiS6_PKS3_S8_S4_PS3_21rocsparse_index_base_b,comdat
.Lfunc_end46:
	.size	_ZN9rocsparseL19gebsrmvn_4xn_kernelILj128ELj2ELj64EdEEvi20rocsparse_direction_NS_24const_host_device_scalarIT2_EEPKiS6_PKS3_S8_S4_PS3_21rocsparse_index_base_b, .Lfunc_end46-_ZN9rocsparseL19gebsrmvn_4xn_kernelILj128ELj2ELj64EdEEvi20rocsparse_direction_NS_24const_host_device_scalarIT2_EEPKiS6_PKS3_S8_S4_PS3_21rocsparse_index_base_b
                                        ; -- End function
	.section	.AMDGPU.csdata,"",@progbits
; Kernel info:
; codeLenInByte = 2120
; NumSgprs: 18
; NumVgprs: 40
; ScratchSize: 0
; MemoryBound: 0
; FloatMode: 240
; IeeeMode: 1
; LDSByteSize: 0 bytes/workgroup (compile time only)
; SGPRBlocks: 2
; VGPRBlocks: 4
; NumSGPRsForWavesPerEU: 18
; NumVGPRsForWavesPerEU: 40
; Occupancy: 16
; WaveLimiterHint : 1
; COMPUTE_PGM_RSRC2:SCRATCH_EN: 0
; COMPUTE_PGM_RSRC2:USER_SGPR: 15
; COMPUTE_PGM_RSRC2:TRAP_HANDLER: 0
; COMPUTE_PGM_RSRC2:TGID_X_EN: 1
; COMPUTE_PGM_RSRC2:TGID_Y_EN: 0
; COMPUTE_PGM_RSRC2:TGID_Z_EN: 0
; COMPUTE_PGM_RSRC2:TIDIG_COMP_CNT: 0
	.section	.text._ZN9rocsparseL19gebsrmvn_4xn_kernelILj128ELj3ELj4EdEEvi20rocsparse_direction_NS_24const_host_device_scalarIT2_EEPKiS6_PKS3_S8_S4_PS3_21rocsparse_index_base_b,"axG",@progbits,_ZN9rocsparseL19gebsrmvn_4xn_kernelILj128ELj3ELj4EdEEvi20rocsparse_direction_NS_24const_host_device_scalarIT2_EEPKiS6_PKS3_S8_S4_PS3_21rocsparse_index_base_b,comdat
	.globl	_ZN9rocsparseL19gebsrmvn_4xn_kernelILj128ELj3ELj4EdEEvi20rocsparse_direction_NS_24const_host_device_scalarIT2_EEPKiS6_PKS3_S8_S4_PS3_21rocsparse_index_base_b ; -- Begin function _ZN9rocsparseL19gebsrmvn_4xn_kernelILj128ELj3ELj4EdEEvi20rocsparse_direction_NS_24const_host_device_scalarIT2_EEPKiS6_PKS3_S8_S4_PS3_21rocsparse_index_base_b
	.p2align	8
	.type	_ZN9rocsparseL19gebsrmvn_4xn_kernelILj128ELj3ELj4EdEEvi20rocsparse_direction_NS_24const_host_device_scalarIT2_EEPKiS6_PKS3_S8_S4_PS3_21rocsparse_index_base_b,@function
_ZN9rocsparseL19gebsrmvn_4xn_kernelILj128ELj3ELj4EdEEvi20rocsparse_direction_NS_24const_host_device_scalarIT2_EEPKiS6_PKS3_S8_S4_PS3_21rocsparse_index_base_b: ; @_ZN9rocsparseL19gebsrmvn_4xn_kernelILj128ELj3ELj4EdEEvi20rocsparse_direction_NS_24const_host_device_scalarIT2_EEPKiS6_PKS3_S8_S4_PS3_21rocsparse_index_base_b
; %bb.0:
	s_clause 0x2
	s_load_b64 s[12:13], s[0:1], 0x40
	s_load_b64 s[4:5], s[0:1], 0x8
	;; [unrolled: 1-line block ×3, first 2 shown]
	s_waitcnt lgkmcnt(0)
	s_bitcmp1_b32 s13, 0
	v_dual_mov_b32 v1, s4 :: v_dual_mov_b32 v2, s5
	s_cselect_b32 s6, -1, 0
	s_delay_alu instid0(SALU_CYCLE_1)
	s_and_b32 vcc_lo, exec_lo, s6
	s_xor_b32 s6, s6, -1
	s_cbranch_vccnz .LBB47_2
; %bb.1:
	v_dual_mov_b32 v1, s4 :: v_dual_mov_b32 v2, s5
	flat_load_b64 v[1:2], v[1:2]
.LBB47_2:
	v_dual_mov_b32 v4, s3 :: v_dual_mov_b32 v3, s2
	s_and_not1_b32 vcc_lo, exec_lo, s6
	s_cbranch_vccnz .LBB47_4
; %bb.3:
	v_dual_mov_b32 v4, s3 :: v_dual_mov_b32 v3, s2
	flat_load_b64 v[3:4], v[3:4]
.LBB47_4:
	s_waitcnt vmcnt(0) lgkmcnt(0)
	v_cmp_neq_f64_e32 vcc_lo, 0, v[1:2]
	v_cmp_neq_f64_e64 s2, 1.0, v[3:4]
	s_delay_alu instid0(VALU_DEP_1) | instskip(NEXT) | instid1(SALU_CYCLE_1)
	s_or_b32 s2, vcc_lo, s2
	s_and_saveexec_b32 s3, s2
	s_cbranch_execz .LBB47_23
; %bb.5:
	s_load_b64 s[2:3], s[0:1], 0x0
	v_lshrrev_b32_e32 v5, 2, v0
	s_delay_alu instid0(VALU_DEP_1) | instskip(SKIP_1) | instid1(VALU_DEP_1)
	v_lshl_or_b32 v5, s15, 5, v5
	s_waitcnt lgkmcnt(0)
	v_cmp_gt_i32_e32 vcc_lo, s2, v5
	s_and_b32 exec_lo, exec_lo, vcc_lo
	s_cbranch_execz .LBB47_23
; %bb.6:
	s_load_b256 s[4:11], s[0:1], 0x10
	v_ashrrev_i32_e32 v6, 31, v5
	v_and_b32_e32 v0, 3, v0
	s_cmp_lg_u32 s3, 0
	s_delay_alu instid0(VALU_DEP_2) | instskip(SKIP_1) | instid1(VALU_DEP_1)
	v_lshlrev_b64 v[6:7], 2, v[5:6]
	s_waitcnt lgkmcnt(0)
	v_add_co_u32 v6, vcc_lo, s4, v6
	s_delay_alu instid0(VALU_DEP_2) | instskip(SKIP_4) | instid1(VALU_DEP_2)
	v_add_co_ci_u32_e32 v7, vcc_lo, s5, v7, vcc_lo
	global_load_b64 v[6:7], v[6:7], off
	s_waitcnt vmcnt(0)
	v_subrev_nc_u32_e32 v6, s12, v6
	v_subrev_nc_u32_e32 v20, s12, v7
	v_add_nc_u32_e32 v12, v6, v0
	s_delay_alu instid0(VALU_DEP_1)
	v_cmp_lt_i32_e64 s2, v12, v20
	s_cbranch_scc0 .LBB47_12
; %bb.7:
	v_mov_b32_e32 v6, 0
	v_mov_b32_e32 v7, 0
	s_delay_alu instid0(VALU_DEP_1)
	v_dual_mov_b32 v9, v7 :: v_dual_mov_b32 v8, v6
	v_dual_mov_b32 v11, v7 :: v_dual_mov_b32 v10, v6
	;; [unrolled: 1-line block ×3, first 2 shown]
	s_and_saveexec_b32 s3, s2
	s_cbranch_execz .LBB47_11
; %bb.8:
	v_dual_mov_b32 v6, 0 :: v_dual_mov_b32 v17, 0
	v_dual_mov_b32 v7, 0 :: v_dual_mov_b32 v18, v12
	v_mul_lo_u32 v16, v12, 12
	s_mov_b32 s4, 0
	s_delay_alu instid0(VALU_DEP_2)
	v_dual_mov_b32 v9, v7 :: v_dual_mov_b32 v8, v6
	v_dual_mov_b32 v11, v7 :: v_dual_mov_b32 v10, v6
	;; [unrolled: 1-line block ×3, first 2 shown]
.LBB47_9:                               ; =>This Inner Loop Header: Depth=1
	v_ashrrev_i32_e32 v19, 31, v18
	v_dual_mov_b32 v42, v17 :: v_dual_add_nc_u32 v29, 4, v16
	v_dual_mov_b32 v30, v17 :: v_dual_add_nc_u32 v37, 8, v16
	s_delay_alu instid0(VALU_DEP_3) | instskip(SKIP_1) | instid1(VALU_DEP_3)
	v_lshlrev_b64 v[21:22], 2, v[18:19]
	v_add_nc_u32_e32 v18, 4, v18
	v_lshlrev_b64 v[29:30], 3, v[29:30]
	s_delay_alu instid0(VALU_DEP_3) | instskip(NEXT) | instid1(VALU_DEP_4)
	v_add_co_u32 v21, vcc_lo, s6, v21
	v_add_co_ci_u32_e32 v22, vcc_lo, s7, v22, vcc_lo
	global_load_b32 v13, v[21:22], off
	v_lshlrev_b64 v[21:22], 3, v[16:17]
	v_add_nc_u32_e32 v16, 48, v16
	s_delay_alu instid0(VALU_DEP_2) | instskip(NEXT) | instid1(VALU_DEP_3)
	v_add_co_u32 v25, vcc_lo, s8, v21
	v_add_co_ci_u32_e32 v26, vcc_lo, s9, v22, vcc_lo
	global_load_b128 v[21:24], v[25:26], off offset:16
	s_waitcnt vmcnt(1)
	v_subrev_nc_u32_e32 v13, s12, v13
	s_delay_alu instid0(VALU_DEP_1) | instskip(NEXT) | instid1(VALU_DEP_1)
	v_lshl_add_u32 v41, v13, 1, v13
	v_dual_mov_b32 v34, v17 :: v_dual_add_nc_u32 v33, 1, v41
	v_lshlrev_b64 v[27:28], 3, v[41:42]
	v_add_nc_u32_e32 v41, 2, v41
	s_delay_alu instid0(VALU_DEP_3) | instskip(NEXT) | instid1(VALU_DEP_3)
	v_lshlrev_b64 v[33:34], 3, v[33:34]
	v_add_co_u32 v31, vcc_lo, s10, v27
	s_delay_alu instid0(VALU_DEP_4)
	v_add_co_ci_u32_e32 v32, vcc_lo, s11, v28, vcc_lo
	global_load_b128 v[25:28], v[25:26], off
	global_load_b64 v[45:46], v[31:32], off
	v_add_co_u32 v35, vcc_lo, s8, v29
	v_add_co_ci_u32_e32 v36, vcc_lo, s9, v30, vcc_lo
	v_add_co_u32 v38, vcc_lo, s10, v33
	v_add_co_ci_u32_e32 v39, vcc_lo, s11, v34, vcc_lo
	s_clause 0x1
	global_load_b128 v[29:32], v[35:36], off offset:16
	global_load_b128 v[33:36], v[35:36], off
	global_load_b64 v[47:48], v[38:39], off
	v_mov_b32_e32 v38, v17
	v_lshlrev_b64 v[41:42], 3, v[41:42]
	s_delay_alu instid0(VALU_DEP_2) | instskip(NEXT) | instid1(VALU_DEP_1)
	v_lshlrev_b64 v[37:38], 3, v[37:38]
	v_add_co_u32 v43, vcc_lo, s8, v37
	s_delay_alu instid0(VALU_DEP_2) | instskip(NEXT) | instid1(VALU_DEP_4)
	v_add_co_ci_u32_e32 v44, vcc_lo, s9, v38, vcc_lo
	v_add_co_u32 v49, vcc_lo, s10, v41
	v_add_co_ci_u32_e32 v50, vcc_lo, s11, v42, vcc_lo
	s_clause 0x1
	global_load_b128 v[37:40], v[43:44], off offset:16
	global_load_b128 v[41:44], v[43:44], off
	global_load_b64 v[49:50], v[49:50], off
	v_cmp_ge_i32_e32 vcc_lo, v18, v20
	s_or_b32 s4, vcc_lo, s4
	s_waitcnt vmcnt(6)
	v_fma_f64 v[6:7], v[25:26], v[45:46], v[6:7]
	v_fma_f64 v[13:14], v[27:28], v[45:46], v[14:15]
	;; [unrolled: 1-line block ×4, first 2 shown]
	s_waitcnt vmcnt(3)
	s_delay_alu instid0(VALU_DEP_4) | instskip(NEXT) | instid1(VALU_DEP_4)
	v_fma_f64 v[6:7], v[33:34], v[47:48], v[6:7]
	v_fma_f64 v[13:14], v[35:36], v[47:48], v[13:14]
	s_delay_alu instid0(VALU_DEP_4) | instskip(NEXT) | instid1(VALU_DEP_4)
	v_fma_f64 v[10:11], v[29:30], v[47:48], v[10:11]
	v_fma_f64 v[8:9], v[31:32], v[47:48], v[8:9]
	s_waitcnt vmcnt(0)
	s_delay_alu instid0(VALU_DEP_4) | instskip(NEXT) | instid1(VALU_DEP_4)
	v_fma_f64 v[6:7], v[41:42], v[49:50], v[6:7]
	v_fma_f64 v[14:15], v[43:44], v[49:50], v[13:14]
	s_delay_alu instid0(VALU_DEP_4) | instskip(NEXT) | instid1(VALU_DEP_4)
	v_fma_f64 v[10:11], v[37:38], v[49:50], v[10:11]
	v_fma_f64 v[8:9], v[39:40], v[49:50], v[8:9]
	s_and_not1_b32 exec_lo, exec_lo, s4
	s_cbranch_execnz .LBB47_9
; %bb.10:
	s_or_b32 exec_lo, exec_lo, s4
.LBB47_11:
	s_delay_alu instid0(SALU_CYCLE_1)
	s_or_b32 exec_lo, exec_lo, s3
	s_cbranch_execz .LBB47_13
	s_branch .LBB47_18
.LBB47_12:
                                        ; implicit-def: $vgpr6_vgpr7
                                        ; implicit-def: $vgpr8_vgpr9
                                        ; implicit-def: $vgpr10_vgpr11
                                        ; implicit-def: $vgpr14_vgpr15
.LBB47_13:
	v_mov_b32_e32 v6, 0
	v_mov_b32_e32 v7, 0
	s_delay_alu instid0(VALU_DEP_1)
	v_dual_mov_b32 v9, v7 :: v_dual_mov_b32 v8, v6
	v_dual_mov_b32 v11, v7 :: v_dual_mov_b32 v10, v6
	;; [unrolled: 1-line block ×3, first 2 shown]
	s_and_saveexec_b32 s3, s2
	s_cbranch_execz .LBB47_17
; %bb.14:
	v_dual_mov_b32 v6, 0 :: v_dual_mov_b32 v19, 0
	v_mov_b32_e32 v7, 0
	v_mad_u64_u32 v[16:17], null, v12, 12, 11
	s_mov_b32 s2, 0
	s_delay_alu instid0(VALU_DEP_2)
	v_dual_mov_b32 v9, v7 :: v_dual_mov_b32 v8, v6
	v_dual_mov_b32 v11, v7 :: v_dual_mov_b32 v10, v6
	;; [unrolled: 1-line block ×3, first 2 shown]
.LBB47_15:                              ; =>This Inner Loop Header: Depth=1
	v_ashrrev_i32_e32 v13, 31, v12
	v_dual_mov_b32 v30, v19 :: v_dual_add_nc_u32 v21, -5, v16
	v_dual_mov_b32 v22, v19 :: v_dual_add_nc_u32 v23, -2, v16
	s_delay_alu instid0(VALU_DEP_3) | instskip(SKIP_2) | instid1(VALU_DEP_4)
	v_lshlrev_b64 v[17:18], 2, v[12:13]
	v_mov_b32_e32 v24, v19
	v_add_nc_u32_e32 v12, 4, v12
	v_lshlrev_b64 v[21:22], 3, v[21:22]
	s_delay_alu instid0(VALU_DEP_3) | instskip(SKIP_4) | instid1(VALU_DEP_1)
	v_lshlrev_b64 v[23:24], 3, v[23:24]
	v_add_co_u32 v17, vcc_lo, s6, v17
	v_add_co_ci_u32_e32 v18, vcc_lo, s7, v18, vcc_lo
	global_load_b32 v13, v[17:18], off
	v_dual_mov_b32 v17, v19 :: v_dual_add_nc_u32 v18, -11, v16
	v_lshlrev_b64 v[25:26], 3, v[18:19]
	s_delay_alu instid0(VALU_DEP_1) | instskip(NEXT) | instid1(VALU_DEP_2)
	v_add_co_u32 v25, vcc_lo, s8, v25
	v_add_co_ci_u32_e32 v26, vcc_lo, s9, v26, vcc_lo
	v_add_co_u32 v31, vcc_lo, s8, v21
	v_add_co_ci_u32_e32 v32, vcc_lo, s9, v22, vcc_lo
	;; [unrolled: 2-line block ×3, first 2 shown]
	s_clause 0x3
	global_load_b128 v[21:24], v[25:26], off offset:16
	global_load_b128 v[25:28], v[25:26], off
	global_load_b64 v[31:32], v[31:32], off
	global_load_b64 v[33:34], v[33:34], off
	s_waitcnt vmcnt(4)
	v_subrev_nc_u32_e32 v13, s12, v13
	s_delay_alu instid0(VALU_DEP_1) | instskip(NEXT) | instid1(VALU_DEP_1)
	v_lshl_add_u32 v29, v13, 1, v13
	v_lshlrev_b64 v[35:36], 3, v[29:30]
	v_add_nc_u32_e32 v18, 1, v29
	s_delay_alu instid0(VALU_DEP_1) | instskip(NEXT) | instid1(VALU_DEP_3)
	v_lshlrev_b64 v[37:38], 3, v[18:19]
	v_add_co_u32 v35, vcc_lo, s10, v35
	s_delay_alu instid0(VALU_DEP_4) | instskip(SKIP_1) | instid1(VALU_DEP_4)
	v_add_co_ci_u32_e32 v36, vcc_lo, s11, v36, vcc_lo
	v_add_nc_u32_e32 v18, -7, v16
	v_add_co_u32 v37, vcc_lo, s10, v37
	global_load_b64 v[35:36], v[35:36], off
	v_add_co_ci_u32_e32 v38, vcc_lo, s11, v38, vcc_lo
	v_lshlrev_b64 v[39:40], 3, v[18:19]
	v_add_nc_u32_e32 v18, -4, v16
	global_load_b64 v[37:38], v[37:38], off
	v_lshlrev_b64 v[41:42], 3, v[18:19]
	v_add_nc_u32_e32 v18, -1, v16
	v_add_co_u32 v39, vcc_lo, s8, v39
	v_add_co_ci_u32_e32 v40, vcc_lo, s9, v40, vcc_lo
	s_delay_alu instid0(VALU_DEP_3)
	v_lshlrev_b64 v[43:44], 3, v[18:19]
	v_add_co_u32 v41, vcc_lo, s8, v41
	v_add_co_ci_u32_e32 v42, vcc_lo, s9, v42, vcc_lo
	global_load_b64 v[39:40], v[39:40], off
	v_add_co_u32 v43, vcc_lo, s8, v43
	v_add_co_ci_u32_e32 v44, vcc_lo, s9, v44, vcc_lo
	s_clause 0x1
	global_load_b64 v[41:42], v[41:42], off
	global_load_b64 v[43:44], v[43:44], off
	v_lshlrev_b64 v[17:18], 3, v[16:17]
	s_delay_alu instid0(VALU_DEP_1) | instskip(NEXT) | instid1(VALU_DEP_2)
	v_add_co_u32 v45, vcc_lo, s8, v17
	v_add_co_ci_u32_e32 v46, vcc_lo, s9, v18, vcc_lo
	v_add_nc_u32_e32 v18, 2, v29
	s_delay_alu instid0(VALU_DEP_1) | instskip(SKIP_1) | instid1(VALU_DEP_1)
	v_lshlrev_b64 v[29:30], 3, v[18:19]
	v_add_nc_u32_e32 v18, -6, v16
	v_lshlrev_b64 v[47:48], 3, v[18:19]
	v_add_nc_u32_e32 v18, -3, v16
	s_delay_alu instid0(VALU_DEP_4) | instskip(SKIP_1) | instid1(VALU_DEP_3)
	v_add_co_u32 v29, vcc_lo, s10, v29
	v_add_co_ci_u32_e32 v30, vcc_lo, s11, v30, vcc_lo
	v_lshlrev_b64 v[17:18], 3, v[18:19]
	v_add_co_u32 v47, vcc_lo, s8, v47
	v_add_co_ci_u32_e32 v48, vcc_lo, s9, v48, vcc_lo
	v_add_nc_u32_e32 v16, 48, v16
	s_delay_alu instid0(VALU_DEP_4)
	v_add_co_u32 v17, vcc_lo, s8, v17
	v_add_co_ci_u32_e32 v18, vcc_lo, s9, v18, vcc_lo
	global_load_b64 v[29:30], v[29:30], off
	s_clause 0x2
	global_load_b64 v[47:48], v[47:48], off
	global_load_b64 v[17:18], v[17:18], off
	;; [unrolled: 1-line block ×3, first 2 shown]
	v_cmp_ge_i32_e32 vcc_lo, v12, v20
	s_or_b32 s2, vcc_lo, s2
	s_waitcnt vmcnt(8)
	v_fma_f64 v[6:7], v[25:26], v[35:36], v[6:7]
	v_fma_f64 v[13:14], v[23:24], v[35:36], v[14:15]
	;; [unrolled: 1-line block ×4, first 2 shown]
	s_waitcnt vmcnt(7)
	s_delay_alu instid0(VALU_DEP_4) | instskip(SKIP_1) | instid1(VALU_DEP_4)
	v_fma_f64 v[6:7], v[27:28], v[37:38], v[6:7]
	s_waitcnt vmcnt(6)
	v_fma_f64 v[13:14], v[39:40], v[37:38], v[13:14]
	s_waitcnt vmcnt(5)
	s_delay_alu instid0(VALU_DEP_4) | instskip(SKIP_1) | instid1(VALU_DEP_4)
	v_fma_f64 v[10:11], v[41:42], v[37:38], v[10:11]
	s_waitcnt vmcnt(4)
	v_fma_f64 v[8:9], v[43:44], v[37:38], v[8:9]
	;; [unrolled: 5-line block ×4, first 2 shown]
	s_and_not1_b32 exec_lo, exec_lo, s2
	s_cbranch_execnz .LBB47_15
; %bb.16:
	s_or_b32 exec_lo, exec_lo, s2
.LBB47_17:
	s_delay_alu instid0(SALU_CYCLE_1)
	s_or_b32 exec_lo, exec_lo, s3
.LBB47_18:
	v_mbcnt_lo_u32_b32 v22, -1, 0
	s_delay_alu instid0(VALU_DEP_1) | instskip(NEXT) | instid1(VALU_DEP_1)
	v_xor_b32_e32 v12, 2, v22
	v_cmp_gt_i32_e32 vcc_lo, 32, v12
	v_cndmask_b32_e32 v12, v22, v12, vcc_lo
	s_delay_alu instid0(VALU_DEP_1)
	v_lshlrev_b32_e32 v21, 2, v12
	ds_bpermute_b32 v12, v21, v6
	ds_bpermute_b32 v13, v21, v7
	;; [unrolled: 1-line block ×8, first 2 shown]
	s_waitcnt lgkmcnt(6)
	v_add_f64 v[12:13], v[6:7], v[12:13]
	s_waitcnt lgkmcnt(4)
	v_add_f64 v[16:17], v[14:15], v[16:17]
	;; [unrolled: 2-line block ×4, first 2 shown]
	v_xor_b32_e32 v8, 1, v22
	s_delay_alu instid0(VALU_DEP_1) | instskip(SKIP_2) | instid1(VALU_DEP_2)
	v_cmp_gt_i32_e32 vcc_lo, 32, v8
	v_cndmask_b32_e32 v8, v22, v8, vcc_lo
	v_cmp_eq_u32_e32 vcc_lo, 3, v0
	v_lshlrev_b32_e32 v19, 2, v8
	ds_bpermute_b32 v20, v19, v12
	ds_bpermute_b32 v21, v19, v13
	;; [unrolled: 1-line block ×8, first 2 shown]
	s_and_b32 exec_lo, exec_lo, vcc_lo
	s_cbranch_execz .LBB47_23
; %bb.19:
	s_waitcnt lgkmcnt(6)
	v_add_f64 v[12:13], v[12:13], v[20:21]
	s_waitcnt lgkmcnt(4)
	v_add_f64 v[10:11], v[16:17], v[10:11]
	;; [unrolled: 2-line block ×4, first 2 shown]
	s_load_b64 s[0:1], s[0:1], 0x38
	s_mov_b32 s2, exec_lo
	v_cmpx_eq_f64_e32 0, v[3:4]
	s_xor_b32 s2, exec_lo, s2
	s_cbranch_execz .LBB47_21
; %bb.20:
	v_mul_f64 v[12:13], v[1:2], v[12:13]
	v_mul_f64 v[14:15], v[1:2], v[10:11]
	v_mul_f64 v[8:9], v[1:2], v[8:9]
	v_mul_f64 v[10:11], v[1:2], v[6:7]
	v_lshlrev_b32_e32 v0, 2, v5
                                        ; implicit-def: $vgpr5
                                        ; implicit-def: $vgpr3_vgpr4
                                        ; implicit-def: $vgpr6_vgpr7
	s_delay_alu instid0(VALU_DEP_1) | instskip(NEXT) | instid1(VALU_DEP_1)
	v_ashrrev_i32_e32 v1, 31, v0
	v_lshlrev_b64 v[0:1], 3, v[0:1]
	s_waitcnt lgkmcnt(0)
	s_delay_alu instid0(VALU_DEP_1) | instskip(NEXT) | instid1(VALU_DEP_2)
	v_add_co_u32 v0, vcc_lo, s0, v0
	v_add_co_ci_u32_e32 v1, vcc_lo, s1, v1, vcc_lo
	s_clause 0x1
	global_store_b128 v[0:1], v[12:15], off
	global_store_b128 v[0:1], v[8:11], off offset:16
                                        ; implicit-def: $vgpr1_vgpr2
                                        ; implicit-def: $vgpr12_vgpr13
                                        ; implicit-def: $vgpr10_vgpr11
                                        ; implicit-def: $vgpr8_vgpr9
.LBB47_21:
	s_and_not1_saveexec_b32 s2, s2
	s_cbranch_execz .LBB47_23
; %bb.22:
	v_lshlrev_b32_e32 v14, 2, v5
	v_mul_f64 v[12:13], v[1:2], v[12:13]
	v_mul_f64 v[10:11], v[1:2], v[10:11]
	;; [unrolled: 1-line block ×4, first 2 shown]
	v_ashrrev_i32_e32 v15, 31, v14
	s_delay_alu instid0(VALU_DEP_1) | instskip(SKIP_1) | instid1(VALU_DEP_1)
	v_lshlrev_b64 v[14:15], 3, v[14:15]
	s_waitcnt lgkmcnt(0)
	v_add_co_u32 v22, vcc_lo, s0, v14
	s_delay_alu instid0(VALU_DEP_2)
	v_add_co_ci_u32_e32 v23, vcc_lo, s1, v15, vcc_lo
	s_clause 0x1
	global_load_b128 v[14:17], v[22:23], off
	global_load_b128 v[18:21], v[22:23], off offset:16
	s_waitcnt vmcnt(1)
	v_fma_f64 v[5:6], v[3:4], v[14:15], v[12:13]
	v_fma_f64 v[7:8], v[3:4], v[16:17], v[10:11]
	s_waitcnt vmcnt(0)
	v_fma_f64 v[0:1], v[3:4], v[18:19], v[24:25]
	v_fma_f64 v[2:3], v[3:4], v[20:21], v[26:27]
	s_clause 0x1
	global_store_b128 v[22:23], v[5:8], off
	global_store_b128 v[22:23], v[0:3], off offset:16
.LBB47_23:
	s_nop 0
	s_sendmsg sendmsg(MSG_DEALLOC_VGPRS)
	s_endpgm
	.section	.rodata,"a",@progbits
	.p2align	6, 0x0
	.amdhsa_kernel _ZN9rocsparseL19gebsrmvn_4xn_kernelILj128ELj3ELj4EdEEvi20rocsparse_direction_NS_24const_host_device_scalarIT2_EEPKiS6_PKS3_S8_S4_PS3_21rocsparse_index_base_b
		.amdhsa_group_segment_fixed_size 0
		.amdhsa_private_segment_fixed_size 0
		.amdhsa_kernarg_size 72
		.amdhsa_user_sgpr_count 15
		.amdhsa_user_sgpr_dispatch_ptr 0
		.amdhsa_user_sgpr_queue_ptr 0
		.amdhsa_user_sgpr_kernarg_segment_ptr 1
		.amdhsa_user_sgpr_dispatch_id 0
		.amdhsa_user_sgpr_private_segment_size 0
		.amdhsa_wavefront_size32 1
		.amdhsa_uses_dynamic_stack 0
		.amdhsa_enable_private_segment 0
		.amdhsa_system_sgpr_workgroup_id_x 1
		.amdhsa_system_sgpr_workgroup_id_y 0
		.amdhsa_system_sgpr_workgroup_id_z 0
		.amdhsa_system_sgpr_workgroup_info 0
		.amdhsa_system_vgpr_workitem_id 0
		.amdhsa_next_free_vgpr 51
		.amdhsa_next_free_sgpr 16
		.amdhsa_reserve_vcc 1
		.amdhsa_float_round_mode_32 0
		.amdhsa_float_round_mode_16_64 0
		.amdhsa_float_denorm_mode_32 3
		.amdhsa_float_denorm_mode_16_64 3
		.amdhsa_dx10_clamp 1
		.amdhsa_ieee_mode 1
		.amdhsa_fp16_overflow 0
		.amdhsa_workgroup_processor_mode 1
		.amdhsa_memory_ordered 1
		.amdhsa_forward_progress 0
		.amdhsa_shared_vgpr_count 0
		.amdhsa_exception_fp_ieee_invalid_op 0
		.amdhsa_exception_fp_denorm_src 0
		.amdhsa_exception_fp_ieee_div_zero 0
		.amdhsa_exception_fp_ieee_overflow 0
		.amdhsa_exception_fp_ieee_underflow 0
		.amdhsa_exception_fp_ieee_inexact 0
		.amdhsa_exception_int_div_zero 0
	.end_amdhsa_kernel
	.section	.text._ZN9rocsparseL19gebsrmvn_4xn_kernelILj128ELj3ELj4EdEEvi20rocsparse_direction_NS_24const_host_device_scalarIT2_EEPKiS6_PKS3_S8_S4_PS3_21rocsparse_index_base_b,"axG",@progbits,_ZN9rocsparseL19gebsrmvn_4xn_kernelILj128ELj3ELj4EdEEvi20rocsparse_direction_NS_24const_host_device_scalarIT2_EEPKiS6_PKS3_S8_S4_PS3_21rocsparse_index_base_b,comdat
.Lfunc_end47:
	.size	_ZN9rocsparseL19gebsrmvn_4xn_kernelILj128ELj3ELj4EdEEvi20rocsparse_direction_NS_24const_host_device_scalarIT2_EEPKiS6_PKS3_S8_S4_PS3_21rocsparse_index_base_b, .Lfunc_end47-_ZN9rocsparseL19gebsrmvn_4xn_kernelILj128ELj3ELj4EdEEvi20rocsparse_direction_NS_24const_host_device_scalarIT2_EEPKiS6_PKS3_S8_S4_PS3_21rocsparse_index_base_b
                                        ; -- End function
	.section	.AMDGPU.csdata,"",@progbits
; Kernel info:
; codeLenInByte = 2216
; NumSgprs: 18
; NumVgprs: 51
; ScratchSize: 0
; MemoryBound: 0
; FloatMode: 240
; IeeeMode: 1
; LDSByteSize: 0 bytes/workgroup (compile time only)
; SGPRBlocks: 2
; VGPRBlocks: 6
; NumSGPRsForWavesPerEU: 18
; NumVGPRsForWavesPerEU: 51
; Occupancy: 16
; WaveLimiterHint : 1
; COMPUTE_PGM_RSRC2:SCRATCH_EN: 0
; COMPUTE_PGM_RSRC2:USER_SGPR: 15
; COMPUTE_PGM_RSRC2:TRAP_HANDLER: 0
; COMPUTE_PGM_RSRC2:TGID_X_EN: 1
; COMPUTE_PGM_RSRC2:TGID_Y_EN: 0
; COMPUTE_PGM_RSRC2:TGID_Z_EN: 0
; COMPUTE_PGM_RSRC2:TIDIG_COMP_CNT: 0
	.section	.text._ZN9rocsparseL19gebsrmvn_4xn_kernelILj128ELj3ELj8EdEEvi20rocsparse_direction_NS_24const_host_device_scalarIT2_EEPKiS6_PKS3_S8_S4_PS3_21rocsparse_index_base_b,"axG",@progbits,_ZN9rocsparseL19gebsrmvn_4xn_kernelILj128ELj3ELj8EdEEvi20rocsparse_direction_NS_24const_host_device_scalarIT2_EEPKiS6_PKS3_S8_S4_PS3_21rocsparse_index_base_b,comdat
	.globl	_ZN9rocsparseL19gebsrmvn_4xn_kernelILj128ELj3ELj8EdEEvi20rocsparse_direction_NS_24const_host_device_scalarIT2_EEPKiS6_PKS3_S8_S4_PS3_21rocsparse_index_base_b ; -- Begin function _ZN9rocsparseL19gebsrmvn_4xn_kernelILj128ELj3ELj8EdEEvi20rocsparse_direction_NS_24const_host_device_scalarIT2_EEPKiS6_PKS3_S8_S4_PS3_21rocsparse_index_base_b
	.p2align	8
	.type	_ZN9rocsparseL19gebsrmvn_4xn_kernelILj128ELj3ELj8EdEEvi20rocsparse_direction_NS_24const_host_device_scalarIT2_EEPKiS6_PKS3_S8_S4_PS3_21rocsparse_index_base_b,@function
_ZN9rocsparseL19gebsrmvn_4xn_kernelILj128ELj3ELj8EdEEvi20rocsparse_direction_NS_24const_host_device_scalarIT2_EEPKiS6_PKS3_S8_S4_PS3_21rocsparse_index_base_b: ; @_ZN9rocsparseL19gebsrmvn_4xn_kernelILj128ELj3ELj8EdEEvi20rocsparse_direction_NS_24const_host_device_scalarIT2_EEPKiS6_PKS3_S8_S4_PS3_21rocsparse_index_base_b
; %bb.0:
	s_clause 0x2
	s_load_b64 s[12:13], s[0:1], 0x40
	s_load_b64 s[4:5], s[0:1], 0x8
	;; [unrolled: 1-line block ×3, first 2 shown]
	s_waitcnt lgkmcnt(0)
	s_bitcmp1_b32 s13, 0
	v_dual_mov_b32 v1, s4 :: v_dual_mov_b32 v2, s5
	s_cselect_b32 s6, -1, 0
	s_delay_alu instid0(SALU_CYCLE_1)
	s_and_b32 vcc_lo, exec_lo, s6
	s_xor_b32 s6, s6, -1
	s_cbranch_vccnz .LBB48_2
; %bb.1:
	v_dual_mov_b32 v1, s4 :: v_dual_mov_b32 v2, s5
	flat_load_b64 v[1:2], v[1:2]
.LBB48_2:
	v_dual_mov_b32 v4, s3 :: v_dual_mov_b32 v3, s2
	s_and_not1_b32 vcc_lo, exec_lo, s6
	s_cbranch_vccnz .LBB48_4
; %bb.3:
	v_dual_mov_b32 v4, s3 :: v_dual_mov_b32 v3, s2
	flat_load_b64 v[3:4], v[3:4]
.LBB48_4:
	s_waitcnt vmcnt(0) lgkmcnt(0)
	v_cmp_neq_f64_e32 vcc_lo, 0, v[1:2]
	v_cmp_neq_f64_e64 s2, 1.0, v[3:4]
	s_delay_alu instid0(VALU_DEP_1) | instskip(NEXT) | instid1(SALU_CYCLE_1)
	s_or_b32 s2, vcc_lo, s2
	s_and_saveexec_b32 s3, s2
	s_cbranch_execz .LBB48_23
; %bb.5:
	s_load_b64 s[2:3], s[0:1], 0x0
	v_lshrrev_b32_e32 v5, 3, v0
	s_delay_alu instid0(VALU_DEP_1) | instskip(SKIP_1) | instid1(VALU_DEP_1)
	v_lshl_or_b32 v5, s15, 4, v5
	s_waitcnt lgkmcnt(0)
	v_cmp_gt_i32_e32 vcc_lo, s2, v5
	s_and_b32 exec_lo, exec_lo, vcc_lo
	s_cbranch_execz .LBB48_23
; %bb.6:
	s_load_b256 s[4:11], s[0:1], 0x10
	v_ashrrev_i32_e32 v6, 31, v5
	v_and_b32_e32 v0, 7, v0
	s_cmp_lg_u32 s3, 0
	s_delay_alu instid0(VALU_DEP_2) | instskip(SKIP_1) | instid1(VALU_DEP_1)
	v_lshlrev_b64 v[6:7], 2, v[5:6]
	s_waitcnt lgkmcnt(0)
	v_add_co_u32 v6, vcc_lo, s4, v6
	s_delay_alu instid0(VALU_DEP_2) | instskip(SKIP_4) | instid1(VALU_DEP_2)
	v_add_co_ci_u32_e32 v7, vcc_lo, s5, v7, vcc_lo
	global_load_b64 v[6:7], v[6:7], off
	s_waitcnt vmcnt(0)
	v_subrev_nc_u32_e32 v6, s12, v6
	v_subrev_nc_u32_e32 v20, s12, v7
	v_add_nc_u32_e32 v14, v6, v0
	s_delay_alu instid0(VALU_DEP_1)
	v_cmp_lt_i32_e64 s2, v14, v20
	s_cbranch_scc0 .LBB48_12
; %bb.7:
	v_mov_b32_e32 v6, 0
	v_mov_b32_e32 v7, 0
	s_delay_alu instid0(VALU_DEP_1)
	v_dual_mov_b32 v9, v7 :: v_dual_mov_b32 v8, v6
	v_dual_mov_b32 v11, v7 :: v_dual_mov_b32 v10, v6
	;; [unrolled: 1-line block ×3, first 2 shown]
	s_and_saveexec_b32 s3, s2
	s_cbranch_execz .LBB48_11
; %bb.8:
	v_dual_mov_b32 v6, 0 :: v_dual_mov_b32 v17, v14
	v_dual_mov_b32 v7, 0 :: v_dual_mov_b32 v16, 0
	v_mul_lo_u32 v15, v14, 12
	s_mov_b32 s4, 0
	s_delay_alu instid0(VALU_DEP_2)
	v_dual_mov_b32 v9, v7 :: v_dual_mov_b32 v8, v6
	v_dual_mov_b32 v11, v7 :: v_dual_mov_b32 v10, v6
	;; [unrolled: 1-line block ×3, first 2 shown]
.LBB48_9:                               ; =>This Inner Loop Header: Depth=1
	v_ashrrev_i32_e32 v18, 31, v17
	v_dual_mov_b32 v42, v16 :: v_dual_add_nc_u32 v29, 4, v15
	v_dual_mov_b32 v30, v16 :: v_dual_add_nc_u32 v37, 8, v15
	s_delay_alu instid0(VALU_DEP_3) | instskip(SKIP_1) | instid1(VALU_DEP_3)
	v_lshlrev_b64 v[18:19], 2, v[17:18]
	v_add_nc_u32_e32 v17, 8, v17
	v_lshlrev_b64 v[29:30], 3, v[29:30]
	s_delay_alu instid0(VALU_DEP_3) | instskip(NEXT) | instid1(VALU_DEP_4)
	v_add_co_u32 v18, vcc_lo, s6, v18
	v_add_co_ci_u32_e32 v19, vcc_lo, s7, v19, vcc_lo
	global_load_b32 v25, v[18:19], off
	v_lshlrev_b64 v[18:19], 3, v[15:16]
	v_add_nc_u32_e32 v15, 0x60, v15
	s_delay_alu instid0(VALU_DEP_2) | instskip(NEXT) | instid1(VALU_DEP_3)
	v_add_co_u32 v18, vcc_lo, s8, v18
	v_add_co_ci_u32_e32 v19, vcc_lo, s9, v19, vcc_lo
	global_load_b128 v[21:24], v[18:19], off offset:16
	s_waitcnt vmcnt(1)
	v_subrev_nc_u32_e32 v25, s12, v25
	s_delay_alu instid0(VALU_DEP_1) | instskip(NEXT) | instid1(VALU_DEP_1)
	v_lshl_add_u32 v41, v25, 1, v25
	v_dual_mov_b32 v34, v16 :: v_dual_add_nc_u32 v33, 1, v41
	v_lshlrev_b64 v[25:26], 3, v[41:42]
	v_add_nc_u32_e32 v41, 2, v41
	s_delay_alu instid0(VALU_DEP_3) | instskip(NEXT) | instid1(VALU_DEP_3)
	v_lshlrev_b64 v[33:34], 3, v[33:34]
	v_add_co_u32 v31, vcc_lo, s10, v25
	s_delay_alu instid0(VALU_DEP_4)
	v_add_co_ci_u32_e32 v32, vcc_lo, s11, v26, vcc_lo
	global_load_b128 v[25:28], v[18:19], off
	global_load_b64 v[18:19], v[31:32], off
	v_add_co_u32 v35, vcc_lo, s8, v29
	v_add_co_ci_u32_e32 v36, vcc_lo, s9, v30, vcc_lo
	v_add_co_u32 v38, vcc_lo, s10, v33
	v_add_co_ci_u32_e32 v39, vcc_lo, s11, v34, vcc_lo
	s_clause 0x1
	global_load_b128 v[29:32], v[35:36], off offset:16
	global_load_b128 v[33:36], v[35:36], off
	global_load_b64 v[45:46], v[38:39], off
	v_mov_b32_e32 v38, v16
	v_lshlrev_b64 v[41:42], 3, v[41:42]
	s_delay_alu instid0(VALU_DEP_2) | instskip(NEXT) | instid1(VALU_DEP_1)
	v_lshlrev_b64 v[37:38], 3, v[37:38]
	v_add_co_u32 v43, vcc_lo, s8, v37
	s_delay_alu instid0(VALU_DEP_2) | instskip(NEXT) | instid1(VALU_DEP_4)
	v_add_co_ci_u32_e32 v44, vcc_lo, s9, v38, vcc_lo
	v_add_co_u32 v47, vcc_lo, s10, v41
	v_add_co_ci_u32_e32 v48, vcc_lo, s11, v42, vcc_lo
	s_clause 0x1
	global_load_b128 v[37:40], v[43:44], off offset:16
	global_load_b128 v[41:44], v[43:44], off
	global_load_b64 v[47:48], v[47:48], off
	v_cmp_ge_i32_e32 vcc_lo, v17, v20
	s_or_b32 s4, vcc_lo, s4
	s_waitcnt vmcnt(6)
	v_fma_f64 v[6:7], v[25:26], v[18:19], v[6:7]
	v_fma_f64 v[12:13], v[27:28], v[18:19], v[12:13]
	;; [unrolled: 1-line block ×4, first 2 shown]
	s_waitcnt vmcnt(3)
	s_delay_alu instid0(VALU_DEP_4) | instskip(NEXT) | instid1(VALU_DEP_4)
	v_fma_f64 v[6:7], v[33:34], v[45:46], v[6:7]
	v_fma_f64 v[12:13], v[35:36], v[45:46], v[12:13]
	s_delay_alu instid0(VALU_DEP_4) | instskip(NEXT) | instid1(VALU_DEP_4)
	v_fma_f64 v[10:11], v[29:30], v[45:46], v[10:11]
	v_fma_f64 v[8:9], v[31:32], v[45:46], v[8:9]
	s_waitcnt vmcnt(0)
	s_delay_alu instid0(VALU_DEP_4) | instskip(NEXT) | instid1(VALU_DEP_4)
	v_fma_f64 v[6:7], v[41:42], v[47:48], v[6:7]
	v_fma_f64 v[12:13], v[43:44], v[47:48], v[12:13]
	s_delay_alu instid0(VALU_DEP_4) | instskip(NEXT) | instid1(VALU_DEP_4)
	v_fma_f64 v[10:11], v[37:38], v[47:48], v[10:11]
	v_fma_f64 v[8:9], v[39:40], v[47:48], v[8:9]
	s_and_not1_b32 exec_lo, exec_lo, s4
	s_cbranch_execnz .LBB48_9
; %bb.10:
	s_or_b32 exec_lo, exec_lo, s4
.LBB48_11:
	s_delay_alu instid0(SALU_CYCLE_1)
	s_or_b32 exec_lo, exec_lo, s3
	s_cbranch_execz .LBB48_13
	s_branch .LBB48_18
.LBB48_12:
                                        ; implicit-def: $vgpr6_vgpr7
                                        ; implicit-def: $vgpr8_vgpr9
                                        ; implicit-def: $vgpr10_vgpr11
                                        ; implicit-def: $vgpr12_vgpr13
.LBB48_13:
	v_mov_b32_e32 v6, 0
	v_mov_b32_e32 v7, 0
	s_delay_alu instid0(VALU_DEP_1)
	v_dual_mov_b32 v9, v7 :: v_dual_mov_b32 v8, v6
	v_dual_mov_b32 v11, v7 :: v_dual_mov_b32 v10, v6
	v_dual_mov_b32 v13, v7 :: v_dual_mov_b32 v12, v6
	s_and_saveexec_b32 s3, s2
	s_cbranch_execz .LBB48_17
; %bb.14:
	v_dual_mov_b32 v6, 0 :: v_dual_mov_b32 v19, 0
	v_mov_b32_e32 v7, 0
	v_mad_u64_u32 v[16:17], null, v14, 12, 11
	s_mov_b32 s2, 0
	s_delay_alu instid0(VALU_DEP_2)
	v_dual_mov_b32 v9, v7 :: v_dual_mov_b32 v8, v6
	v_dual_mov_b32 v11, v7 :: v_dual_mov_b32 v10, v6
	;; [unrolled: 1-line block ×3, first 2 shown]
.LBB48_15:                              ; =>This Inner Loop Header: Depth=1
	v_ashrrev_i32_e32 v15, 31, v14
	v_dual_mov_b32 v30, v19 :: v_dual_add_nc_u32 v21, -5, v16
	v_dual_mov_b32 v22, v19 :: v_dual_add_nc_u32 v23, -2, v16
	s_delay_alu instid0(VALU_DEP_3) | instskip(SKIP_2) | instid1(VALU_DEP_4)
	v_lshlrev_b64 v[17:18], 2, v[14:15]
	v_mov_b32_e32 v24, v19
	v_add_nc_u32_e32 v14, 8, v14
	v_lshlrev_b64 v[21:22], 3, v[21:22]
	s_delay_alu instid0(VALU_DEP_3) | instskip(SKIP_4) | instid1(VALU_DEP_1)
	v_lshlrev_b64 v[23:24], 3, v[23:24]
	v_add_co_u32 v17, vcc_lo, s6, v17
	v_add_co_ci_u32_e32 v18, vcc_lo, s7, v18, vcc_lo
	global_load_b32 v15, v[17:18], off
	v_dual_mov_b32 v17, v19 :: v_dual_add_nc_u32 v18, -11, v16
	v_lshlrev_b64 v[25:26], 3, v[18:19]
	s_delay_alu instid0(VALU_DEP_1) | instskip(NEXT) | instid1(VALU_DEP_2)
	v_add_co_u32 v25, vcc_lo, s8, v25
	v_add_co_ci_u32_e32 v26, vcc_lo, s9, v26, vcc_lo
	v_add_co_u32 v31, vcc_lo, s8, v21
	v_add_co_ci_u32_e32 v32, vcc_lo, s9, v22, vcc_lo
	;; [unrolled: 2-line block ×3, first 2 shown]
	s_clause 0x3
	global_load_b128 v[21:24], v[25:26], off offset:16
	global_load_b128 v[25:28], v[25:26], off
	global_load_b64 v[31:32], v[31:32], off
	global_load_b64 v[33:34], v[33:34], off
	s_waitcnt vmcnt(4)
	v_subrev_nc_u32_e32 v15, s12, v15
	s_delay_alu instid0(VALU_DEP_1) | instskip(NEXT) | instid1(VALU_DEP_1)
	v_lshl_add_u32 v29, v15, 1, v15
	v_lshlrev_b64 v[35:36], 3, v[29:30]
	v_add_nc_u32_e32 v18, 1, v29
	s_delay_alu instid0(VALU_DEP_1) | instskip(NEXT) | instid1(VALU_DEP_3)
	v_lshlrev_b64 v[37:38], 3, v[18:19]
	v_add_co_u32 v35, vcc_lo, s10, v35
	s_delay_alu instid0(VALU_DEP_4) | instskip(SKIP_1) | instid1(VALU_DEP_4)
	v_add_co_ci_u32_e32 v36, vcc_lo, s11, v36, vcc_lo
	v_add_nc_u32_e32 v18, -7, v16
	v_add_co_u32 v37, vcc_lo, s10, v37
	global_load_b64 v[35:36], v[35:36], off
	v_add_co_ci_u32_e32 v38, vcc_lo, s11, v38, vcc_lo
	v_lshlrev_b64 v[39:40], 3, v[18:19]
	v_add_nc_u32_e32 v18, -4, v16
	global_load_b64 v[37:38], v[37:38], off
	v_lshlrev_b64 v[41:42], 3, v[18:19]
	v_add_nc_u32_e32 v18, -1, v16
	v_add_co_u32 v39, vcc_lo, s8, v39
	v_add_co_ci_u32_e32 v40, vcc_lo, s9, v40, vcc_lo
	s_delay_alu instid0(VALU_DEP_3)
	v_lshlrev_b64 v[43:44], 3, v[18:19]
	v_add_co_u32 v41, vcc_lo, s8, v41
	v_add_co_ci_u32_e32 v42, vcc_lo, s9, v42, vcc_lo
	global_load_b64 v[39:40], v[39:40], off
	v_add_co_u32 v43, vcc_lo, s8, v43
	v_add_co_ci_u32_e32 v44, vcc_lo, s9, v44, vcc_lo
	s_clause 0x1
	global_load_b64 v[41:42], v[41:42], off
	global_load_b64 v[43:44], v[43:44], off
	v_lshlrev_b64 v[17:18], 3, v[16:17]
	s_delay_alu instid0(VALU_DEP_1) | instskip(NEXT) | instid1(VALU_DEP_2)
	v_add_co_u32 v45, vcc_lo, s8, v17
	v_add_co_ci_u32_e32 v46, vcc_lo, s9, v18, vcc_lo
	v_add_nc_u32_e32 v18, 2, v29
	s_delay_alu instid0(VALU_DEP_1) | instskip(SKIP_1) | instid1(VALU_DEP_1)
	v_lshlrev_b64 v[29:30], 3, v[18:19]
	v_add_nc_u32_e32 v18, -6, v16
	v_lshlrev_b64 v[47:48], 3, v[18:19]
	v_add_nc_u32_e32 v18, -3, v16
	s_delay_alu instid0(VALU_DEP_4) | instskip(SKIP_1) | instid1(VALU_DEP_3)
	v_add_co_u32 v29, vcc_lo, s10, v29
	v_add_co_ci_u32_e32 v30, vcc_lo, s11, v30, vcc_lo
	v_lshlrev_b64 v[17:18], 3, v[18:19]
	v_add_co_u32 v47, vcc_lo, s8, v47
	v_add_co_ci_u32_e32 v48, vcc_lo, s9, v48, vcc_lo
	v_add_nc_u32_e32 v16, 0x60, v16
	s_delay_alu instid0(VALU_DEP_4)
	v_add_co_u32 v17, vcc_lo, s8, v17
	v_add_co_ci_u32_e32 v18, vcc_lo, s9, v18, vcc_lo
	global_load_b64 v[29:30], v[29:30], off
	s_clause 0x2
	global_load_b64 v[47:48], v[47:48], off
	global_load_b64 v[17:18], v[17:18], off
	;; [unrolled: 1-line block ×3, first 2 shown]
	v_cmp_ge_i32_e32 vcc_lo, v14, v20
	s_or_b32 s2, vcc_lo, s2
	s_waitcnt vmcnt(8)
	v_fma_f64 v[6:7], v[25:26], v[35:36], v[6:7]
	v_fma_f64 v[12:13], v[23:24], v[35:36], v[12:13]
	;; [unrolled: 1-line block ×4, first 2 shown]
	s_waitcnt vmcnt(7)
	s_delay_alu instid0(VALU_DEP_4) | instskip(SKIP_1) | instid1(VALU_DEP_4)
	v_fma_f64 v[6:7], v[27:28], v[37:38], v[6:7]
	s_waitcnt vmcnt(6)
	v_fma_f64 v[12:13], v[39:40], v[37:38], v[12:13]
	s_waitcnt vmcnt(5)
	s_delay_alu instid0(VALU_DEP_4) | instskip(SKIP_1) | instid1(VALU_DEP_4)
	v_fma_f64 v[10:11], v[41:42], v[37:38], v[10:11]
	s_waitcnt vmcnt(4)
	v_fma_f64 v[8:9], v[43:44], v[37:38], v[8:9]
	;; [unrolled: 5-line block ×4, first 2 shown]
	s_and_not1_b32 exec_lo, exec_lo, s2
	s_cbranch_execnz .LBB48_15
; %bb.16:
	s_or_b32 exec_lo, exec_lo, s2
.LBB48_17:
	s_delay_alu instid0(SALU_CYCLE_1)
	s_or_b32 exec_lo, exec_lo, s3
.LBB48_18:
	v_mbcnt_lo_u32_b32 v24, -1, 0
	s_delay_alu instid0(VALU_DEP_1) | instskip(NEXT) | instid1(VALU_DEP_1)
	v_xor_b32_e32 v14, 4, v24
	v_cmp_gt_i32_e32 vcc_lo, 32, v14
	v_cndmask_b32_e32 v14, v24, v14, vcc_lo
	s_delay_alu instid0(VALU_DEP_1)
	v_lshlrev_b32_e32 v21, 2, v14
	ds_bpermute_b32 v14, v21, v6
	ds_bpermute_b32 v15, v21, v7
	;; [unrolled: 1-line block ×8, first 2 shown]
	s_waitcnt lgkmcnt(6)
	v_add_f64 v[6:7], v[6:7], v[14:15]
	s_waitcnt lgkmcnt(4)
	v_add_f64 v[12:13], v[12:13], v[16:17]
	s_waitcnt lgkmcnt(2)
	v_add_f64 v[14:15], v[10:11], v[18:19]
	s_waitcnt lgkmcnt(0)
	v_add_f64 v[16:17], v[8:9], v[20:21]
	v_xor_b32_e32 v8, 2, v24
	s_delay_alu instid0(VALU_DEP_1) | instskip(SKIP_1) | instid1(VALU_DEP_1)
	v_cmp_gt_i32_e32 vcc_lo, 32, v8
	v_cndmask_b32_e32 v8, v24, v8, vcc_lo
	v_lshlrev_b32_e32 v10, 2, v8
	ds_bpermute_b32 v8, v10, v6
	ds_bpermute_b32 v9, v10, v7
	;; [unrolled: 1-line block ×8, first 2 shown]
	s_waitcnt lgkmcnt(6)
	v_add_f64 v[10:11], v[6:7], v[8:9]
	s_waitcnt lgkmcnt(4)
	v_add_f64 v[8:9], v[12:13], v[18:19]
	v_xor_b32_e32 v12, 1, v24
	s_waitcnt lgkmcnt(2)
	v_add_f64 v[6:7], v[14:15], v[20:21]
	s_waitcnt lgkmcnt(0)
	v_add_f64 v[14:15], v[16:17], v[22:23]
	v_cmp_gt_i32_e32 vcc_lo, 32, v12
	v_cndmask_b32_e32 v12, v24, v12, vcc_lo
	v_cmp_eq_u32_e32 vcc_lo, 7, v0
	s_delay_alu instid0(VALU_DEP_2)
	v_lshlrev_b32_e32 v17, 2, v12
	ds_bpermute_b32 v12, v17, v10
	ds_bpermute_b32 v13, v17, v11
	;; [unrolled: 1-line block ×8, first 2 shown]
	s_and_b32 exec_lo, exec_lo, vcc_lo
	s_cbranch_execz .LBB48_23
; %bb.19:
	s_waitcnt lgkmcnt(6)
	v_add_f64 v[12:13], v[10:11], v[12:13]
	s_waitcnt lgkmcnt(4)
	v_add_f64 v[10:11], v[8:9], v[20:21]
	;; [unrolled: 2-line block ×4, first 2 shown]
	s_load_b64 s[0:1], s[0:1], 0x38
	s_mov_b32 s2, exec_lo
	v_cmpx_eq_f64_e32 0, v[3:4]
	s_xor_b32 s2, exec_lo, s2
	s_cbranch_execz .LBB48_21
; %bb.20:
	v_mul_f64 v[12:13], v[1:2], v[12:13]
	v_mul_f64 v[14:15], v[1:2], v[10:11]
	;; [unrolled: 1-line block ×4, first 2 shown]
	v_lshlrev_b32_e32 v0, 2, v5
                                        ; implicit-def: $vgpr5
                                        ; implicit-def: $vgpr3_vgpr4
                                        ; implicit-def: $vgpr6_vgpr7
	s_delay_alu instid0(VALU_DEP_1) | instskip(NEXT) | instid1(VALU_DEP_1)
	v_ashrrev_i32_e32 v1, 31, v0
	v_lshlrev_b64 v[0:1], 3, v[0:1]
	s_waitcnt lgkmcnt(0)
	s_delay_alu instid0(VALU_DEP_1) | instskip(NEXT) | instid1(VALU_DEP_2)
	v_add_co_u32 v0, vcc_lo, s0, v0
	v_add_co_ci_u32_e32 v1, vcc_lo, s1, v1, vcc_lo
	s_clause 0x1
	global_store_b128 v[0:1], v[12:15], off
	global_store_b128 v[0:1], v[8:11], off offset:16
                                        ; implicit-def: $vgpr1_vgpr2
                                        ; implicit-def: $vgpr12_vgpr13
                                        ; implicit-def: $vgpr10_vgpr11
                                        ; implicit-def: $vgpr8_vgpr9
.LBB48_21:
	s_and_not1_saveexec_b32 s2, s2
	s_cbranch_execz .LBB48_23
; %bb.22:
	v_lshlrev_b32_e32 v14, 2, v5
	v_mul_f64 v[12:13], v[1:2], v[12:13]
	v_mul_f64 v[10:11], v[1:2], v[10:11]
	;; [unrolled: 1-line block ×4, first 2 shown]
	v_ashrrev_i32_e32 v15, 31, v14
	s_delay_alu instid0(VALU_DEP_1) | instskip(SKIP_1) | instid1(VALU_DEP_1)
	v_lshlrev_b64 v[14:15], 3, v[14:15]
	s_waitcnt lgkmcnt(0)
	v_add_co_u32 v22, vcc_lo, s0, v14
	s_delay_alu instid0(VALU_DEP_2)
	v_add_co_ci_u32_e32 v23, vcc_lo, s1, v15, vcc_lo
	s_clause 0x1
	global_load_b128 v[14:17], v[22:23], off
	global_load_b128 v[18:21], v[22:23], off offset:16
	s_waitcnt vmcnt(1)
	v_fma_f64 v[5:6], v[3:4], v[14:15], v[12:13]
	v_fma_f64 v[7:8], v[3:4], v[16:17], v[10:11]
	s_waitcnt vmcnt(0)
	v_fma_f64 v[0:1], v[3:4], v[18:19], v[24:25]
	v_fma_f64 v[2:3], v[3:4], v[20:21], v[26:27]
	s_clause 0x1
	global_store_b128 v[22:23], v[5:8], off
	global_store_b128 v[22:23], v[0:3], off offset:16
.LBB48_23:
	s_nop 0
	s_sendmsg sendmsg(MSG_DEALLOC_VGPRS)
	s_endpgm
	.section	.rodata,"a",@progbits
	.p2align	6, 0x0
	.amdhsa_kernel _ZN9rocsparseL19gebsrmvn_4xn_kernelILj128ELj3ELj8EdEEvi20rocsparse_direction_NS_24const_host_device_scalarIT2_EEPKiS6_PKS3_S8_S4_PS3_21rocsparse_index_base_b
		.amdhsa_group_segment_fixed_size 0
		.amdhsa_private_segment_fixed_size 0
		.amdhsa_kernarg_size 72
		.amdhsa_user_sgpr_count 15
		.amdhsa_user_sgpr_dispatch_ptr 0
		.amdhsa_user_sgpr_queue_ptr 0
		.amdhsa_user_sgpr_kernarg_segment_ptr 1
		.amdhsa_user_sgpr_dispatch_id 0
		.amdhsa_user_sgpr_private_segment_size 0
		.amdhsa_wavefront_size32 1
		.amdhsa_uses_dynamic_stack 0
		.amdhsa_enable_private_segment 0
		.amdhsa_system_sgpr_workgroup_id_x 1
		.amdhsa_system_sgpr_workgroup_id_y 0
		.amdhsa_system_sgpr_workgroup_id_z 0
		.amdhsa_system_sgpr_workgroup_info 0
		.amdhsa_system_vgpr_workitem_id 0
		.amdhsa_next_free_vgpr 49
		.amdhsa_next_free_sgpr 16
		.amdhsa_reserve_vcc 1
		.amdhsa_float_round_mode_32 0
		.amdhsa_float_round_mode_16_64 0
		.amdhsa_float_denorm_mode_32 3
		.amdhsa_float_denorm_mode_16_64 3
		.amdhsa_dx10_clamp 1
		.amdhsa_ieee_mode 1
		.amdhsa_fp16_overflow 0
		.amdhsa_workgroup_processor_mode 1
		.amdhsa_memory_ordered 1
		.amdhsa_forward_progress 0
		.amdhsa_shared_vgpr_count 0
		.amdhsa_exception_fp_ieee_invalid_op 0
		.amdhsa_exception_fp_denorm_src 0
		.amdhsa_exception_fp_ieee_div_zero 0
		.amdhsa_exception_fp_ieee_overflow 0
		.amdhsa_exception_fp_ieee_underflow 0
		.amdhsa_exception_fp_ieee_inexact 0
		.amdhsa_exception_int_div_zero 0
	.end_amdhsa_kernel
	.section	.text._ZN9rocsparseL19gebsrmvn_4xn_kernelILj128ELj3ELj8EdEEvi20rocsparse_direction_NS_24const_host_device_scalarIT2_EEPKiS6_PKS3_S8_S4_PS3_21rocsparse_index_base_b,"axG",@progbits,_ZN9rocsparseL19gebsrmvn_4xn_kernelILj128ELj3ELj8EdEEvi20rocsparse_direction_NS_24const_host_device_scalarIT2_EEPKiS6_PKS3_S8_S4_PS3_21rocsparse_index_base_b,comdat
.Lfunc_end48:
	.size	_ZN9rocsparseL19gebsrmvn_4xn_kernelILj128ELj3ELj8EdEEvi20rocsparse_direction_NS_24const_host_device_scalarIT2_EEPKiS6_PKS3_S8_S4_PS3_21rocsparse_index_base_b, .Lfunc_end48-_ZN9rocsparseL19gebsrmvn_4xn_kernelILj128ELj3ELj8EdEEvi20rocsparse_direction_NS_24const_host_device_scalarIT2_EEPKiS6_PKS3_S8_S4_PS3_21rocsparse_index_base_b
                                        ; -- End function
	.section	.AMDGPU.csdata,"",@progbits
; Kernel info:
; codeLenInByte = 2356
; NumSgprs: 18
; NumVgprs: 49
; ScratchSize: 0
; MemoryBound: 0
; FloatMode: 240
; IeeeMode: 1
; LDSByteSize: 0 bytes/workgroup (compile time only)
; SGPRBlocks: 2
; VGPRBlocks: 6
; NumSGPRsForWavesPerEU: 18
; NumVGPRsForWavesPerEU: 49
; Occupancy: 16
; WaveLimiterHint : 1
; COMPUTE_PGM_RSRC2:SCRATCH_EN: 0
; COMPUTE_PGM_RSRC2:USER_SGPR: 15
; COMPUTE_PGM_RSRC2:TRAP_HANDLER: 0
; COMPUTE_PGM_RSRC2:TGID_X_EN: 1
; COMPUTE_PGM_RSRC2:TGID_Y_EN: 0
; COMPUTE_PGM_RSRC2:TGID_Z_EN: 0
; COMPUTE_PGM_RSRC2:TIDIG_COMP_CNT: 0
	.section	.text._ZN9rocsparseL19gebsrmvn_4xn_kernelILj128ELj3ELj16EdEEvi20rocsparse_direction_NS_24const_host_device_scalarIT2_EEPKiS6_PKS3_S8_S4_PS3_21rocsparse_index_base_b,"axG",@progbits,_ZN9rocsparseL19gebsrmvn_4xn_kernelILj128ELj3ELj16EdEEvi20rocsparse_direction_NS_24const_host_device_scalarIT2_EEPKiS6_PKS3_S8_S4_PS3_21rocsparse_index_base_b,comdat
	.globl	_ZN9rocsparseL19gebsrmvn_4xn_kernelILj128ELj3ELj16EdEEvi20rocsparse_direction_NS_24const_host_device_scalarIT2_EEPKiS6_PKS3_S8_S4_PS3_21rocsparse_index_base_b ; -- Begin function _ZN9rocsparseL19gebsrmvn_4xn_kernelILj128ELj3ELj16EdEEvi20rocsparse_direction_NS_24const_host_device_scalarIT2_EEPKiS6_PKS3_S8_S4_PS3_21rocsparse_index_base_b
	.p2align	8
	.type	_ZN9rocsparseL19gebsrmvn_4xn_kernelILj128ELj3ELj16EdEEvi20rocsparse_direction_NS_24const_host_device_scalarIT2_EEPKiS6_PKS3_S8_S4_PS3_21rocsparse_index_base_b,@function
_ZN9rocsparseL19gebsrmvn_4xn_kernelILj128ELj3ELj16EdEEvi20rocsparse_direction_NS_24const_host_device_scalarIT2_EEPKiS6_PKS3_S8_S4_PS3_21rocsparse_index_base_b: ; @_ZN9rocsparseL19gebsrmvn_4xn_kernelILj128ELj3ELj16EdEEvi20rocsparse_direction_NS_24const_host_device_scalarIT2_EEPKiS6_PKS3_S8_S4_PS3_21rocsparse_index_base_b
; %bb.0:
	s_clause 0x2
	s_load_b64 s[12:13], s[0:1], 0x40
	s_load_b64 s[4:5], s[0:1], 0x8
	;; [unrolled: 1-line block ×3, first 2 shown]
	s_waitcnt lgkmcnt(0)
	s_bitcmp1_b32 s13, 0
	v_dual_mov_b32 v1, s4 :: v_dual_mov_b32 v2, s5
	s_cselect_b32 s6, -1, 0
	s_delay_alu instid0(SALU_CYCLE_1)
	s_and_b32 vcc_lo, exec_lo, s6
	s_xor_b32 s6, s6, -1
	s_cbranch_vccnz .LBB49_2
; %bb.1:
	v_dual_mov_b32 v1, s4 :: v_dual_mov_b32 v2, s5
	flat_load_b64 v[1:2], v[1:2]
.LBB49_2:
	v_dual_mov_b32 v4, s3 :: v_dual_mov_b32 v3, s2
	s_and_not1_b32 vcc_lo, exec_lo, s6
	s_cbranch_vccnz .LBB49_4
; %bb.3:
	v_dual_mov_b32 v4, s3 :: v_dual_mov_b32 v3, s2
	flat_load_b64 v[3:4], v[3:4]
.LBB49_4:
	s_waitcnt vmcnt(0) lgkmcnt(0)
	v_cmp_neq_f64_e32 vcc_lo, 0, v[1:2]
	v_cmp_neq_f64_e64 s2, 1.0, v[3:4]
	s_delay_alu instid0(VALU_DEP_1) | instskip(NEXT) | instid1(SALU_CYCLE_1)
	s_or_b32 s2, vcc_lo, s2
	s_and_saveexec_b32 s3, s2
	s_cbranch_execz .LBB49_23
; %bb.5:
	s_load_b64 s[2:3], s[0:1], 0x0
	v_lshrrev_b32_e32 v5, 4, v0
	s_delay_alu instid0(VALU_DEP_1) | instskip(SKIP_1) | instid1(VALU_DEP_1)
	v_lshl_or_b32 v5, s15, 3, v5
	s_waitcnt lgkmcnt(0)
	v_cmp_gt_i32_e32 vcc_lo, s2, v5
	s_and_b32 exec_lo, exec_lo, vcc_lo
	s_cbranch_execz .LBB49_23
; %bb.6:
	s_load_b256 s[4:11], s[0:1], 0x10
	v_ashrrev_i32_e32 v6, 31, v5
	v_and_b32_e32 v0, 15, v0
	s_cmp_lg_u32 s3, 0
	s_delay_alu instid0(VALU_DEP_2) | instskip(SKIP_1) | instid1(VALU_DEP_1)
	v_lshlrev_b64 v[6:7], 2, v[5:6]
	s_waitcnt lgkmcnt(0)
	v_add_co_u32 v6, vcc_lo, s4, v6
	s_delay_alu instid0(VALU_DEP_2) | instskip(SKIP_4) | instid1(VALU_DEP_2)
	v_add_co_ci_u32_e32 v7, vcc_lo, s5, v7, vcc_lo
	global_load_b64 v[6:7], v[6:7], off
	s_waitcnt vmcnt(0)
	v_subrev_nc_u32_e32 v6, s12, v6
	v_subrev_nc_u32_e32 v20, s12, v7
	v_add_nc_u32_e32 v14, v6, v0
	s_delay_alu instid0(VALU_DEP_1)
	v_cmp_lt_i32_e64 s2, v14, v20
	s_cbranch_scc0 .LBB49_12
; %bb.7:
	v_mov_b32_e32 v6, 0
	v_mov_b32_e32 v7, 0
	s_delay_alu instid0(VALU_DEP_1)
	v_dual_mov_b32 v9, v7 :: v_dual_mov_b32 v8, v6
	v_dual_mov_b32 v11, v7 :: v_dual_mov_b32 v10, v6
	;; [unrolled: 1-line block ×3, first 2 shown]
	s_and_saveexec_b32 s3, s2
	s_cbranch_execz .LBB49_11
; %bb.8:
	v_dual_mov_b32 v6, 0 :: v_dual_mov_b32 v17, v14
	v_dual_mov_b32 v7, 0 :: v_dual_mov_b32 v16, 0
	v_mul_lo_u32 v15, v14, 12
	s_mov_b32 s4, 0
	s_delay_alu instid0(VALU_DEP_2)
	v_dual_mov_b32 v9, v7 :: v_dual_mov_b32 v8, v6
	v_dual_mov_b32 v11, v7 :: v_dual_mov_b32 v10, v6
	;; [unrolled: 1-line block ×3, first 2 shown]
.LBB49_9:                               ; =>This Inner Loop Header: Depth=1
	v_ashrrev_i32_e32 v18, 31, v17
	v_dual_mov_b32 v42, v16 :: v_dual_add_nc_u32 v29, 4, v15
	v_dual_mov_b32 v30, v16 :: v_dual_add_nc_u32 v37, 8, v15
	s_delay_alu instid0(VALU_DEP_3) | instskip(SKIP_1) | instid1(VALU_DEP_3)
	v_lshlrev_b64 v[18:19], 2, v[17:18]
	v_add_nc_u32_e32 v17, 16, v17
	v_lshlrev_b64 v[29:30], 3, v[29:30]
	s_delay_alu instid0(VALU_DEP_3) | instskip(NEXT) | instid1(VALU_DEP_4)
	v_add_co_u32 v18, vcc_lo, s6, v18
	v_add_co_ci_u32_e32 v19, vcc_lo, s7, v19, vcc_lo
	global_load_b32 v25, v[18:19], off
	v_lshlrev_b64 v[18:19], 3, v[15:16]
	v_add_nc_u32_e32 v15, 0xc0, v15
	s_delay_alu instid0(VALU_DEP_2) | instskip(NEXT) | instid1(VALU_DEP_3)
	v_add_co_u32 v18, vcc_lo, s8, v18
	v_add_co_ci_u32_e32 v19, vcc_lo, s9, v19, vcc_lo
	global_load_b128 v[21:24], v[18:19], off offset:16
	s_waitcnt vmcnt(1)
	v_subrev_nc_u32_e32 v25, s12, v25
	s_delay_alu instid0(VALU_DEP_1) | instskip(NEXT) | instid1(VALU_DEP_1)
	v_lshl_add_u32 v41, v25, 1, v25
	v_dual_mov_b32 v34, v16 :: v_dual_add_nc_u32 v33, 1, v41
	v_lshlrev_b64 v[25:26], 3, v[41:42]
	v_add_nc_u32_e32 v41, 2, v41
	s_delay_alu instid0(VALU_DEP_3) | instskip(NEXT) | instid1(VALU_DEP_3)
	v_lshlrev_b64 v[33:34], 3, v[33:34]
	v_add_co_u32 v31, vcc_lo, s10, v25
	s_delay_alu instid0(VALU_DEP_4)
	v_add_co_ci_u32_e32 v32, vcc_lo, s11, v26, vcc_lo
	global_load_b128 v[25:28], v[18:19], off
	global_load_b64 v[18:19], v[31:32], off
	v_add_co_u32 v35, vcc_lo, s8, v29
	v_add_co_ci_u32_e32 v36, vcc_lo, s9, v30, vcc_lo
	v_add_co_u32 v38, vcc_lo, s10, v33
	v_add_co_ci_u32_e32 v39, vcc_lo, s11, v34, vcc_lo
	s_clause 0x1
	global_load_b128 v[29:32], v[35:36], off offset:16
	global_load_b128 v[33:36], v[35:36], off
	global_load_b64 v[45:46], v[38:39], off
	v_mov_b32_e32 v38, v16
	v_lshlrev_b64 v[41:42], 3, v[41:42]
	s_delay_alu instid0(VALU_DEP_2) | instskip(NEXT) | instid1(VALU_DEP_1)
	v_lshlrev_b64 v[37:38], 3, v[37:38]
	v_add_co_u32 v43, vcc_lo, s8, v37
	s_delay_alu instid0(VALU_DEP_2) | instskip(NEXT) | instid1(VALU_DEP_4)
	v_add_co_ci_u32_e32 v44, vcc_lo, s9, v38, vcc_lo
	v_add_co_u32 v47, vcc_lo, s10, v41
	v_add_co_ci_u32_e32 v48, vcc_lo, s11, v42, vcc_lo
	s_clause 0x1
	global_load_b128 v[37:40], v[43:44], off offset:16
	global_load_b128 v[41:44], v[43:44], off
	global_load_b64 v[47:48], v[47:48], off
	v_cmp_ge_i32_e32 vcc_lo, v17, v20
	s_or_b32 s4, vcc_lo, s4
	s_waitcnt vmcnt(6)
	v_fma_f64 v[6:7], v[25:26], v[18:19], v[6:7]
	v_fma_f64 v[12:13], v[27:28], v[18:19], v[12:13]
	;; [unrolled: 1-line block ×4, first 2 shown]
	s_waitcnt vmcnt(3)
	s_delay_alu instid0(VALU_DEP_4) | instskip(NEXT) | instid1(VALU_DEP_4)
	v_fma_f64 v[6:7], v[33:34], v[45:46], v[6:7]
	v_fma_f64 v[12:13], v[35:36], v[45:46], v[12:13]
	s_delay_alu instid0(VALU_DEP_4) | instskip(NEXT) | instid1(VALU_DEP_4)
	v_fma_f64 v[10:11], v[29:30], v[45:46], v[10:11]
	v_fma_f64 v[8:9], v[31:32], v[45:46], v[8:9]
	s_waitcnt vmcnt(0)
	s_delay_alu instid0(VALU_DEP_4) | instskip(NEXT) | instid1(VALU_DEP_4)
	v_fma_f64 v[6:7], v[41:42], v[47:48], v[6:7]
	v_fma_f64 v[12:13], v[43:44], v[47:48], v[12:13]
	s_delay_alu instid0(VALU_DEP_4) | instskip(NEXT) | instid1(VALU_DEP_4)
	v_fma_f64 v[10:11], v[37:38], v[47:48], v[10:11]
	v_fma_f64 v[8:9], v[39:40], v[47:48], v[8:9]
	s_and_not1_b32 exec_lo, exec_lo, s4
	s_cbranch_execnz .LBB49_9
; %bb.10:
	s_or_b32 exec_lo, exec_lo, s4
.LBB49_11:
	s_delay_alu instid0(SALU_CYCLE_1)
	s_or_b32 exec_lo, exec_lo, s3
	s_cbranch_execz .LBB49_13
	s_branch .LBB49_18
.LBB49_12:
                                        ; implicit-def: $vgpr6_vgpr7
                                        ; implicit-def: $vgpr8_vgpr9
                                        ; implicit-def: $vgpr10_vgpr11
                                        ; implicit-def: $vgpr12_vgpr13
.LBB49_13:
	v_mov_b32_e32 v6, 0
	v_mov_b32_e32 v7, 0
	s_delay_alu instid0(VALU_DEP_1)
	v_dual_mov_b32 v9, v7 :: v_dual_mov_b32 v8, v6
	v_dual_mov_b32 v11, v7 :: v_dual_mov_b32 v10, v6
	;; [unrolled: 1-line block ×3, first 2 shown]
	s_and_saveexec_b32 s3, s2
	s_cbranch_execz .LBB49_17
; %bb.14:
	v_dual_mov_b32 v6, 0 :: v_dual_mov_b32 v19, 0
	v_mov_b32_e32 v7, 0
	v_mad_u64_u32 v[16:17], null, v14, 12, 11
	s_mov_b32 s2, 0
	s_delay_alu instid0(VALU_DEP_2)
	v_dual_mov_b32 v9, v7 :: v_dual_mov_b32 v8, v6
	v_dual_mov_b32 v11, v7 :: v_dual_mov_b32 v10, v6
	;; [unrolled: 1-line block ×3, first 2 shown]
.LBB49_15:                              ; =>This Inner Loop Header: Depth=1
	v_ashrrev_i32_e32 v15, 31, v14
	v_dual_mov_b32 v30, v19 :: v_dual_add_nc_u32 v21, -5, v16
	v_dual_mov_b32 v22, v19 :: v_dual_add_nc_u32 v23, -2, v16
	s_delay_alu instid0(VALU_DEP_3) | instskip(SKIP_2) | instid1(VALU_DEP_4)
	v_lshlrev_b64 v[17:18], 2, v[14:15]
	v_mov_b32_e32 v24, v19
	v_add_nc_u32_e32 v14, 16, v14
	v_lshlrev_b64 v[21:22], 3, v[21:22]
	s_delay_alu instid0(VALU_DEP_3) | instskip(SKIP_4) | instid1(VALU_DEP_1)
	v_lshlrev_b64 v[23:24], 3, v[23:24]
	v_add_co_u32 v17, vcc_lo, s6, v17
	v_add_co_ci_u32_e32 v18, vcc_lo, s7, v18, vcc_lo
	global_load_b32 v15, v[17:18], off
	v_dual_mov_b32 v17, v19 :: v_dual_add_nc_u32 v18, -11, v16
	v_lshlrev_b64 v[25:26], 3, v[18:19]
	s_delay_alu instid0(VALU_DEP_1) | instskip(NEXT) | instid1(VALU_DEP_2)
	v_add_co_u32 v25, vcc_lo, s8, v25
	v_add_co_ci_u32_e32 v26, vcc_lo, s9, v26, vcc_lo
	v_add_co_u32 v31, vcc_lo, s8, v21
	v_add_co_ci_u32_e32 v32, vcc_lo, s9, v22, vcc_lo
	;; [unrolled: 2-line block ×3, first 2 shown]
	s_clause 0x3
	global_load_b128 v[21:24], v[25:26], off offset:16
	global_load_b128 v[25:28], v[25:26], off
	global_load_b64 v[31:32], v[31:32], off
	global_load_b64 v[33:34], v[33:34], off
	s_waitcnt vmcnt(4)
	v_subrev_nc_u32_e32 v15, s12, v15
	s_delay_alu instid0(VALU_DEP_1) | instskip(NEXT) | instid1(VALU_DEP_1)
	v_lshl_add_u32 v29, v15, 1, v15
	v_lshlrev_b64 v[35:36], 3, v[29:30]
	v_add_nc_u32_e32 v18, 1, v29
	s_delay_alu instid0(VALU_DEP_1) | instskip(NEXT) | instid1(VALU_DEP_3)
	v_lshlrev_b64 v[37:38], 3, v[18:19]
	v_add_co_u32 v35, vcc_lo, s10, v35
	s_delay_alu instid0(VALU_DEP_4) | instskip(SKIP_1) | instid1(VALU_DEP_4)
	v_add_co_ci_u32_e32 v36, vcc_lo, s11, v36, vcc_lo
	v_add_nc_u32_e32 v18, -7, v16
	v_add_co_u32 v37, vcc_lo, s10, v37
	global_load_b64 v[35:36], v[35:36], off
	v_add_co_ci_u32_e32 v38, vcc_lo, s11, v38, vcc_lo
	v_lshlrev_b64 v[39:40], 3, v[18:19]
	v_add_nc_u32_e32 v18, -4, v16
	global_load_b64 v[37:38], v[37:38], off
	v_lshlrev_b64 v[41:42], 3, v[18:19]
	v_add_nc_u32_e32 v18, -1, v16
	v_add_co_u32 v39, vcc_lo, s8, v39
	v_add_co_ci_u32_e32 v40, vcc_lo, s9, v40, vcc_lo
	s_delay_alu instid0(VALU_DEP_3)
	v_lshlrev_b64 v[43:44], 3, v[18:19]
	v_add_co_u32 v41, vcc_lo, s8, v41
	v_add_co_ci_u32_e32 v42, vcc_lo, s9, v42, vcc_lo
	global_load_b64 v[39:40], v[39:40], off
	v_add_co_u32 v43, vcc_lo, s8, v43
	v_add_co_ci_u32_e32 v44, vcc_lo, s9, v44, vcc_lo
	s_clause 0x1
	global_load_b64 v[41:42], v[41:42], off
	global_load_b64 v[43:44], v[43:44], off
	v_lshlrev_b64 v[17:18], 3, v[16:17]
	s_delay_alu instid0(VALU_DEP_1) | instskip(NEXT) | instid1(VALU_DEP_2)
	v_add_co_u32 v45, vcc_lo, s8, v17
	v_add_co_ci_u32_e32 v46, vcc_lo, s9, v18, vcc_lo
	v_add_nc_u32_e32 v18, 2, v29
	s_delay_alu instid0(VALU_DEP_1) | instskip(SKIP_1) | instid1(VALU_DEP_1)
	v_lshlrev_b64 v[29:30], 3, v[18:19]
	v_add_nc_u32_e32 v18, -6, v16
	v_lshlrev_b64 v[47:48], 3, v[18:19]
	v_add_nc_u32_e32 v18, -3, v16
	s_delay_alu instid0(VALU_DEP_4) | instskip(SKIP_1) | instid1(VALU_DEP_3)
	v_add_co_u32 v29, vcc_lo, s10, v29
	v_add_co_ci_u32_e32 v30, vcc_lo, s11, v30, vcc_lo
	v_lshlrev_b64 v[17:18], 3, v[18:19]
	v_add_co_u32 v47, vcc_lo, s8, v47
	v_add_co_ci_u32_e32 v48, vcc_lo, s9, v48, vcc_lo
	v_add_nc_u32_e32 v16, 0xc0, v16
	s_delay_alu instid0(VALU_DEP_4)
	v_add_co_u32 v17, vcc_lo, s8, v17
	v_add_co_ci_u32_e32 v18, vcc_lo, s9, v18, vcc_lo
	global_load_b64 v[29:30], v[29:30], off
	s_clause 0x2
	global_load_b64 v[47:48], v[47:48], off
	global_load_b64 v[17:18], v[17:18], off
	;; [unrolled: 1-line block ×3, first 2 shown]
	v_cmp_ge_i32_e32 vcc_lo, v14, v20
	s_or_b32 s2, vcc_lo, s2
	s_waitcnt vmcnt(8)
	v_fma_f64 v[6:7], v[25:26], v[35:36], v[6:7]
	v_fma_f64 v[12:13], v[23:24], v[35:36], v[12:13]
	;; [unrolled: 1-line block ×4, first 2 shown]
	s_waitcnt vmcnt(7)
	s_delay_alu instid0(VALU_DEP_4) | instskip(SKIP_1) | instid1(VALU_DEP_4)
	v_fma_f64 v[6:7], v[27:28], v[37:38], v[6:7]
	s_waitcnt vmcnt(6)
	v_fma_f64 v[12:13], v[39:40], v[37:38], v[12:13]
	s_waitcnt vmcnt(5)
	s_delay_alu instid0(VALU_DEP_4) | instskip(SKIP_1) | instid1(VALU_DEP_4)
	v_fma_f64 v[10:11], v[41:42], v[37:38], v[10:11]
	s_waitcnt vmcnt(4)
	v_fma_f64 v[8:9], v[43:44], v[37:38], v[8:9]
	;; [unrolled: 5-line block ×4, first 2 shown]
	s_and_not1_b32 exec_lo, exec_lo, s2
	s_cbranch_execnz .LBB49_15
; %bb.16:
	s_or_b32 exec_lo, exec_lo, s2
.LBB49_17:
	s_delay_alu instid0(SALU_CYCLE_1)
	s_or_b32 exec_lo, exec_lo, s3
.LBB49_18:
	v_mbcnt_lo_u32_b32 v24, -1, 0
	s_delay_alu instid0(VALU_DEP_1) | instskip(NEXT) | instid1(VALU_DEP_1)
	v_xor_b32_e32 v14, 8, v24
	v_cmp_gt_i32_e32 vcc_lo, 32, v14
	v_cndmask_b32_e32 v14, v24, v14, vcc_lo
	s_delay_alu instid0(VALU_DEP_1)
	v_lshlrev_b32_e32 v21, 2, v14
	ds_bpermute_b32 v14, v21, v6
	ds_bpermute_b32 v15, v21, v7
	;; [unrolled: 1-line block ×8, first 2 shown]
	s_waitcnt lgkmcnt(6)
	v_add_f64 v[6:7], v[6:7], v[14:15]
	v_xor_b32_e32 v14, 4, v24
	s_waitcnt lgkmcnt(4)
	v_add_f64 v[12:13], v[12:13], v[16:17]
	s_waitcnt lgkmcnt(2)
	v_add_f64 v[10:11], v[10:11], v[18:19]
	;; [unrolled: 2-line block ×3, first 2 shown]
	v_cmp_gt_i32_e32 vcc_lo, 32, v14
	v_cndmask_b32_e32 v14, v24, v14, vcc_lo
	s_delay_alu instid0(VALU_DEP_1)
	v_lshlrev_b32_e32 v21, 2, v14
	ds_bpermute_b32 v14, v21, v6
	ds_bpermute_b32 v15, v21, v7
	;; [unrolled: 1-line block ×8, first 2 shown]
	s_waitcnt lgkmcnt(6)
	v_add_f64 v[6:7], v[6:7], v[14:15]
	s_waitcnt lgkmcnt(4)
	v_add_f64 v[12:13], v[12:13], v[16:17]
	;; [unrolled: 2-line block ×4, first 2 shown]
	v_xor_b32_e32 v8, 2, v24
	s_delay_alu instid0(VALU_DEP_1) | instskip(SKIP_1) | instid1(VALU_DEP_1)
	v_cmp_gt_i32_e32 vcc_lo, 32, v8
	v_cndmask_b32_e32 v8, v24, v8, vcc_lo
	v_lshlrev_b32_e32 v10, 2, v8
	ds_bpermute_b32 v8, v10, v6
	ds_bpermute_b32 v9, v10, v7
	;; [unrolled: 1-line block ×8, first 2 shown]
	s_waitcnt lgkmcnt(6)
	v_add_f64 v[10:11], v[6:7], v[8:9]
	s_waitcnt lgkmcnt(4)
	v_add_f64 v[8:9], v[12:13], v[18:19]
	v_xor_b32_e32 v12, 1, v24
	s_waitcnt lgkmcnt(2)
	v_add_f64 v[6:7], v[14:15], v[20:21]
	s_waitcnt lgkmcnt(0)
	v_add_f64 v[14:15], v[16:17], v[22:23]
	v_cmp_gt_i32_e32 vcc_lo, 32, v12
	v_cndmask_b32_e32 v12, v24, v12, vcc_lo
	v_cmp_eq_u32_e32 vcc_lo, 15, v0
	s_delay_alu instid0(VALU_DEP_2)
	v_lshlrev_b32_e32 v17, 2, v12
	ds_bpermute_b32 v12, v17, v10
	ds_bpermute_b32 v13, v17, v11
	;; [unrolled: 1-line block ×8, first 2 shown]
	s_and_b32 exec_lo, exec_lo, vcc_lo
	s_cbranch_execz .LBB49_23
; %bb.19:
	s_waitcnt lgkmcnt(6)
	v_add_f64 v[12:13], v[10:11], v[12:13]
	s_waitcnt lgkmcnt(4)
	v_add_f64 v[10:11], v[8:9], v[20:21]
	;; [unrolled: 2-line block ×4, first 2 shown]
	s_load_b64 s[0:1], s[0:1], 0x38
	s_mov_b32 s2, exec_lo
	v_cmpx_eq_f64_e32 0, v[3:4]
	s_xor_b32 s2, exec_lo, s2
	s_cbranch_execz .LBB49_21
; %bb.20:
	v_mul_f64 v[12:13], v[1:2], v[12:13]
	v_mul_f64 v[14:15], v[1:2], v[10:11]
	v_mul_f64 v[8:9], v[1:2], v[8:9]
	v_mul_f64 v[10:11], v[1:2], v[6:7]
	v_lshlrev_b32_e32 v0, 2, v5
                                        ; implicit-def: $vgpr5
                                        ; implicit-def: $vgpr3_vgpr4
                                        ; implicit-def: $vgpr6_vgpr7
	s_delay_alu instid0(VALU_DEP_1) | instskip(NEXT) | instid1(VALU_DEP_1)
	v_ashrrev_i32_e32 v1, 31, v0
	v_lshlrev_b64 v[0:1], 3, v[0:1]
	s_waitcnt lgkmcnt(0)
	s_delay_alu instid0(VALU_DEP_1) | instskip(NEXT) | instid1(VALU_DEP_2)
	v_add_co_u32 v0, vcc_lo, s0, v0
	v_add_co_ci_u32_e32 v1, vcc_lo, s1, v1, vcc_lo
	s_clause 0x1
	global_store_b128 v[0:1], v[12:15], off
	global_store_b128 v[0:1], v[8:11], off offset:16
                                        ; implicit-def: $vgpr1_vgpr2
                                        ; implicit-def: $vgpr12_vgpr13
                                        ; implicit-def: $vgpr10_vgpr11
                                        ; implicit-def: $vgpr8_vgpr9
.LBB49_21:
	s_and_not1_saveexec_b32 s2, s2
	s_cbranch_execz .LBB49_23
; %bb.22:
	v_lshlrev_b32_e32 v14, 2, v5
	v_mul_f64 v[12:13], v[1:2], v[12:13]
	v_mul_f64 v[10:11], v[1:2], v[10:11]
	;; [unrolled: 1-line block ×4, first 2 shown]
	v_ashrrev_i32_e32 v15, 31, v14
	s_delay_alu instid0(VALU_DEP_1) | instskip(SKIP_1) | instid1(VALU_DEP_1)
	v_lshlrev_b64 v[14:15], 3, v[14:15]
	s_waitcnt lgkmcnt(0)
	v_add_co_u32 v22, vcc_lo, s0, v14
	s_delay_alu instid0(VALU_DEP_2)
	v_add_co_ci_u32_e32 v23, vcc_lo, s1, v15, vcc_lo
	s_clause 0x1
	global_load_b128 v[14:17], v[22:23], off
	global_load_b128 v[18:21], v[22:23], off offset:16
	s_waitcnt vmcnt(1)
	v_fma_f64 v[5:6], v[3:4], v[14:15], v[12:13]
	v_fma_f64 v[7:8], v[3:4], v[16:17], v[10:11]
	s_waitcnt vmcnt(0)
	v_fma_f64 v[0:1], v[3:4], v[18:19], v[24:25]
	v_fma_f64 v[2:3], v[3:4], v[20:21], v[26:27]
	s_clause 0x1
	global_store_b128 v[22:23], v[5:8], off
	global_store_b128 v[22:23], v[0:3], off offset:16
.LBB49_23:
	s_nop 0
	s_sendmsg sendmsg(MSG_DEALLOC_VGPRS)
	s_endpgm
	.section	.rodata,"a",@progbits
	.p2align	6, 0x0
	.amdhsa_kernel _ZN9rocsparseL19gebsrmvn_4xn_kernelILj128ELj3ELj16EdEEvi20rocsparse_direction_NS_24const_host_device_scalarIT2_EEPKiS6_PKS3_S8_S4_PS3_21rocsparse_index_base_b
		.amdhsa_group_segment_fixed_size 0
		.amdhsa_private_segment_fixed_size 0
		.amdhsa_kernarg_size 72
		.amdhsa_user_sgpr_count 15
		.amdhsa_user_sgpr_dispatch_ptr 0
		.amdhsa_user_sgpr_queue_ptr 0
		.amdhsa_user_sgpr_kernarg_segment_ptr 1
		.amdhsa_user_sgpr_dispatch_id 0
		.amdhsa_user_sgpr_private_segment_size 0
		.amdhsa_wavefront_size32 1
		.amdhsa_uses_dynamic_stack 0
		.amdhsa_enable_private_segment 0
		.amdhsa_system_sgpr_workgroup_id_x 1
		.amdhsa_system_sgpr_workgroup_id_y 0
		.amdhsa_system_sgpr_workgroup_id_z 0
		.amdhsa_system_sgpr_workgroup_info 0
		.amdhsa_system_vgpr_workitem_id 0
		.amdhsa_next_free_vgpr 49
		.amdhsa_next_free_sgpr 16
		.amdhsa_reserve_vcc 1
		.amdhsa_float_round_mode_32 0
		.amdhsa_float_round_mode_16_64 0
		.amdhsa_float_denorm_mode_32 3
		.amdhsa_float_denorm_mode_16_64 3
		.amdhsa_dx10_clamp 1
		.amdhsa_ieee_mode 1
		.amdhsa_fp16_overflow 0
		.amdhsa_workgroup_processor_mode 1
		.amdhsa_memory_ordered 1
		.amdhsa_forward_progress 0
		.amdhsa_shared_vgpr_count 0
		.amdhsa_exception_fp_ieee_invalid_op 0
		.amdhsa_exception_fp_denorm_src 0
		.amdhsa_exception_fp_ieee_div_zero 0
		.amdhsa_exception_fp_ieee_overflow 0
		.amdhsa_exception_fp_ieee_underflow 0
		.amdhsa_exception_fp_ieee_inexact 0
		.amdhsa_exception_int_div_zero 0
	.end_amdhsa_kernel
	.section	.text._ZN9rocsparseL19gebsrmvn_4xn_kernelILj128ELj3ELj16EdEEvi20rocsparse_direction_NS_24const_host_device_scalarIT2_EEPKiS6_PKS3_S8_S4_PS3_21rocsparse_index_base_b,"axG",@progbits,_ZN9rocsparseL19gebsrmvn_4xn_kernelILj128ELj3ELj16EdEEvi20rocsparse_direction_NS_24const_host_device_scalarIT2_EEPKiS6_PKS3_S8_S4_PS3_21rocsparse_index_base_b,comdat
.Lfunc_end49:
	.size	_ZN9rocsparseL19gebsrmvn_4xn_kernelILj128ELj3ELj16EdEEvi20rocsparse_direction_NS_24const_host_device_scalarIT2_EEPKiS6_PKS3_S8_S4_PS3_21rocsparse_index_base_b, .Lfunc_end49-_ZN9rocsparseL19gebsrmvn_4xn_kernelILj128ELj3ELj16EdEEvi20rocsparse_direction_NS_24const_host_device_scalarIT2_EEPKiS6_PKS3_S8_S4_PS3_21rocsparse_index_base_b
                                        ; -- End function
	.section	.AMDGPU.csdata,"",@progbits
; Kernel info:
; codeLenInByte = 2488
; NumSgprs: 18
; NumVgprs: 49
; ScratchSize: 0
; MemoryBound: 0
; FloatMode: 240
; IeeeMode: 1
; LDSByteSize: 0 bytes/workgroup (compile time only)
; SGPRBlocks: 2
; VGPRBlocks: 6
; NumSGPRsForWavesPerEU: 18
; NumVGPRsForWavesPerEU: 49
; Occupancy: 16
; WaveLimiterHint : 1
; COMPUTE_PGM_RSRC2:SCRATCH_EN: 0
; COMPUTE_PGM_RSRC2:USER_SGPR: 15
; COMPUTE_PGM_RSRC2:TRAP_HANDLER: 0
; COMPUTE_PGM_RSRC2:TGID_X_EN: 1
; COMPUTE_PGM_RSRC2:TGID_Y_EN: 0
; COMPUTE_PGM_RSRC2:TGID_Z_EN: 0
; COMPUTE_PGM_RSRC2:TIDIG_COMP_CNT: 0
	.section	.text._ZN9rocsparseL19gebsrmvn_4xn_kernelILj128ELj3ELj32EdEEvi20rocsparse_direction_NS_24const_host_device_scalarIT2_EEPKiS6_PKS3_S8_S4_PS3_21rocsparse_index_base_b,"axG",@progbits,_ZN9rocsparseL19gebsrmvn_4xn_kernelILj128ELj3ELj32EdEEvi20rocsparse_direction_NS_24const_host_device_scalarIT2_EEPKiS6_PKS3_S8_S4_PS3_21rocsparse_index_base_b,comdat
	.globl	_ZN9rocsparseL19gebsrmvn_4xn_kernelILj128ELj3ELj32EdEEvi20rocsparse_direction_NS_24const_host_device_scalarIT2_EEPKiS6_PKS3_S8_S4_PS3_21rocsparse_index_base_b ; -- Begin function _ZN9rocsparseL19gebsrmvn_4xn_kernelILj128ELj3ELj32EdEEvi20rocsparse_direction_NS_24const_host_device_scalarIT2_EEPKiS6_PKS3_S8_S4_PS3_21rocsparse_index_base_b
	.p2align	8
	.type	_ZN9rocsparseL19gebsrmvn_4xn_kernelILj128ELj3ELj32EdEEvi20rocsparse_direction_NS_24const_host_device_scalarIT2_EEPKiS6_PKS3_S8_S4_PS3_21rocsparse_index_base_b,@function
_ZN9rocsparseL19gebsrmvn_4xn_kernelILj128ELj3ELj32EdEEvi20rocsparse_direction_NS_24const_host_device_scalarIT2_EEPKiS6_PKS3_S8_S4_PS3_21rocsparse_index_base_b: ; @_ZN9rocsparseL19gebsrmvn_4xn_kernelILj128ELj3ELj32EdEEvi20rocsparse_direction_NS_24const_host_device_scalarIT2_EEPKiS6_PKS3_S8_S4_PS3_21rocsparse_index_base_b
; %bb.0:
	s_clause 0x2
	s_load_b64 s[12:13], s[0:1], 0x40
	s_load_b64 s[4:5], s[0:1], 0x8
	;; [unrolled: 1-line block ×3, first 2 shown]
	s_waitcnt lgkmcnt(0)
	s_bitcmp1_b32 s13, 0
	v_dual_mov_b32 v1, s4 :: v_dual_mov_b32 v2, s5
	s_cselect_b32 s6, -1, 0
	s_delay_alu instid0(SALU_CYCLE_1)
	s_and_b32 vcc_lo, exec_lo, s6
	s_xor_b32 s6, s6, -1
	s_cbranch_vccnz .LBB50_2
; %bb.1:
	v_dual_mov_b32 v1, s4 :: v_dual_mov_b32 v2, s5
	flat_load_b64 v[1:2], v[1:2]
.LBB50_2:
	v_dual_mov_b32 v4, s3 :: v_dual_mov_b32 v3, s2
	s_and_not1_b32 vcc_lo, exec_lo, s6
	s_cbranch_vccnz .LBB50_4
; %bb.3:
	v_dual_mov_b32 v4, s3 :: v_dual_mov_b32 v3, s2
	flat_load_b64 v[3:4], v[3:4]
.LBB50_4:
	s_waitcnt vmcnt(0) lgkmcnt(0)
	v_cmp_neq_f64_e32 vcc_lo, 0, v[1:2]
	v_cmp_neq_f64_e64 s2, 1.0, v[3:4]
	s_delay_alu instid0(VALU_DEP_1) | instskip(NEXT) | instid1(SALU_CYCLE_1)
	s_or_b32 s2, vcc_lo, s2
	s_and_saveexec_b32 s3, s2
	s_cbranch_execz .LBB50_23
; %bb.5:
	s_load_b64 s[2:3], s[0:1], 0x0
	v_lshrrev_b32_e32 v5, 5, v0
	s_delay_alu instid0(VALU_DEP_1) | instskip(SKIP_1) | instid1(VALU_DEP_1)
	v_lshl_or_b32 v5, s15, 2, v5
	s_waitcnt lgkmcnt(0)
	v_cmp_gt_i32_e32 vcc_lo, s2, v5
	s_and_b32 exec_lo, exec_lo, vcc_lo
	s_cbranch_execz .LBB50_23
; %bb.6:
	s_load_b256 s[4:11], s[0:1], 0x10
	v_ashrrev_i32_e32 v6, 31, v5
	v_and_b32_e32 v0, 31, v0
	s_cmp_lg_u32 s3, 0
	s_delay_alu instid0(VALU_DEP_2) | instskip(SKIP_1) | instid1(VALU_DEP_1)
	v_lshlrev_b64 v[6:7], 2, v[5:6]
	s_waitcnt lgkmcnt(0)
	v_add_co_u32 v6, vcc_lo, s4, v6
	s_delay_alu instid0(VALU_DEP_2) | instskip(SKIP_4) | instid1(VALU_DEP_2)
	v_add_co_ci_u32_e32 v7, vcc_lo, s5, v7, vcc_lo
	global_load_b64 v[6:7], v[6:7], off
	s_waitcnt vmcnt(0)
	v_subrev_nc_u32_e32 v6, s12, v6
	v_subrev_nc_u32_e32 v20, s12, v7
	v_add_nc_u32_e32 v14, v6, v0
	s_delay_alu instid0(VALU_DEP_1)
	v_cmp_lt_i32_e64 s2, v14, v20
	s_cbranch_scc0 .LBB50_12
; %bb.7:
	v_mov_b32_e32 v6, 0
	v_mov_b32_e32 v7, 0
	s_delay_alu instid0(VALU_DEP_1)
	v_dual_mov_b32 v9, v7 :: v_dual_mov_b32 v8, v6
	v_dual_mov_b32 v11, v7 :: v_dual_mov_b32 v10, v6
	;; [unrolled: 1-line block ×3, first 2 shown]
	s_and_saveexec_b32 s3, s2
	s_cbranch_execz .LBB50_11
; %bb.8:
	v_dual_mov_b32 v6, 0 :: v_dual_mov_b32 v17, v14
	v_dual_mov_b32 v7, 0 :: v_dual_mov_b32 v16, 0
	v_mul_lo_u32 v15, v14, 12
	s_mov_b32 s4, 0
	s_delay_alu instid0(VALU_DEP_2)
	v_dual_mov_b32 v9, v7 :: v_dual_mov_b32 v8, v6
	v_dual_mov_b32 v11, v7 :: v_dual_mov_b32 v10, v6
	;; [unrolled: 1-line block ×3, first 2 shown]
.LBB50_9:                               ; =>This Inner Loop Header: Depth=1
	v_ashrrev_i32_e32 v18, 31, v17
	v_dual_mov_b32 v42, v16 :: v_dual_add_nc_u32 v29, 4, v15
	v_dual_mov_b32 v30, v16 :: v_dual_add_nc_u32 v37, 8, v15
	s_delay_alu instid0(VALU_DEP_3) | instskip(SKIP_1) | instid1(VALU_DEP_3)
	v_lshlrev_b64 v[18:19], 2, v[17:18]
	v_add_nc_u32_e32 v17, 32, v17
	v_lshlrev_b64 v[29:30], 3, v[29:30]
	s_delay_alu instid0(VALU_DEP_3) | instskip(NEXT) | instid1(VALU_DEP_4)
	v_add_co_u32 v18, vcc_lo, s6, v18
	v_add_co_ci_u32_e32 v19, vcc_lo, s7, v19, vcc_lo
	global_load_b32 v25, v[18:19], off
	v_lshlrev_b64 v[18:19], 3, v[15:16]
	v_add_nc_u32_e32 v15, 0x180, v15
	s_delay_alu instid0(VALU_DEP_2) | instskip(NEXT) | instid1(VALU_DEP_3)
	v_add_co_u32 v18, vcc_lo, s8, v18
	v_add_co_ci_u32_e32 v19, vcc_lo, s9, v19, vcc_lo
	global_load_b128 v[21:24], v[18:19], off offset:16
	s_waitcnt vmcnt(1)
	v_subrev_nc_u32_e32 v25, s12, v25
	s_delay_alu instid0(VALU_DEP_1) | instskip(NEXT) | instid1(VALU_DEP_1)
	v_lshl_add_u32 v41, v25, 1, v25
	v_dual_mov_b32 v34, v16 :: v_dual_add_nc_u32 v33, 1, v41
	v_lshlrev_b64 v[25:26], 3, v[41:42]
	v_add_nc_u32_e32 v41, 2, v41
	s_delay_alu instid0(VALU_DEP_3) | instskip(NEXT) | instid1(VALU_DEP_3)
	v_lshlrev_b64 v[33:34], 3, v[33:34]
	v_add_co_u32 v31, vcc_lo, s10, v25
	s_delay_alu instid0(VALU_DEP_4)
	v_add_co_ci_u32_e32 v32, vcc_lo, s11, v26, vcc_lo
	global_load_b128 v[25:28], v[18:19], off
	global_load_b64 v[18:19], v[31:32], off
	v_add_co_u32 v35, vcc_lo, s8, v29
	v_add_co_ci_u32_e32 v36, vcc_lo, s9, v30, vcc_lo
	v_add_co_u32 v38, vcc_lo, s10, v33
	v_add_co_ci_u32_e32 v39, vcc_lo, s11, v34, vcc_lo
	s_clause 0x1
	global_load_b128 v[29:32], v[35:36], off offset:16
	global_load_b128 v[33:36], v[35:36], off
	global_load_b64 v[45:46], v[38:39], off
	v_mov_b32_e32 v38, v16
	v_lshlrev_b64 v[41:42], 3, v[41:42]
	s_delay_alu instid0(VALU_DEP_2) | instskip(NEXT) | instid1(VALU_DEP_1)
	v_lshlrev_b64 v[37:38], 3, v[37:38]
	v_add_co_u32 v43, vcc_lo, s8, v37
	s_delay_alu instid0(VALU_DEP_2) | instskip(NEXT) | instid1(VALU_DEP_4)
	v_add_co_ci_u32_e32 v44, vcc_lo, s9, v38, vcc_lo
	v_add_co_u32 v47, vcc_lo, s10, v41
	v_add_co_ci_u32_e32 v48, vcc_lo, s11, v42, vcc_lo
	s_clause 0x1
	global_load_b128 v[37:40], v[43:44], off offset:16
	global_load_b128 v[41:44], v[43:44], off
	global_load_b64 v[47:48], v[47:48], off
	v_cmp_ge_i32_e32 vcc_lo, v17, v20
	s_or_b32 s4, vcc_lo, s4
	s_waitcnt vmcnt(6)
	v_fma_f64 v[6:7], v[25:26], v[18:19], v[6:7]
	v_fma_f64 v[12:13], v[27:28], v[18:19], v[12:13]
	;; [unrolled: 1-line block ×4, first 2 shown]
	s_waitcnt vmcnt(3)
	s_delay_alu instid0(VALU_DEP_4) | instskip(NEXT) | instid1(VALU_DEP_4)
	v_fma_f64 v[6:7], v[33:34], v[45:46], v[6:7]
	v_fma_f64 v[12:13], v[35:36], v[45:46], v[12:13]
	s_delay_alu instid0(VALU_DEP_4) | instskip(NEXT) | instid1(VALU_DEP_4)
	v_fma_f64 v[10:11], v[29:30], v[45:46], v[10:11]
	v_fma_f64 v[8:9], v[31:32], v[45:46], v[8:9]
	s_waitcnt vmcnt(0)
	s_delay_alu instid0(VALU_DEP_4) | instskip(NEXT) | instid1(VALU_DEP_4)
	v_fma_f64 v[6:7], v[41:42], v[47:48], v[6:7]
	v_fma_f64 v[12:13], v[43:44], v[47:48], v[12:13]
	s_delay_alu instid0(VALU_DEP_4) | instskip(NEXT) | instid1(VALU_DEP_4)
	v_fma_f64 v[10:11], v[37:38], v[47:48], v[10:11]
	v_fma_f64 v[8:9], v[39:40], v[47:48], v[8:9]
	s_and_not1_b32 exec_lo, exec_lo, s4
	s_cbranch_execnz .LBB50_9
; %bb.10:
	s_or_b32 exec_lo, exec_lo, s4
.LBB50_11:
	s_delay_alu instid0(SALU_CYCLE_1)
	s_or_b32 exec_lo, exec_lo, s3
	s_cbranch_execz .LBB50_13
	s_branch .LBB50_18
.LBB50_12:
                                        ; implicit-def: $vgpr6_vgpr7
                                        ; implicit-def: $vgpr8_vgpr9
                                        ; implicit-def: $vgpr10_vgpr11
                                        ; implicit-def: $vgpr12_vgpr13
.LBB50_13:
	v_mov_b32_e32 v6, 0
	v_mov_b32_e32 v7, 0
	s_delay_alu instid0(VALU_DEP_1)
	v_dual_mov_b32 v9, v7 :: v_dual_mov_b32 v8, v6
	v_dual_mov_b32 v11, v7 :: v_dual_mov_b32 v10, v6
	;; [unrolled: 1-line block ×3, first 2 shown]
	s_and_saveexec_b32 s3, s2
	s_cbranch_execz .LBB50_17
; %bb.14:
	v_dual_mov_b32 v6, 0 :: v_dual_mov_b32 v19, 0
	v_mov_b32_e32 v7, 0
	v_mad_u64_u32 v[16:17], null, v14, 12, 11
	s_mov_b32 s2, 0
	s_delay_alu instid0(VALU_DEP_2)
	v_dual_mov_b32 v9, v7 :: v_dual_mov_b32 v8, v6
	v_dual_mov_b32 v11, v7 :: v_dual_mov_b32 v10, v6
	v_dual_mov_b32 v13, v7 :: v_dual_mov_b32 v12, v6
.LBB50_15:                              ; =>This Inner Loop Header: Depth=1
	v_ashrrev_i32_e32 v15, 31, v14
	v_dual_mov_b32 v30, v19 :: v_dual_add_nc_u32 v21, -5, v16
	v_dual_mov_b32 v22, v19 :: v_dual_add_nc_u32 v23, -2, v16
	s_delay_alu instid0(VALU_DEP_3) | instskip(SKIP_2) | instid1(VALU_DEP_4)
	v_lshlrev_b64 v[17:18], 2, v[14:15]
	v_mov_b32_e32 v24, v19
	v_add_nc_u32_e32 v14, 32, v14
	v_lshlrev_b64 v[21:22], 3, v[21:22]
	s_delay_alu instid0(VALU_DEP_3) | instskip(SKIP_4) | instid1(VALU_DEP_1)
	v_lshlrev_b64 v[23:24], 3, v[23:24]
	v_add_co_u32 v17, vcc_lo, s6, v17
	v_add_co_ci_u32_e32 v18, vcc_lo, s7, v18, vcc_lo
	global_load_b32 v15, v[17:18], off
	v_dual_mov_b32 v17, v19 :: v_dual_add_nc_u32 v18, -11, v16
	v_lshlrev_b64 v[25:26], 3, v[18:19]
	s_delay_alu instid0(VALU_DEP_1) | instskip(NEXT) | instid1(VALU_DEP_2)
	v_add_co_u32 v25, vcc_lo, s8, v25
	v_add_co_ci_u32_e32 v26, vcc_lo, s9, v26, vcc_lo
	v_add_co_u32 v31, vcc_lo, s8, v21
	v_add_co_ci_u32_e32 v32, vcc_lo, s9, v22, vcc_lo
	;; [unrolled: 2-line block ×3, first 2 shown]
	s_clause 0x3
	global_load_b128 v[21:24], v[25:26], off offset:16
	global_load_b128 v[25:28], v[25:26], off
	global_load_b64 v[31:32], v[31:32], off
	global_load_b64 v[33:34], v[33:34], off
	s_waitcnt vmcnt(4)
	v_subrev_nc_u32_e32 v15, s12, v15
	s_delay_alu instid0(VALU_DEP_1) | instskip(NEXT) | instid1(VALU_DEP_1)
	v_lshl_add_u32 v29, v15, 1, v15
	v_lshlrev_b64 v[35:36], 3, v[29:30]
	v_add_nc_u32_e32 v18, 1, v29
	s_delay_alu instid0(VALU_DEP_1) | instskip(NEXT) | instid1(VALU_DEP_3)
	v_lshlrev_b64 v[37:38], 3, v[18:19]
	v_add_co_u32 v35, vcc_lo, s10, v35
	s_delay_alu instid0(VALU_DEP_4) | instskip(SKIP_1) | instid1(VALU_DEP_4)
	v_add_co_ci_u32_e32 v36, vcc_lo, s11, v36, vcc_lo
	v_add_nc_u32_e32 v18, -7, v16
	v_add_co_u32 v37, vcc_lo, s10, v37
	global_load_b64 v[35:36], v[35:36], off
	v_add_co_ci_u32_e32 v38, vcc_lo, s11, v38, vcc_lo
	v_lshlrev_b64 v[39:40], 3, v[18:19]
	v_add_nc_u32_e32 v18, -4, v16
	global_load_b64 v[37:38], v[37:38], off
	v_lshlrev_b64 v[41:42], 3, v[18:19]
	v_add_nc_u32_e32 v18, -1, v16
	v_add_co_u32 v39, vcc_lo, s8, v39
	v_add_co_ci_u32_e32 v40, vcc_lo, s9, v40, vcc_lo
	s_delay_alu instid0(VALU_DEP_3)
	v_lshlrev_b64 v[43:44], 3, v[18:19]
	v_add_co_u32 v41, vcc_lo, s8, v41
	v_add_co_ci_u32_e32 v42, vcc_lo, s9, v42, vcc_lo
	global_load_b64 v[39:40], v[39:40], off
	v_add_co_u32 v43, vcc_lo, s8, v43
	v_add_co_ci_u32_e32 v44, vcc_lo, s9, v44, vcc_lo
	s_clause 0x1
	global_load_b64 v[41:42], v[41:42], off
	global_load_b64 v[43:44], v[43:44], off
	v_lshlrev_b64 v[17:18], 3, v[16:17]
	s_delay_alu instid0(VALU_DEP_1) | instskip(NEXT) | instid1(VALU_DEP_2)
	v_add_co_u32 v45, vcc_lo, s8, v17
	v_add_co_ci_u32_e32 v46, vcc_lo, s9, v18, vcc_lo
	v_add_nc_u32_e32 v18, 2, v29
	s_delay_alu instid0(VALU_DEP_1) | instskip(SKIP_1) | instid1(VALU_DEP_1)
	v_lshlrev_b64 v[29:30], 3, v[18:19]
	v_add_nc_u32_e32 v18, -6, v16
	v_lshlrev_b64 v[47:48], 3, v[18:19]
	v_add_nc_u32_e32 v18, -3, v16
	s_delay_alu instid0(VALU_DEP_4) | instskip(SKIP_1) | instid1(VALU_DEP_3)
	v_add_co_u32 v29, vcc_lo, s10, v29
	v_add_co_ci_u32_e32 v30, vcc_lo, s11, v30, vcc_lo
	v_lshlrev_b64 v[17:18], 3, v[18:19]
	v_add_co_u32 v47, vcc_lo, s8, v47
	v_add_co_ci_u32_e32 v48, vcc_lo, s9, v48, vcc_lo
	v_add_nc_u32_e32 v16, 0x180, v16
	s_delay_alu instid0(VALU_DEP_4)
	v_add_co_u32 v17, vcc_lo, s8, v17
	v_add_co_ci_u32_e32 v18, vcc_lo, s9, v18, vcc_lo
	global_load_b64 v[29:30], v[29:30], off
	s_clause 0x2
	global_load_b64 v[47:48], v[47:48], off
	global_load_b64 v[17:18], v[17:18], off
	;; [unrolled: 1-line block ×3, first 2 shown]
	v_cmp_ge_i32_e32 vcc_lo, v14, v20
	s_or_b32 s2, vcc_lo, s2
	s_waitcnt vmcnt(8)
	v_fma_f64 v[6:7], v[25:26], v[35:36], v[6:7]
	v_fma_f64 v[12:13], v[23:24], v[35:36], v[12:13]
	;; [unrolled: 1-line block ×4, first 2 shown]
	s_waitcnt vmcnt(7)
	s_delay_alu instid0(VALU_DEP_4) | instskip(SKIP_1) | instid1(VALU_DEP_4)
	v_fma_f64 v[6:7], v[27:28], v[37:38], v[6:7]
	s_waitcnt vmcnt(6)
	v_fma_f64 v[12:13], v[39:40], v[37:38], v[12:13]
	s_waitcnt vmcnt(5)
	s_delay_alu instid0(VALU_DEP_4) | instskip(SKIP_1) | instid1(VALU_DEP_4)
	v_fma_f64 v[10:11], v[41:42], v[37:38], v[10:11]
	s_waitcnt vmcnt(4)
	v_fma_f64 v[8:9], v[43:44], v[37:38], v[8:9]
	;; [unrolled: 5-line block ×4, first 2 shown]
	s_and_not1_b32 exec_lo, exec_lo, s2
	s_cbranch_execnz .LBB50_15
; %bb.16:
	s_or_b32 exec_lo, exec_lo, s2
.LBB50_17:
	s_delay_alu instid0(SALU_CYCLE_1)
	s_or_b32 exec_lo, exec_lo, s3
.LBB50_18:
	v_mbcnt_lo_u32_b32 v24, -1, 0
	s_delay_alu instid0(VALU_DEP_1) | instskip(NEXT) | instid1(VALU_DEP_1)
	v_xor_b32_e32 v14, 16, v24
	v_cmp_gt_i32_e32 vcc_lo, 32, v14
	v_cndmask_b32_e32 v14, v24, v14, vcc_lo
	s_delay_alu instid0(VALU_DEP_1)
	v_lshlrev_b32_e32 v21, 2, v14
	ds_bpermute_b32 v14, v21, v6
	ds_bpermute_b32 v15, v21, v7
	;; [unrolled: 1-line block ×8, first 2 shown]
	s_waitcnt lgkmcnt(6)
	v_add_f64 v[6:7], v[6:7], v[14:15]
	v_xor_b32_e32 v14, 8, v24
	s_waitcnt lgkmcnt(4)
	v_add_f64 v[12:13], v[12:13], v[16:17]
	s_waitcnt lgkmcnt(2)
	v_add_f64 v[10:11], v[10:11], v[18:19]
	;; [unrolled: 2-line block ×3, first 2 shown]
	v_cmp_gt_i32_e32 vcc_lo, 32, v14
	v_cndmask_b32_e32 v14, v24, v14, vcc_lo
	s_delay_alu instid0(VALU_DEP_1)
	v_lshlrev_b32_e32 v21, 2, v14
	ds_bpermute_b32 v14, v21, v6
	ds_bpermute_b32 v15, v21, v7
	;; [unrolled: 1-line block ×8, first 2 shown]
	s_waitcnt lgkmcnt(6)
	v_add_f64 v[6:7], v[6:7], v[14:15]
	v_xor_b32_e32 v14, 4, v24
	s_waitcnt lgkmcnt(4)
	v_add_f64 v[12:13], v[12:13], v[16:17]
	s_waitcnt lgkmcnt(2)
	v_add_f64 v[10:11], v[10:11], v[18:19]
	;; [unrolled: 2-line block ×3, first 2 shown]
	v_cmp_gt_i32_e32 vcc_lo, 32, v14
	v_cndmask_b32_e32 v14, v24, v14, vcc_lo
	s_delay_alu instid0(VALU_DEP_1)
	v_lshlrev_b32_e32 v21, 2, v14
	ds_bpermute_b32 v14, v21, v6
	ds_bpermute_b32 v15, v21, v7
	;; [unrolled: 1-line block ×8, first 2 shown]
	s_waitcnt lgkmcnt(6)
	v_add_f64 v[6:7], v[6:7], v[14:15]
	s_waitcnt lgkmcnt(4)
	v_add_f64 v[12:13], v[12:13], v[16:17]
	;; [unrolled: 2-line block ×4, first 2 shown]
	v_xor_b32_e32 v8, 2, v24
	s_delay_alu instid0(VALU_DEP_1) | instskip(SKIP_1) | instid1(VALU_DEP_1)
	v_cmp_gt_i32_e32 vcc_lo, 32, v8
	v_cndmask_b32_e32 v8, v24, v8, vcc_lo
	v_lshlrev_b32_e32 v10, 2, v8
	ds_bpermute_b32 v8, v10, v6
	ds_bpermute_b32 v9, v10, v7
	;; [unrolled: 1-line block ×8, first 2 shown]
	s_waitcnt lgkmcnt(6)
	v_add_f64 v[10:11], v[6:7], v[8:9]
	s_waitcnt lgkmcnt(4)
	v_add_f64 v[8:9], v[12:13], v[18:19]
	v_xor_b32_e32 v12, 1, v24
	s_waitcnt lgkmcnt(2)
	v_add_f64 v[6:7], v[14:15], v[20:21]
	s_waitcnt lgkmcnt(0)
	v_add_f64 v[14:15], v[16:17], v[22:23]
	v_cmp_gt_i32_e32 vcc_lo, 32, v12
	v_cndmask_b32_e32 v12, v24, v12, vcc_lo
	v_cmp_eq_u32_e32 vcc_lo, 31, v0
	s_delay_alu instid0(VALU_DEP_2)
	v_lshlrev_b32_e32 v17, 2, v12
	ds_bpermute_b32 v12, v17, v10
	ds_bpermute_b32 v13, v17, v11
	;; [unrolled: 1-line block ×8, first 2 shown]
	s_and_b32 exec_lo, exec_lo, vcc_lo
	s_cbranch_execz .LBB50_23
; %bb.19:
	s_waitcnt lgkmcnt(6)
	v_add_f64 v[12:13], v[10:11], v[12:13]
	s_waitcnt lgkmcnt(4)
	v_add_f64 v[10:11], v[8:9], v[20:21]
	s_waitcnt lgkmcnt(2)
	v_add_f64 v[8:9], v[6:7], v[18:19]
	s_waitcnt lgkmcnt(0)
	v_add_f64 v[6:7], v[14:15], v[16:17]
	s_load_b64 s[0:1], s[0:1], 0x38
	s_mov_b32 s2, exec_lo
	v_cmpx_eq_f64_e32 0, v[3:4]
	s_xor_b32 s2, exec_lo, s2
	s_cbranch_execz .LBB50_21
; %bb.20:
	v_mul_f64 v[12:13], v[1:2], v[12:13]
	v_mul_f64 v[14:15], v[1:2], v[10:11]
	;; [unrolled: 1-line block ×4, first 2 shown]
	v_lshlrev_b32_e32 v0, 2, v5
                                        ; implicit-def: $vgpr5
                                        ; implicit-def: $vgpr3_vgpr4
                                        ; implicit-def: $vgpr6_vgpr7
	s_delay_alu instid0(VALU_DEP_1) | instskip(NEXT) | instid1(VALU_DEP_1)
	v_ashrrev_i32_e32 v1, 31, v0
	v_lshlrev_b64 v[0:1], 3, v[0:1]
	s_waitcnt lgkmcnt(0)
	s_delay_alu instid0(VALU_DEP_1) | instskip(NEXT) | instid1(VALU_DEP_2)
	v_add_co_u32 v0, vcc_lo, s0, v0
	v_add_co_ci_u32_e32 v1, vcc_lo, s1, v1, vcc_lo
	s_clause 0x1
	global_store_b128 v[0:1], v[12:15], off
	global_store_b128 v[0:1], v[8:11], off offset:16
                                        ; implicit-def: $vgpr1_vgpr2
                                        ; implicit-def: $vgpr12_vgpr13
                                        ; implicit-def: $vgpr10_vgpr11
                                        ; implicit-def: $vgpr8_vgpr9
.LBB50_21:
	s_and_not1_saveexec_b32 s2, s2
	s_cbranch_execz .LBB50_23
; %bb.22:
	v_lshlrev_b32_e32 v14, 2, v5
	v_mul_f64 v[12:13], v[1:2], v[12:13]
	v_mul_f64 v[10:11], v[1:2], v[10:11]
	;; [unrolled: 1-line block ×4, first 2 shown]
	v_ashrrev_i32_e32 v15, 31, v14
	s_delay_alu instid0(VALU_DEP_1) | instskip(SKIP_1) | instid1(VALU_DEP_1)
	v_lshlrev_b64 v[14:15], 3, v[14:15]
	s_waitcnt lgkmcnt(0)
	v_add_co_u32 v22, vcc_lo, s0, v14
	s_delay_alu instid0(VALU_DEP_2)
	v_add_co_ci_u32_e32 v23, vcc_lo, s1, v15, vcc_lo
	s_clause 0x1
	global_load_b128 v[14:17], v[22:23], off
	global_load_b128 v[18:21], v[22:23], off offset:16
	s_waitcnt vmcnt(1)
	v_fma_f64 v[5:6], v[3:4], v[14:15], v[12:13]
	v_fma_f64 v[7:8], v[3:4], v[16:17], v[10:11]
	s_waitcnt vmcnt(0)
	v_fma_f64 v[0:1], v[3:4], v[18:19], v[24:25]
	v_fma_f64 v[2:3], v[3:4], v[20:21], v[26:27]
	s_clause 0x1
	global_store_b128 v[22:23], v[5:8], off
	global_store_b128 v[22:23], v[0:3], off offset:16
.LBB50_23:
	s_nop 0
	s_sendmsg sendmsg(MSG_DEALLOC_VGPRS)
	s_endpgm
	.section	.rodata,"a",@progbits
	.p2align	6, 0x0
	.amdhsa_kernel _ZN9rocsparseL19gebsrmvn_4xn_kernelILj128ELj3ELj32EdEEvi20rocsparse_direction_NS_24const_host_device_scalarIT2_EEPKiS6_PKS3_S8_S4_PS3_21rocsparse_index_base_b
		.amdhsa_group_segment_fixed_size 0
		.amdhsa_private_segment_fixed_size 0
		.amdhsa_kernarg_size 72
		.amdhsa_user_sgpr_count 15
		.amdhsa_user_sgpr_dispatch_ptr 0
		.amdhsa_user_sgpr_queue_ptr 0
		.amdhsa_user_sgpr_kernarg_segment_ptr 1
		.amdhsa_user_sgpr_dispatch_id 0
		.amdhsa_user_sgpr_private_segment_size 0
		.amdhsa_wavefront_size32 1
		.amdhsa_uses_dynamic_stack 0
		.amdhsa_enable_private_segment 0
		.amdhsa_system_sgpr_workgroup_id_x 1
		.amdhsa_system_sgpr_workgroup_id_y 0
		.amdhsa_system_sgpr_workgroup_id_z 0
		.amdhsa_system_sgpr_workgroup_info 0
		.amdhsa_system_vgpr_workitem_id 0
		.amdhsa_next_free_vgpr 49
		.amdhsa_next_free_sgpr 16
		.amdhsa_reserve_vcc 1
		.amdhsa_float_round_mode_32 0
		.amdhsa_float_round_mode_16_64 0
		.amdhsa_float_denorm_mode_32 3
		.amdhsa_float_denorm_mode_16_64 3
		.amdhsa_dx10_clamp 1
		.amdhsa_ieee_mode 1
		.amdhsa_fp16_overflow 0
		.amdhsa_workgroup_processor_mode 1
		.amdhsa_memory_ordered 1
		.amdhsa_forward_progress 0
		.amdhsa_shared_vgpr_count 0
		.amdhsa_exception_fp_ieee_invalid_op 0
		.amdhsa_exception_fp_denorm_src 0
		.amdhsa_exception_fp_ieee_div_zero 0
		.amdhsa_exception_fp_ieee_overflow 0
		.amdhsa_exception_fp_ieee_underflow 0
		.amdhsa_exception_fp_ieee_inexact 0
		.amdhsa_exception_int_div_zero 0
	.end_amdhsa_kernel
	.section	.text._ZN9rocsparseL19gebsrmvn_4xn_kernelILj128ELj3ELj32EdEEvi20rocsparse_direction_NS_24const_host_device_scalarIT2_EEPKiS6_PKS3_S8_S4_PS3_21rocsparse_index_base_b,"axG",@progbits,_ZN9rocsparseL19gebsrmvn_4xn_kernelILj128ELj3ELj32EdEEvi20rocsparse_direction_NS_24const_host_device_scalarIT2_EEPKiS6_PKS3_S8_S4_PS3_21rocsparse_index_base_b,comdat
.Lfunc_end50:
	.size	_ZN9rocsparseL19gebsrmvn_4xn_kernelILj128ELj3ELj32EdEEvi20rocsparse_direction_NS_24const_host_device_scalarIT2_EEPKiS6_PKS3_S8_S4_PS3_21rocsparse_index_base_b, .Lfunc_end50-_ZN9rocsparseL19gebsrmvn_4xn_kernelILj128ELj3ELj32EdEEvi20rocsparse_direction_NS_24const_host_device_scalarIT2_EEPKiS6_PKS3_S8_S4_PS3_21rocsparse_index_base_b
                                        ; -- End function
	.section	.AMDGPU.csdata,"",@progbits
; Kernel info:
; codeLenInByte = 2620
; NumSgprs: 18
; NumVgprs: 49
; ScratchSize: 0
; MemoryBound: 0
; FloatMode: 240
; IeeeMode: 1
; LDSByteSize: 0 bytes/workgroup (compile time only)
; SGPRBlocks: 2
; VGPRBlocks: 6
; NumSGPRsForWavesPerEU: 18
; NumVGPRsForWavesPerEU: 49
; Occupancy: 16
; WaveLimiterHint : 1
; COMPUTE_PGM_RSRC2:SCRATCH_EN: 0
; COMPUTE_PGM_RSRC2:USER_SGPR: 15
; COMPUTE_PGM_RSRC2:TRAP_HANDLER: 0
; COMPUTE_PGM_RSRC2:TGID_X_EN: 1
; COMPUTE_PGM_RSRC2:TGID_Y_EN: 0
; COMPUTE_PGM_RSRC2:TGID_Z_EN: 0
; COMPUTE_PGM_RSRC2:TIDIG_COMP_CNT: 0
	.section	.text._ZN9rocsparseL19gebsrmvn_4xn_kernelILj128ELj3ELj64EdEEvi20rocsparse_direction_NS_24const_host_device_scalarIT2_EEPKiS6_PKS3_S8_S4_PS3_21rocsparse_index_base_b,"axG",@progbits,_ZN9rocsparseL19gebsrmvn_4xn_kernelILj128ELj3ELj64EdEEvi20rocsparse_direction_NS_24const_host_device_scalarIT2_EEPKiS6_PKS3_S8_S4_PS3_21rocsparse_index_base_b,comdat
	.globl	_ZN9rocsparseL19gebsrmvn_4xn_kernelILj128ELj3ELj64EdEEvi20rocsparse_direction_NS_24const_host_device_scalarIT2_EEPKiS6_PKS3_S8_S4_PS3_21rocsparse_index_base_b ; -- Begin function _ZN9rocsparseL19gebsrmvn_4xn_kernelILj128ELj3ELj64EdEEvi20rocsparse_direction_NS_24const_host_device_scalarIT2_EEPKiS6_PKS3_S8_S4_PS3_21rocsparse_index_base_b
	.p2align	8
	.type	_ZN9rocsparseL19gebsrmvn_4xn_kernelILj128ELj3ELj64EdEEvi20rocsparse_direction_NS_24const_host_device_scalarIT2_EEPKiS6_PKS3_S8_S4_PS3_21rocsparse_index_base_b,@function
_ZN9rocsparseL19gebsrmvn_4xn_kernelILj128ELj3ELj64EdEEvi20rocsparse_direction_NS_24const_host_device_scalarIT2_EEPKiS6_PKS3_S8_S4_PS3_21rocsparse_index_base_b: ; @_ZN9rocsparseL19gebsrmvn_4xn_kernelILj128ELj3ELj64EdEEvi20rocsparse_direction_NS_24const_host_device_scalarIT2_EEPKiS6_PKS3_S8_S4_PS3_21rocsparse_index_base_b
; %bb.0:
	s_clause 0x2
	s_load_b64 s[12:13], s[0:1], 0x40
	s_load_b64 s[4:5], s[0:1], 0x8
	;; [unrolled: 1-line block ×3, first 2 shown]
	s_waitcnt lgkmcnt(0)
	s_bitcmp1_b32 s13, 0
	v_dual_mov_b32 v1, s4 :: v_dual_mov_b32 v2, s5
	s_cselect_b32 s6, -1, 0
	s_delay_alu instid0(SALU_CYCLE_1)
	s_and_b32 vcc_lo, exec_lo, s6
	s_xor_b32 s6, s6, -1
	s_cbranch_vccnz .LBB51_2
; %bb.1:
	v_dual_mov_b32 v1, s4 :: v_dual_mov_b32 v2, s5
	flat_load_b64 v[1:2], v[1:2]
.LBB51_2:
	v_dual_mov_b32 v4, s3 :: v_dual_mov_b32 v3, s2
	s_and_not1_b32 vcc_lo, exec_lo, s6
	s_cbranch_vccnz .LBB51_4
; %bb.3:
	v_dual_mov_b32 v4, s3 :: v_dual_mov_b32 v3, s2
	flat_load_b64 v[3:4], v[3:4]
.LBB51_4:
	s_waitcnt vmcnt(0) lgkmcnt(0)
	v_cmp_neq_f64_e32 vcc_lo, 0, v[1:2]
	v_cmp_neq_f64_e64 s2, 1.0, v[3:4]
	s_delay_alu instid0(VALU_DEP_1) | instskip(NEXT) | instid1(SALU_CYCLE_1)
	s_or_b32 s2, vcc_lo, s2
	s_and_saveexec_b32 s3, s2
	s_cbranch_execz .LBB51_23
; %bb.5:
	s_load_b64 s[2:3], s[0:1], 0x0
	v_lshrrev_b32_e32 v5, 6, v0
	s_delay_alu instid0(VALU_DEP_1) | instskip(SKIP_1) | instid1(VALU_DEP_1)
	v_lshl_or_b32 v5, s15, 1, v5
	s_waitcnt lgkmcnt(0)
	v_cmp_gt_i32_e32 vcc_lo, s2, v5
	s_and_b32 exec_lo, exec_lo, vcc_lo
	s_cbranch_execz .LBB51_23
; %bb.6:
	s_load_b256 s[4:11], s[0:1], 0x10
	v_ashrrev_i32_e32 v6, 31, v5
	v_and_b32_e32 v0, 63, v0
	s_cmp_lg_u32 s3, 0
	s_delay_alu instid0(VALU_DEP_2) | instskip(SKIP_1) | instid1(VALU_DEP_1)
	v_lshlrev_b64 v[6:7], 2, v[5:6]
	s_waitcnt lgkmcnt(0)
	v_add_co_u32 v6, vcc_lo, s4, v6
	s_delay_alu instid0(VALU_DEP_2) | instskip(SKIP_4) | instid1(VALU_DEP_2)
	v_add_co_ci_u32_e32 v7, vcc_lo, s5, v7, vcc_lo
	global_load_b64 v[6:7], v[6:7], off
	s_waitcnt vmcnt(0)
	v_subrev_nc_u32_e32 v6, s12, v6
	v_subrev_nc_u32_e32 v20, s12, v7
	v_add_nc_u32_e32 v14, v6, v0
	s_delay_alu instid0(VALU_DEP_1)
	v_cmp_lt_i32_e64 s2, v14, v20
	s_cbranch_scc0 .LBB51_12
; %bb.7:
	v_mov_b32_e32 v6, 0
	v_mov_b32_e32 v7, 0
	s_delay_alu instid0(VALU_DEP_1)
	v_dual_mov_b32 v9, v7 :: v_dual_mov_b32 v8, v6
	v_dual_mov_b32 v11, v7 :: v_dual_mov_b32 v10, v6
	;; [unrolled: 1-line block ×3, first 2 shown]
	s_and_saveexec_b32 s3, s2
	s_cbranch_execz .LBB51_11
; %bb.8:
	v_dual_mov_b32 v6, 0 :: v_dual_mov_b32 v17, v14
	v_dual_mov_b32 v7, 0 :: v_dual_mov_b32 v16, 0
	v_mul_lo_u32 v15, v14, 12
	s_mov_b32 s4, 0
	s_delay_alu instid0(VALU_DEP_2)
	v_dual_mov_b32 v9, v7 :: v_dual_mov_b32 v8, v6
	v_dual_mov_b32 v11, v7 :: v_dual_mov_b32 v10, v6
	;; [unrolled: 1-line block ×3, first 2 shown]
.LBB51_9:                               ; =>This Inner Loop Header: Depth=1
	v_ashrrev_i32_e32 v18, 31, v17
	v_dual_mov_b32 v42, v16 :: v_dual_add_nc_u32 v29, 4, v15
	v_dual_mov_b32 v30, v16 :: v_dual_add_nc_u32 v37, 8, v15
	s_delay_alu instid0(VALU_DEP_3) | instskip(SKIP_1) | instid1(VALU_DEP_3)
	v_lshlrev_b64 v[18:19], 2, v[17:18]
	v_add_nc_u32_e32 v17, 64, v17
	v_lshlrev_b64 v[29:30], 3, v[29:30]
	s_delay_alu instid0(VALU_DEP_3) | instskip(NEXT) | instid1(VALU_DEP_4)
	v_add_co_u32 v18, vcc_lo, s6, v18
	v_add_co_ci_u32_e32 v19, vcc_lo, s7, v19, vcc_lo
	global_load_b32 v25, v[18:19], off
	v_lshlrev_b64 v[18:19], 3, v[15:16]
	v_add_nc_u32_e32 v15, 0x300, v15
	s_delay_alu instid0(VALU_DEP_2) | instskip(NEXT) | instid1(VALU_DEP_3)
	v_add_co_u32 v18, vcc_lo, s8, v18
	v_add_co_ci_u32_e32 v19, vcc_lo, s9, v19, vcc_lo
	global_load_b128 v[21:24], v[18:19], off offset:16
	s_waitcnt vmcnt(1)
	v_subrev_nc_u32_e32 v25, s12, v25
	s_delay_alu instid0(VALU_DEP_1) | instskip(NEXT) | instid1(VALU_DEP_1)
	v_lshl_add_u32 v41, v25, 1, v25
	v_dual_mov_b32 v34, v16 :: v_dual_add_nc_u32 v33, 1, v41
	v_lshlrev_b64 v[25:26], 3, v[41:42]
	v_add_nc_u32_e32 v41, 2, v41
	s_delay_alu instid0(VALU_DEP_3) | instskip(NEXT) | instid1(VALU_DEP_3)
	v_lshlrev_b64 v[33:34], 3, v[33:34]
	v_add_co_u32 v31, vcc_lo, s10, v25
	s_delay_alu instid0(VALU_DEP_4)
	v_add_co_ci_u32_e32 v32, vcc_lo, s11, v26, vcc_lo
	global_load_b128 v[25:28], v[18:19], off
	global_load_b64 v[18:19], v[31:32], off
	v_add_co_u32 v35, vcc_lo, s8, v29
	v_add_co_ci_u32_e32 v36, vcc_lo, s9, v30, vcc_lo
	v_add_co_u32 v38, vcc_lo, s10, v33
	v_add_co_ci_u32_e32 v39, vcc_lo, s11, v34, vcc_lo
	s_clause 0x1
	global_load_b128 v[29:32], v[35:36], off offset:16
	global_load_b128 v[33:36], v[35:36], off
	global_load_b64 v[45:46], v[38:39], off
	v_mov_b32_e32 v38, v16
	v_lshlrev_b64 v[41:42], 3, v[41:42]
	s_delay_alu instid0(VALU_DEP_2) | instskip(NEXT) | instid1(VALU_DEP_1)
	v_lshlrev_b64 v[37:38], 3, v[37:38]
	v_add_co_u32 v43, vcc_lo, s8, v37
	s_delay_alu instid0(VALU_DEP_2) | instskip(NEXT) | instid1(VALU_DEP_4)
	v_add_co_ci_u32_e32 v44, vcc_lo, s9, v38, vcc_lo
	v_add_co_u32 v47, vcc_lo, s10, v41
	v_add_co_ci_u32_e32 v48, vcc_lo, s11, v42, vcc_lo
	s_clause 0x1
	global_load_b128 v[37:40], v[43:44], off offset:16
	global_load_b128 v[41:44], v[43:44], off
	global_load_b64 v[47:48], v[47:48], off
	v_cmp_ge_i32_e32 vcc_lo, v17, v20
	s_or_b32 s4, vcc_lo, s4
	s_waitcnt vmcnt(6)
	v_fma_f64 v[6:7], v[25:26], v[18:19], v[6:7]
	v_fma_f64 v[12:13], v[27:28], v[18:19], v[12:13]
	;; [unrolled: 1-line block ×4, first 2 shown]
	s_waitcnt vmcnt(3)
	s_delay_alu instid0(VALU_DEP_4) | instskip(NEXT) | instid1(VALU_DEP_4)
	v_fma_f64 v[6:7], v[33:34], v[45:46], v[6:7]
	v_fma_f64 v[12:13], v[35:36], v[45:46], v[12:13]
	s_delay_alu instid0(VALU_DEP_4) | instskip(NEXT) | instid1(VALU_DEP_4)
	v_fma_f64 v[10:11], v[29:30], v[45:46], v[10:11]
	v_fma_f64 v[8:9], v[31:32], v[45:46], v[8:9]
	s_waitcnt vmcnt(0)
	s_delay_alu instid0(VALU_DEP_4) | instskip(NEXT) | instid1(VALU_DEP_4)
	v_fma_f64 v[6:7], v[41:42], v[47:48], v[6:7]
	v_fma_f64 v[12:13], v[43:44], v[47:48], v[12:13]
	s_delay_alu instid0(VALU_DEP_4) | instskip(NEXT) | instid1(VALU_DEP_4)
	v_fma_f64 v[10:11], v[37:38], v[47:48], v[10:11]
	v_fma_f64 v[8:9], v[39:40], v[47:48], v[8:9]
	s_and_not1_b32 exec_lo, exec_lo, s4
	s_cbranch_execnz .LBB51_9
; %bb.10:
	s_or_b32 exec_lo, exec_lo, s4
.LBB51_11:
	s_delay_alu instid0(SALU_CYCLE_1)
	s_or_b32 exec_lo, exec_lo, s3
	s_cbranch_execz .LBB51_13
	s_branch .LBB51_18
.LBB51_12:
                                        ; implicit-def: $vgpr6_vgpr7
                                        ; implicit-def: $vgpr8_vgpr9
                                        ; implicit-def: $vgpr10_vgpr11
                                        ; implicit-def: $vgpr12_vgpr13
.LBB51_13:
	v_mov_b32_e32 v6, 0
	v_mov_b32_e32 v7, 0
	s_delay_alu instid0(VALU_DEP_1)
	v_dual_mov_b32 v9, v7 :: v_dual_mov_b32 v8, v6
	v_dual_mov_b32 v11, v7 :: v_dual_mov_b32 v10, v6
	v_dual_mov_b32 v13, v7 :: v_dual_mov_b32 v12, v6
	s_and_saveexec_b32 s3, s2
	s_cbranch_execz .LBB51_17
; %bb.14:
	v_dual_mov_b32 v6, 0 :: v_dual_mov_b32 v19, 0
	v_mov_b32_e32 v7, 0
	v_mad_u64_u32 v[16:17], null, v14, 12, 11
	s_mov_b32 s2, 0
	s_delay_alu instid0(VALU_DEP_2)
	v_dual_mov_b32 v9, v7 :: v_dual_mov_b32 v8, v6
	v_dual_mov_b32 v11, v7 :: v_dual_mov_b32 v10, v6
	v_dual_mov_b32 v13, v7 :: v_dual_mov_b32 v12, v6
.LBB51_15:                              ; =>This Inner Loop Header: Depth=1
	v_ashrrev_i32_e32 v15, 31, v14
	v_dual_mov_b32 v30, v19 :: v_dual_add_nc_u32 v21, -5, v16
	v_dual_mov_b32 v22, v19 :: v_dual_add_nc_u32 v23, -2, v16
	s_delay_alu instid0(VALU_DEP_3) | instskip(SKIP_2) | instid1(VALU_DEP_4)
	v_lshlrev_b64 v[17:18], 2, v[14:15]
	v_mov_b32_e32 v24, v19
	v_add_nc_u32_e32 v14, 64, v14
	v_lshlrev_b64 v[21:22], 3, v[21:22]
	s_delay_alu instid0(VALU_DEP_3) | instskip(SKIP_4) | instid1(VALU_DEP_1)
	v_lshlrev_b64 v[23:24], 3, v[23:24]
	v_add_co_u32 v17, vcc_lo, s6, v17
	v_add_co_ci_u32_e32 v18, vcc_lo, s7, v18, vcc_lo
	global_load_b32 v15, v[17:18], off
	v_dual_mov_b32 v17, v19 :: v_dual_add_nc_u32 v18, -11, v16
	v_lshlrev_b64 v[25:26], 3, v[18:19]
	s_delay_alu instid0(VALU_DEP_1) | instskip(NEXT) | instid1(VALU_DEP_2)
	v_add_co_u32 v25, vcc_lo, s8, v25
	v_add_co_ci_u32_e32 v26, vcc_lo, s9, v26, vcc_lo
	v_add_co_u32 v31, vcc_lo, s8, v21
	v_add_co_ci_u32_e32 v32, vcc_lo, s9, v22, vcc_lo
	;; [unrolled: 2-line block ×3, first 2 shown]
	s_clause 0x3
	global_load_b128 v[21:24], v[25:26], off offset:16
	global_load_b128 v[25:28], v[25:26], off
	global_load_b64 v[31:32], v[31:32], off
	global_load_b64 v[33:34], v[33:34], off
	s_waitcnt vmcnt(4)
	v_subrev_nc_u32_e32 v15, s12, v15
	s_delay_alu instid0(VALU_DEP_1) | instskip(NEXT) | instid1(VALU_DEP_1)
	v_lshl_add_u32 v29, v15, 1, v15
	v_lshlrev_b64 v[35:36], 3, v[29:30]
	v_add_nc_u32_e32 v18, 1, v29
	s_delay_alu instid0(VALU_DEP_1) | instskip(NEXT) | instid1(VALU_DEP_3)
	v_lshlrev_b64 v[37:38], 3, v[18:19]
	v_add_co_u32 v35, vcc_lo, s10, v35
	s_delay_alu instid0(VALU_DEP_4) | instskip(SKIP_1) | instid1(VALU_DEP_4)
	v_add_co_ci_u32_e32 v36, vcc_lo, s11, v36, vcc_lo
	v_add_nc_u32_e32 v18, -7, v16
	v_add_co_u32 v37, vcc_lo, s10, v37
	global_load_b64 v[35:36], v[35:36], off
	v_add_co_ci_u32_e32 v38, vcc_lo, s11, v38, vcc_lo
	v_lshlrev_b64 v[39:40], 3, v[18:19]
	v_add_nc_u32_e32 v18, -4, v16
	global_load_b64 v[37:38], v[37:38], off
	v_lshlrev_b64 v[41:42], 3, v[18:19]
	v_add_nc_u32_e32 v18, -1, v16
	v_add_co_u32 v39, vcc_lo, s8, v39
	v_add_co_ci_u32_e32 v40, vcc_lo, s9, v40, vcc_lo
	s_delay_alu instid0(VALU_DEP_3)
	v_lshlrev_b64 v[43:44], 3, v[18:19]
	v_add_co_u32 v41, vcc_lo, s8, v41
	v_add_co_ci_u32_e32 v42, vcc_lo, s9, v42, vcc_lo
	global_load_b64 v[39:40], v[39:40], off
	v_add_co_u32 v43, vcc_lo, s8, v43
	v_add_co_ci_u32_e32 v44, vcc_lo, s9, v44, vcc_lo
	s_clause 0x1
	global_load_b64 v[41:42], v[41:42], off
	global_load_b64 v[43:44], v[43:44], off
	v_lshlrev_b64 v[17:18], 3, v[16:17]
	s_delay_alu instid0(VALU_DEP_1) | instskip(NEXT) | instid1(VALU_DEP_2)
	v_add_co_u32 v45, vcc_lo, s8, v17
	v_add_co_ci_u32_e32 v46, vcc_lo, s9, v18, vcc_lo
	v_add_nc_u32_e32 v18, 2, v29
	s_delay_alu instid0(VALU_DEP_1) | instskip(SKIP_1) | instid1(VALU_DEP_1)
	v_lshlrev_b64 v[29:30], 3, v[18:19]
	v_add_nc_u32_e32 v18, -6, v16
	v_lshlrev_b64 v[47:48], 3, v[18:19]
	v_add_nc_u32_e32 v18, -3, v16
	s_delay_alu instid0(VALU_DEP_4) | instskip(SKIP_1) | instid1(VALU_DEP_3)
	v_add_co_u32 v29, vcc_lo, s10, v29
	v_add_co_ci_u32_e32 v30, vcc_lo, s11, v30, vcc_lo
	v_lshlrev_b64 v[17:18], 3, v[18:19]
	v_add_co_u32 v47, vcc_lo, s8, v47
	v_add_co_ci_u32_e32 v48, vcc_lo, s9, v48, vcc_lo
	v_add_nc_u32_e32 v16, 0x300, v16
	s_delay_alu instid0(VALU_DEP_4)
	v_add_co_u32 v17, vcc_lo, s8, v17
	v_add_co_ci_u32_e32 v18, vcc_lo, s9, v18, vcc_lo
	global_load_b64 v[29:30], v[29:30], off
	s_clause 0x2
	global_load_b64 v[47:48], v[47:48], off
	global_load_b64 v[17:18], v[17:18], off
	;; [unrolled: 1-line block ×3, first 2 shown]
	v_cmp_ge_i32_e32 vcc_lo, v14, v20
	s_or_b32 s2, vcc_lo, s2
	s_waitcnt vmcnt(8)
	v_fma_f64 v[6:7], v[25:26], v[35:36], v[6:7]
	v_fma_f64 v[12:13], v[23:24], v[35:36], v[12:13]
	;; [unrolled: 1-line block ×4, first 2 shown]
	s_waitcnt vmcnt(7)
	s_delay_alu instid0(VALU_DEP_4) | instskip(SKIP_1) | instid1(VALU_DEP_4)
	v_fma_f64 v[6:7], v[27:28], v[37:38], v[6:7]
	s_waitcnt vmcnt(6)
	v_fma_f64 v[12:13], v[39:40], v[37:38], v[12:13]
	s_waitcnt vmcnt(5)
	s_delay_alu instid0(VALU_DEP_4) | instskip(SKIP_1) | instid1(VALU_DEP_4)
	v_fma_f64 v[10:11], v[41:42], v[37:38], v[10:11]
	s_waitcnt vmcnt(4)
	v_fma_f64 v[8:9], v[43:44], v[37:38], v[8:9]
	s_waitcnt vmcnt(3)
	s_delay_alu instid0(VALU_DEP_4) | instskip(SKIP_1) | instid1(VALU_DEP_4)
	v_fma_f64 v[6:7], v[21:22], v[29:30], v[6:7]
	s_waitcnt vmcnt(2)
	v_fma_f64 v[12:13], v[47:48], v[29:30], v[12:13]
	s_waitcnt vmcnt(1)
	s_delay_alu instid0(VALU_DEP_4) | instskip(SKIP_1) | instid1(VALU_DEP_4)
	v_fma_f64 v[10:11], v[17:18], v[29:30], v[10:11]
	s_waitcnt vmcnt(0)
	v_fma_f64 v[8:9], v[45:46], v[29:30], v[8:9]
	s_and_not1_b32 exec_lo, exec_lo, s2
	s_cbranch_execnz .LBB51_15
; %bb.16:
	s_or_b32 exec_lo, exec_lo, s2
.LBB51_17:
	s_delay_alu instid0(SALU_CYCLE_1)
	s_or_b32 exec_lo, exec_lo, s3
.LBB51_18:
	v_mbcnt_lo_u32_b32 v24, -1, 0
	s_delay_alu instid0(VALU_DEP_1) | instskip(NEXT) | instid1(VALU_DEP_1)
	v_or_b32_e32 v14, 32, v24
	v_cmp_gt_i32_e32 vcc_lo, 32, v14
	v_cndmask_b32_e32 v14, v24, v14, vcc_lo
	s_delay_alu instid0(VALU_DEP_1)
	v_lshlrev_b32_e32 v21, 2, v14
	ds_bpermute_b32 v14, v21, v6
	ds_bpermute_b32 v15, v21, v7
	ds_bpermute_b32 v16, v21, v12
	ds_bpermute_b32 v17, v21, v13
	ds_bpermute_b32 v18, v21, v10
	ds_bpermute_b32 v19, v21, v11
	ds_bpermute_b32 v20, v21, v8
	ds_bpermute_b32 v21, v21, v9
	s_waitcnt lgkmcnt(6)
	v_add_f64 v[6:7], v[6:7], v[14:15]
	v_xor_b32_e32 v14, 16, v24
	s_waitcnt lgkmcnt(4)
	v_add_f64 v[12:13], v[12:13], v[16:17]
	s_waitcnt lgkmcnt(2)
	v_add_f64 v[10:11], v[10:11], v[18:19]
	s_waitcnt lgkmcnt(0)
	v_add_f64 v[8:9], v[8:9], v[20:21]
	v_cmp_gt_i32_e32 vcc_lo, 32, v14
	v_cndmask_b32_e32 v14, v24, v14, vcc_lo
	s_delay_alu instid0(VALU_DEP_1)
	v_lshlrev_b32_e32 v21, 2, v14
	ds_bpermute_b32 v14, v21, v6
	ds_bpermute_b32 v15, v21, v7
	ds_bpermute_b32 v16, v21, v12
	ds_bpermute_b32 v17, v21, v13
	ds_bpermute_b32 v18, v21, v10
	ds_bpermute_b32 v19, v21, v11
	ds_bpermute_b32 v20, v21, v8
	ds_bpermute_b32 v21, v21, v9
	s_waitcnt lgkmcnt(6)
	v_add_f64 v[6:7], v[6:7], v[14:15]
	v_xor_b32_e32 v14, 8, v24
	s_waitcnt lgkmcnt(4)
	v_add_f64 v[12:13], v[12:13], v[16:17]
	s_waitcnt lgkmcnt(2)
	v_add_f64 v[10:11], v[10:11], v[18:19]
	s_waitcnt lgkmcnt(0)
	v_add_f64 v[8:9], v[8:9], v[20:21]
	;; [unrolled: 21-line block ×3, first 2 shown]
	v_cmp_gt_i32_e32 vcc_lo, 32, v14
	v_cndmask_b32_e32 v14, v24, v14, vcc_lo
	s_delay_alu instid0(VALU_DEP_1)
	v_lshlrev_b32_e32 v21, 2, v14
	ds_bpermute_b32 v14, v21, v6
	ds_bpermute_b32 v15, v21, v7
	ds_bpermute_b32 v16, v21, v12
	ds_bpermute_b32 v17, v21, v13
	ds_bpermute_b32 v18, v21, v10
	ds_bpermute_b32 v19, v21, v11
	ds_bpermute_b32 v20, v21, v8
	ds_bpermute_b32 v21, v21, v9
	s_waitcnt lgkmcnt(6)
	v_add_f64 v[6:7], v[6:7], v[14:15]
	s_waitcnt lgkmcnt(4)
	v_add_f64 v[12:13], v[12:13], v[16:17]
	;; [unrolled: 2-line block ×4, first 2 shown]
	v_xor_b32_e32 v8, 2, v24
	s_delay_alu instid0(VALU_DEP_1) | instskip(SKIP_1) | instid1(VALU_DEP_1)
	v_cmp_gt_i32_e32 vcc_lo, 32, v8
	v_cndmask_b32_e32 v8, v24, v8, vcc_lo
	v_lshlrev_b32_e32 v10, 2, v8
	ds_bpermute_b32 v8, v10, v6
	ds_bpermute_b32 v9, v10, v7
	;; [unrolled: 1-line block ×8, first 2 shown]
	s_waitcnt lgkmcnt(6)
	v_add_f64 v[10:11], v[6:7], v[8:9]
	s_waitcnt lgkmcnt(4)
	v_add_f64 v[8:9], v[12:13], v[18:19]
	v_xor_b32_e32 v12, 1, v24
	s_waitcnt lgkmcnt(2)
	v_add_f64 v[6:7], v[14:15], v[20:21]
	s_waitcnt lgkmcnt(0)
	v_add_f64 v[14:15], v[16:17], v[22:23]
	v_cmp_gt_i32_e32 vcc_lo, 32, v12
	v_cndmask_b32_e32 v12, v24, v12, vcc_lo
	v_cmp_eq_u32_e32 vcc_lo, 63, v0
	s_delay_alu instid0(VALU_DEP_2)
	v_lshlrev_b32_e32 v17, 2, v12
	ds_bpermute_b32 v12, v17, v10
	ds_bpermute_b32 v13, v17, v11
	;; [unrolled: 1-line block ×8, first 2 shown]
	s_and_b32 exec_lo, exec_lo, vcc_lo
	s_cbranch_execz .LBB51_23
; %bb.19:
	s_waitcnt lgkmcnt(6)
	v_add_f64 v[12:13], v[10:11], v[12:13]
	s_waitcnt lgkmcnt(4)
	v_add_f64 v[10:11], v[8:9], v[20:21]
	;; [unrolled: 2-line block ×4, first 2 shown]
	s_load_b64 s[0:1], s[0:1], 0x38
	s_mov_b32 s2, exec_lo
	v_cmpx_eq_f64_e32 0, v[3:4]
	s_xor_b32 s2, exec_lo, s2
	s_cbranch_execz .LBB51_21
; %bb.20:
	v_mul_f64 v[12:13], v[1:2], v[12:13]
	v_mul_f64 v[14:15], v[1:2], v[10:11]
	;; [unrolled: 1-line block ×4, first 2 shown]
	v_lshlrev_b32_e32 v0, 2, v5
                                        ; implicit-def: $vgpr5
                                        ; implicit-def: $vgpr3_vgpr4
                                        ; implicit-def: $vgpr6_vgpr7
	s_delay_alu instid0(VALU_DEP_1) | instskip(NEXT) | instid1(VALU_DEP_1)
	v_ashrrev_i32_e32 v1, 31, v0
	v_lshlrev_b64 v[0:1], 3, v[0:1]
	s_waitcnt lgkmcnt(0)
	s_delay_alu instid0(VALU_DEP_1) | instskip(NEXT) | instid1(VALU_DEP_2)
	v_add_co_u32 v0, vcc_lo, s0, v0
	v_add_co_ci_u32_e32 v1, vcc_lo, s1, v1, vcc_lo
	s_clause 0x1
	global_store_b128 v[0:1], v[12:15], off
	global_store_b128 v[0:1], v[8:11], off offset:16
                                        ; implicit-def: $vgpr1_vgpr2
                                        ; implicit-def: $vgpr12_vgpr13
                                        ; implicit-def: $vgpr10_vgpr11
                                        ; implicit-def: $vgpr8_vgpr9
.LBB51_21:
	s_and_not1_saveexec_b32 s2, s2
	s_cbranch_execz .LBB51_23
; %bb.22:
	v_lshlrev_b32_e32 v14, 2, v5
	v_mul_f64 v[12:13], v[1:2], v[12:13]
	v_mul_f64 v[10:11], v[1:2], v[10:11]
	;; [unrolled: 1-line block ×4, first 2 shown]
	v_ashrrev_i32_e32 v15, 31, v14
	s_delay_alu instid0(VALU_DEP_1) | instskip(SKIP_1) | instid1(VALU_DEP_1)
	v_lshlrev_b64 v[14:15], 3, v[14:15]
	s_waitcnt lgkmcnt(0)
	v_add_co_u32 v22, vcc_lo, s0, v14
	s_delay_alu instid0(VALU_DEP_2)
	v_add_co_ci_u32_e32 v23, vcc_lo, s1, v15, vcc_lo
	s_clause 0x1
	global_load_b128 v[14:17], v[22:23], off
	global_load_b128 v[18:21], v[22:23], off offset:16
	s_waitcnt vmcnt(1)
	v_fma_f64 v[5:6], v[3:4], v[14:15], v[12:13]
	v_fma_f64 v[7:8], v[3:4], v[16:17], v[10:11]
	s_waitcnt vmcnt(0)
	v_fma_f64 v[0:1], v[3:4], v[18:19], v[24:25]
	v_fma_f64 v[2:3], v[3:4], v[20:21], v[26:27]
	s_clause 0x1
	global_store_b128 v[22:23], v[5:8], off
	global_store_b128 v[22:23], v[0:3], off offset:16
.LBB51_23:
	s_nop 0
	s_sendmsg sendmsg(MSG_DEALLOC_VGPRS)
	s_endpgm
	.section	.rodata,"a",@progbits
	.p2align	6, 0x0
	.amdhsa_kernel _ZN9rocsparseL19gebsrmvn_4xn_kernelILj128ELj3ELj64EdEEvi20rocsparse_direction_NS_24const_host_device_scalarIT2_EEPKiS6_PKS3_S8_S4_PS3_21rocsparse_index_base_b
		.amdhsa_group_segment_fixed_size 0
		.amdhsa_private_segment_fixed_size 0
		.amdhsa_kernarg_size 72
		.amdhsa_user_sgpr_count 15
		.amdhsa_user_sgpr_dispatch_ptr 0
		.amdhsa_user_sgpr_queue_ptr 0
		.amdhsa_user_sgpr_kernarg_segment_ptr 1
		.amdhsa_user_sgpr_dispatch_id 0
		.amdhsa_user_sgpr_private_segment_size 0
		.amdhsa_wavefront_size32 1
		.amdhsa_uses_dynamic_stack 0
		.amdhsa_enable_private_segment 0
		.amdhsa_system_sgpr_workgroup_id_x 1
		.amdhsa_system_sgpr_workgroup_id_y 0
		.amdhsa_system_sgpr_workgroup_id_z 0
		.amdhsa_system_sgpr_workgroup_info 0
		.amdhsa_system_vgpr_workitem_id 0
		.amdhsa_next_free_vgpr 49
		.amdhsa_next_free_sgpr 16
		.amdhsa_reserve_vcc 1
		.amdhsa_float_round_mode_32 0
		.amdhsa_float_round_mode_16_64 0
		.amdhsa_float_denorm_mode_32 3
		.amdhsa_float_denorm_mode_16_64 3
		.amdhsa_dx10_clamp 1
		.amdhsa_ieee_mode 1
		.amdhsa_fp16_overflow 0
		.amdhsa_workgroup_processor_mode 1
		.amdhsa_memory_ordered 1
		.amdhsa_forward_progress 0
		.amdhsa_shared_vgpr_count 0
		.amdhsa_exception_fp_ieee_invalid_op 0
		.amdhsa_exception_fp_denorm_src 0
		.amdhsa_exception_fp_ieee_div_zero 0
		.amdhsa_exception_fp_ieee_overflow 0
		.amdhsa_exception_fp_ieee_underflow 0
		.amdhsa_exception_fp_ieee_inexact 0
		.amdhsa_exception_int_div_zero 0
	.end_amdhsa_kernel
	.section	.text._ZN9rocsparseL19gebsrmvn_4xn_kernelILj128ELj3ELj64EdEEvi20rocsparse_direction_NS_24const_host_device_scalarIT2_EEPKiS6_PKS3_S8_S4_PS3_21rocsparse_index_base_b,"axG",@progbits,_ZN9rocsparseL19gebsrmvn_4xn_kernelILj128ELj3ELj64EdEEvi20rocsparse_direction_NS_24const_host_device_scalarIT2_EEPKiS6_PKS3_S8_S4_PS3_21rocsparse_index_base_b,comdat
.Lfunc_end51:
	.size	_ZN9rocsparseL19gebsrmvn_4xn_kernelILj128ELj3ELj64EdEEvi20rocsparse_direction_NS_24const_host_device_scalarIT2_EEPKiS6_PKS3_S8_S4_PS3_21rocsparse_index_base_b, .Lfunc_end51-_ZN9rocsparseL19gebsrmvn_4xn_kernelILj128ELj3ELj64EdEEvi20rocsparse_direction_NS_24const_host_device_scalarIT2_EEPKiS6_PKS3_S8_S4_PS3_21rocsparse_index_base_b
                                        ; -- End function
	.section	.AMDGPU.csdata,"",@progbits
; Kernel info:
; codeLenInByte = 2752
; NumSgprs: 18
; NumVgprs: 49
; ScratchSize: 0
; MemoryBound: 0
; FloatMode: 240
; IeeeMode: 1
; LDSByteSize: 0 bytes/workgroup (compile time only)
; SGPRBlocks: 2
; VGPRBlocks: 6
; NumSGPRsForWavesPerEU: 18
; NumVGPRsForWavesPerEU: 49
; Occupancy: 16
; WaveLimiterHint : 1
; COMPUTE_PGM_RSRC2:SCRATCH_EN: 0
; COMPUTE_PGM_RSRC2:USER_SGPR: 15
; COMPUTE_PGM_RSRC2:TRAP_HANDLER: 0
; COMPUTE_PGM_RSRC2:TGID_X_EN: 1
; COMPUTE_PGM_RSRC2:TGID_Y_EN: 0
; COMPUTE_PGM_RSRC2:TGID_Z_EN: 0
; COMPUTE_PGM_RSRC2:TIDIG_COMP_CNT: 0
	.section	.text._ZN9rocsparseL19gebsrmvn_4xn_kernelILj128ELj5ELj4EdEEvi20rocsparse_direction_NS_24const_host_device_scalarIT2_EEPKiS6_PKS3_S8_S4_PS3_21rocsparse_index_base_b,"axG",@progbits,_ZN9rocsparseL19gebsrmvn_4xn_kernelILj128ELj5ELj4EdEEvi20rocsparse_direction_NS_24const_host_device_scalarIT2_EEPKiS6_PKS3_S8_S4_PS3_21rocsparse_index_base_b,comdat
	.globl	_ZN9rocsparseL19gebsrmvn_4xn_kernelILj128ELj5ELj4EdEEvi20rocsparse_direction_NS_24const_host_device_scalarIT2_EEPKiS6_PKS3_S8_S4_PS3_21rocsparse_index_base_b ; -- Begin function _ZN9rocsparseL19gebsrmvn_4xn_kernelILj128ELj5ELj4EdEEvi20rocsparse_direction_NS_24const_host_device_scalarIT2_EEPKiS6_PKS3_S8_S4_PS3_21rocsparse_index_base_b
	.p2align	8
	.type	_ZN9rocsparseL19gebsrmvn_4xn_kernelILj128ELj5ELj4EdEEvi20rocsparse_direction_NS_24const_host_device_scalarIT2_EEPKiS6_PKS3_S8_S4_PS3_21rocsparse_index_base_b,@function
_ZN9rocsparseL19gebsrmvn_4xn_kernelILj128ELj5ELj4EdEEvi20rocsparse_direction_NS_24const_host_device_scalarIT2_EEPKiS6_PKS3_S8_S4_PS3_21rocsparse_index_base_b: ; @_ZN9rocsparseL19gebsrmvn_4xn_kernelILj128ELj5ELj4EdEEvi20rocsparse_direction_NS_24const_host_device_scalarIT2_EEPKiS6_PKS3_S8_S4_PS3_21rocsparse_index_base_b
; %bb.0:
	s_clause 0x2
	s_load_b64 s[12:13], s[0:1], 0x40
	s_load_b64 s[4:5], s[0:1], 0x8
	;; [unrolled: 1-line block ×3, first 2 shown]
	s_waitcnt lgkmcnt(0)
	s_bitcmp1_b32 s13, 0
	v_dual_mov_b32 v1, s4 :: v_dual_mov_b32 v2, s5
	s_cselect_b32 s6, -1, 0
	s_delay_alu instid0(SALU_CYCLE_1)
	s_and_b32 vcc_lo, exec_lo, s6
	s_xor_b32 s6, s6, -1
	s_cbranch_vccnz .LBB52_2
; %bb.1:
	v_dual_mov_b32 v1, s4 :: v_dual_mov_b32 v2, s5
	flat_load_b64 v[1:2], v[1:2]
.LBB52_2:
	v_dual_mov_b32 v4, s3 :: v_dual_mov_b32 v3, s2
	s_and_not1_b32 vcc_lo, exec_lo, s6
	s_cbranch_vccnz .LBB52_4
; %bb.3:
	v_dual_mov_b32 v4, s3 :: v_dual_mov_b32 v3, s2
	flat_load_b64 v[3:4], v[3:4]
.LBB52_4:
	s_waitcnt vmcnt(0) lgkmcnt(0)
	v_cmp_neq_f64_e32 vcc_lo, 0, v[1:2]
	v_cmp_neq_f64_e64 s2, 1.0, v[3:4]
	s_delay_alu instid0(VALU_DEP_1) | instskip(NEXT) | instid1(SALU_CYCLE_1)
	s_or_b32 s2, vcc_lo, s2
	s_and_saveexec_b32 s3, s2
	s_cbranch_execz .LBB52_23
; %bb.5:
	s_load_b64 s[2:3], s[0:1], 0x0
	v_lshrrev_b32_e32 v5, 2, v0
	s_delay_alu instid0(VALU_DEP_1) | instskip(SKIP_1) | instid1(VALU_DEP_1)
	v_lshl_or_b32 v5, s15, 5, v5
	s_waitcnt lgkmcnt(0)
	v_cmp_gt_i32_e32 vcc_lo, s2, v5
	s_and_b32 exec_lo, exec_lo, vcc_lo
	s_cbranch_execz .LBB52_23
; %bb.6:
	s_load_b256 s[4:11], s[0:1], 0x10
	v_ashrrev_i32_e32 v6, 31, v5
	v_and_b32_e32 v0, 3, v0
	s_cmp_lg_u32 s3, 0
	s_delay_alu instid0(VALU_DEP_2) | instskip(SKIP_1) | instid1(VALU_DEP_1)
	v_lshlrev_b64 v[6:7], 2, v[5:6]
	s_waitcnt lgkmcnt(0)
	v_add_co_u32 v6, vcc_lo, s4, v6
	s_delay_alu instid0(VALU_DEP_2) | instskip(SKIP_4) | instid1(VALU_DEP_2)
	v_add_co_ci_u32_e32 v7, vcc_lo, s5, v7, vcc_lo
	global_load_b64 v[6:7], v[6:7], off
	s_waitcnt vmcnt(0)
	v_subrev_nc_u32_e32 v6, s12, v6
	v_subrev_nc_u32_e32 v21, s12, v7
	v_add_nc_u32_e32 v8, v6, v0
	s_delay_alu instid0(VALU_DEP_1)
	v_cmp_lt_i32_e64 s2, v8, v21
	s_cbranch_scc0 .LBB52_12
; %bb.7:
	v_mov_b32_e32 v6, 0
	v_mov_b32_e32 v7, 0
	s_delay_alu instid0(VALU_DEP_1)
	v_dual_mov_b32 v11, v7 :: v_dual_mov_b32 v10, v6
	v_dual_mov_b32 v13, v7 :: v_dual_mov_b32 v12, v6
	;; [unrolled: 1-line block ×3, first 2 shown]
	s_and_saveexec_b32 s3, s2
	s_cbranch_execz .LBB52_11
; %bb.8:
	v_dual_mov_b32 v6, 0 :: v_dual_mov_b32 v19, v8
	v_dual_mov_b32 v7, 0 :: v_dual_mov_b32 v18, 0
	v_mad_u64_u32 v[16:17], null, v8, 20, 16
	s_mov_b32 s4, 0
	s_delay_alu instid0(VALU_DEP_2)
	v_dual_mov_b32 v11, v7 :: v_dual_mov_b32 v10, v6
	v_dual_mov_b32 v13, v7 :: v_dual_mov_b32 v12, v6
	;; [unrolled: 1-line block ×3, first 2 shown]
.LBB52_9:                               ; =>This Inner Loop Header: Depth=1
	v_ashrrev_i32_e32 v20, 31, v19
	v_add_nc_u32_e32 v17, -16, v16
	v_mov_b32_e32 v59, v18
	s_delay_alu instid0(VALU_DEP_3) | instskip(SKIP_1) | instid1(VALU_DEP_2)
	v_lshlrev_b64 v[22:23], 2, v[19:20]
	v_add_nc_u32_e32 v19, 4, v19
	v_add_co_u32 v22, vcc_lo, s6, v22
	s_delay_alu instid0(VALU_DEP_3) | instskip(SKIP_3) | instid1(VALU_DEP_2)
	v_add_co_ci_u32_e32 v23, vcc_lo, s7, v23, vcc_lo
	global_load_b32 v9, v[22:23], off
	v_lshlrev_b64 v[22:23], 3, v[17:18]
	v_add_nc_u32_e32 v17, -12, v16
	v_add_co_u32 v26, vcc_lo, s8, v22
	s_delay_alu instid0(VALU_DEP_3) | instskip(SKIP_3) | instid1(VALU_DEP_1)
	v_add_co_ci_u32_e32 v27, vcc_lo, s9, v23, vcc_lo
	global_load_b128 v[22:25], v[26:27], off offset:16
	s_waitcnt vmcnt(1)
	v_subrev_nc_u32_e32 v9, s12, v9
	v_lshl_add_u32 v58, v9, 2, v9
	s_delay_alu instid0(VALU_DEP_1) | instskip(NEXT) | instid1(VALU_DEP_1)
	v_lshlrev_b64 v[28:29], 3, v[58:59]
	v_add_co_u32 v30, vcc_lo, s10, v28
	s_delay_alu instid0(VALU_DEP_2) | instskip(SKIP_4) | instid1(VALU_DEP_1)
	v_add_co_ci_u32_e32 v31, vcc_lo, s11, v29, vcc_lo
	global_load_b128 v[26:29], v[26:27], off
	global_load_b64 v[62:63], v[30:31], off
	v_lshlrev_b64 v[30:31], 3, v[17:18]
	v_add_nc_u32_e32 v17, 1, v58
	v_lshlrev_b64 v[36:37], 3, v[17:18]
	s_delay_alu instid0(VALU_DEP_3) | instskip(NEXT) | instid1(VALU_DEP_4)
	v_add_co_u32 v34, vcc_lo, s8, v30
	v_add_co_ci_u32_e32 v35, vcc_lo, s9, v31, vcc_lo
	v_add_nc_u32_e32 v17, -8, v16
	s_delay_alu instid0(VALU_DEP_4)
	v_add_co_u32 v38, vcc_lo, s10, v36
	v_add_co_ci_u32_e32 v39, vcc_lo, s11, v37, vcc_lo
	s_clause 0x1
	global_load_b128 v[30:33], v[34:35], off offset:16
	global_load_b128 v[34:37], v[34:35], off
	global_load_b64 v[64:65], v[38:39], off
	v_lshlrev_b64 v[38:39], 3, v[17:18]
	v_add_nc_u32_e32 v17, 2, v58
	s_delay_alu instid0(VALU_DEP_1) | instskip(NEXT) | instid1(VALU_DEP_3)
	v_lshlrev_b64 v[40:41], 3, v[17:18]
	v_add_co_u32 v42, vcc_lo, s8, v38
	s_delay_alu instid0(VALU_DEP_4) | instskip(SKIP_1) | instid1(VALU_DEP_4)
	v_add_co_ci_u32_e32 v43, vcc_lo, s9, v39, vcc_lo
	v_add_nc_u32_e32 v17, -4, v16
	v_add_co_u32 v46, vcc_lo, s10, v40
	v_add_co_ci_u32_e32 v47, vcc_lo, s11, v41, vcc_lo
	s_clause 0x1
	global_load_b128 v[38:41], v[42:43], off offset:16
	global_load_b128 v[42:45], v[42:43], off
	global_load_b64 v[66:67], v[46:47], off
	v_lshlrev_b64 v[46:47], 3, v[17:18]
	v_add_nc_u32_e32 v17, 3, v58
	s_delay_alu instid0(VALU_DEP_1) | instskip(NEXT) | instid1(VALU_DEP_3)
	v_lshlrev_b64 v[48:49], 3, v[17:18]
	v_add_co_u32 v50, vcc_lo, s8, v46
	s_delay_alu instid0(VALU_DEP_4) | instskip(SKIP_1) | instid1(VALU_DEP_4)
	v_add_co_ci_u32_e32 v51, vcc_lo, s9, v47, vcc_lo
	v_mov_b32_e32 v17, v18
	v_add_co_u32 v54, vcc_lo, s10, v48
	v_add_co_ci_u32_e32 v55, vcc_lo, s11, v49, vcc_lo
	s_clause 0x1
	global_load_b128 v[46:49], v[50:51], off offset:16
	global_load_b128 v[50:53], v[50:51], off
	global_load_b64 v[68:69], v[54:55], off
	v_lshlrev_b64 v[54:55], 3, v[16:17]
	v_add_nc_u32_e32 v16, 0x50, v16
	v_add_nc_u32_e32 v17, 4, v58
	s_delay_alu instid0(VALU_DEP_3) | instskip(NEXT) | instid1(VALU_DEP_2)
	v_add_co_u32 v59, vcc_lo, s8, v54
	v_lshlrev_b64 v[70:71], 3, v[17:18]
	v_add_co_ci_u32_e32 v60, vcc_lo, s9, v55, vcc_lo
	s_delay_alu instid0(VALU_DEP_2) | instskip(NEXT) | instid1(VALU_DEP_3)
	v_add_co_u32 v70, vcc_lo, s10, v70
	v_add_co_ci_u32_e32 v71, vcc_lo, s11, v71, vcc_lo
	s_clause 0x1
	global_load_b128 v[54:57], v[59:60], off offset:16
	global_load_b128 v[58:61], v[59:60], off
	global_load_b64 v[70:71], v[70:71], off
	v_cmp_ge_i32_e32 vcc_lo, v19, v21
	s_or_b32 s4, vcc_lo, s4
	s_waitcnt vmcnt(12)
	v_fma_f64 v[6:7], v[26:27], v[62:63], v[6:7]
	v_fma_f64 v[14:15], v[28:29], v[62:63], v[14:15]
	;; [unrolled: 1-line block ×4, first 2 shown]
	s_waitcnt vmcnt(9)
	s_delay_alu instid0(VALU_DEP_4) | instskip(NEXT) | instid1(VALU_DEP_4)
	v_fma_f64 v[6:7], v[34:35], v[64:65], v[6:7]
	v_fma_f64 v[14:15], v[36:37], v[64:65], v[14:15]
	s_delay_alu instid0(VALU_DEP_4) | instskip(NEXT) | instid1(VALU_DEP_4)
	v_fma_f64 v[11:12], v[30:31], v[64:65], v[12:13]
	v_fma_f64 v[9:10], v[32:33], v[64:65], v[9:10]
	s_waitcnt vmcnt(6)
	s_delay_alu instid0(VALU_DEP_4) | instskip(NEXT) | instid1(VALU_DEP_4)
	v_fma_f64 v[6:7], v[42:43], v[66:67], v[6:7]
	v_fma_f64 v[13:14], v[44:45], v[66:67], v[14:15]
	s_delay_alu instid0(VALU_DEP_4) | instskip(NEXT) | instid1(VALU_DEP_4)
	v_fma_f64 v[11:12], v[38:39], v[66:67], v[11:12]
	v_fma_f64 v[9:10], v[40:41], v[66:67], v[9:10]
	;; [unrolled: 7-line block ×4, first 2 shown]
	s_and_not1_b32 exec_lo, exec_lo, s4
	s_cbranch_execnz .LBB52_9
; %bb.10:
	s_or_b32 exec_lo, exec_lo, s4
.LBB52_11:
	s_delay_alu instid0(SALU_CYCLE_1)
	s_or_b32 exec_lo, exec_lo, s3
	s_cbranch_execz .LBB52_13
	s_branch .LBB52_18
.LBB52_12:
                                        ; implicit-def: $vgpr6_vgpr7
                                        ; implicit-def: $vgpr10_vgpr11
                                        ; implicit-def: $vgpr12_vgpr13
                                        ; implicit-def: $vgpr14_vgpr15
.LBB52_13:
	v_mov_b32_e32 v6, 0
	v_mov_b32_e32 v7, 0
	s_delay_alu instid0(VALU_DEP_1)
	v_dual_mov_b32 v11, v7 :: v_dual_mov_b32 v10, v6
	v_dual_mov_b32 v13, v7 :: v_dual_mov_b32 v12, v6
	;; [unrolled: 1-line block ×3, first 2 shown]
	s_and_saveexec_b32 s3, s2
	s_cbranch_execz .LBB52_17
; %bb.14:
	v_dual_mov_b32 v6, 0 :: v_dual_mov_b32 v19, 0
	v_mov_b32_e32 v7, 0
	v_mad_u64_u32 v[16:17], null, v8, 20, 19
	s_mov_b32 s4, 0
	s_delay_alu instid0(VALU_DEP_2)
	v_dual_mov_b32 v11, v7 :: v_dual_mov_b32 v10, v6
	v_dual_mov_b32 v13, v7 :: v_dual_mov_b32 v12, v6
	;; [unrolled: 1-line block ×3, first 2 shown]
.LBB52_15:                              ; =>This Inner Loop Header: Depth=1
	v_ashrrev_i32_e32 v9, 31, v8
	v_dual_mov_b32 v31, v19 :: v_dual_add_nc_u32 v22, -14, v16
	v_dual_mov_b32 v23, v19 :: v_dual_add_nc_u32 v24, -9, v16
	s_delay_alu instid0(VALU_DEP_3) | instskip(SKIP_2) | instid1(VALU_DEP_4)
	v_lshlrev_b64 v[17:18], 2, v[8:9]
	v_dual_mov_b32 v25, v19 :: v_dual_add_nc_u32 v26, -4, v16
	v_add_nc_u32_e32 v8, 4, v8
	v_lshlrev_b64 v[22:23], 3, v[22:23]
	s_delay_alu instid0(VALU_DEP_4) | instskip(SKIP_4) | instid1(VALU_DEP_1)
	v_add_co_u32 v17, vcc_lo, s6, v17
	v_add_co_ci_u32_e32 v18, vcc_lo, s7, v18, vcc_lo
	v_lshlrev_b64 v[24:25], 3, v[24:25]
	global_load_b32 v9, v[17:18], off
	v_subrev_nc_u32_e32 v18, 19, v16
	v_lshlrev_b64 v[17:18], 3, v[18:19]
	s_delay_alu instid0(VALU_DEP_1) | instskip(NEXT) | instid1(VALU_DEP_2)
	v_add_co_u32 v17, vcc_lo, s8, v17
	v_add_co_ci_u32_e32 v18, vcc_lo, s9, v18, vcc_lo
	v_add_co_u32 v32, vcc_lo, s8, v22
	v_add_co_ci_u32_e32 v33, vcc_lo, s9, v23, vcc_lo
	;; [unrolled: 2-line block ×3, first 2 shown]
	s_waitcnt vmcnt(0)
	v_subrev_nc_u32_e32 v9, s12, v9
	s_delay_alu instid0(VALU_DEP_1) | instskip(SKIP_1) | instid1(VALU_DEP_1)
	v_lshl_add_u32 v30, v9, 2, v9
	v_mov_b32_e32 v27, v19
	v_lshlrev_b64 v[26:27], 3, v[26:27]
	s_delay_alu instid0(VALU_DEP_1) | instskip(NEXT) | instid1(VALU_DEP_2)
	v_add_co_u32 v36, vcc_lo, s8, v26
	v_add_co_ci_u32_e32 v37, vcc_lo, s9, v27, vcc_lo
	s_clause 0x3
	global_load_b128 v[22:25], v[17:18], off offset:16
	global_load_b128 v[26:29], v[17:18], off
	global_load_b64 v[32:33], v[32:33], off
	global_load_b64 v[34:35], v[34:35], off
	v_lshlrev_b64 v[17:18], 3, v[30:31]
	s_delay_alu instid0(VALU_DEP_1) | instskip(NEXT) | instid1(VALU_DEP_2)
	v_add_co_u32 v17, vcc_lo, s10, v17
	v_add_co_ci_u32_e32 v18, vcc_lo, s11, v18, vcc_lo
	global_load_b64 v[36:37], v[36:37], off
	global_load_b64 v[38:39], v[17:18], off
	v_dual_mov_b32 v17, v19 :: v_dual_add_nc_u32 v18, 1, v30
	s_delay_alu instid0(VALU_DEP_1) | instskip(SKIP_1) | instid1(VALU_DEP_3)
	v_lshlrev_b64 v[40:41], 3, v[18:19]
	v_add_nc_u32_e32 v18, -13, v16
	v_lshlrev_b64 v[48:49], 3, v[16:17]
	s_delay_alu instid0(VALU_DEP_2) | instskip(SKIP_3) | instid1(VALU_DEP_3)
	v_lshlrev_b64 v[42:43], 3, v[18:19]
	v_add_nc_u32_e32 v18, -8, v16
	v_add_co_u32 v40, vcc_lo, s10, v40
	v_add_co_ci_u32_e32 v41, vcc_lo, s11, v41, vcc_lo
	v_lshlrev_b64 v[44:45], 3, v[18:19]
	v_add_nc_u32_e32 v18, -3, v16
	v_add_co_u32 v42, vcc_lo, s8, v42
	v_add_co_ci_u32_e32 v43, vcc_lo, s9, v43, vcc_lo
	s_delay_alu instid0(VALU_DEP_3) | instskip(SKIP_3) | instid1(VALU_DEP_4)
	v_lshlrev_b64 v[46:47], 3, v[18:19]
	v_add_co_u32 v44, vcc_lo, s8, v44
	v_add_co_ci_u32_e32 v45, vcc_lo, s9, v45, vcc_lo
	v_add_nc_u32_e32 v18, 2, v30
	v_add_co_u32 v46, vcc_lo, s8, v46
	v_add_co_ci_u32_e32 v47, vcc_lo, s9, v47, vcc_lo
	global_load_b64 v[40:41], v[40:41], off
	s_clause 0x2
	global_load_b64 v[42:43], v[42:43], off
	global_load_b64 v[44:45], v[44:45], off
	global_load_b64 v[46:47], v[46:47], off
	v_lshlrev_b64 v[50:51], 3, v[18:19]
	v_add_nc_u32_e32 v18, -12, v16
	s_delay_alu instid0(VALU_DEP_1) | instskip(SKIP_1) | instid1(VALU_DEP_4)
	v_lshlrev_b64 v[52:53], 3, v[18:19]
	v_add_nc_u32_e32 v18, -7, v16
	v_add_co_u32 v50, vcc_lo, s10, v50
	v_add_co_ci_u32_e32 v51, vcc_lo, s11, v51, vcc_lo
	s_delay_alu instid0(VALU_DEP_3) | instskip(SKIP_3) | instid1(VALU_DEP_3)
	v_lshlrev_b64 v[54:55], 3, v[18:19]
	v_add_nc_u32_e32 v18, -2, v16
	v_add_co_u32 v52, vcc_lo, s8, v52
	v_add_co_ci_u32_e32 v53, vcc_lo, s9, v53, vcc_lo
	v_lshlrev_b64 v[17:18], 3, v[18:19]
	v_add_co_u32 v54, vcc_lo, s8, v54
	v_add_co_ci_u32_e32 v55, vcc_lo, s9, v55, vcc_lo
	s_delay_alu instid0(VALU_DEP_3) | instskip(NEXT) | instid1(VALU_DEP_4)
	v_add_co_u32 v17, vcc_lo, s8, v17
	v_add_co_ci_u32_e32 v18, vcc_lo, s9, v18, vcc_lo
	global_load_b64 v[50:51], v[50:51], off
	s_clause 0x2
	global_load_b64 v[52:53], v[52:53], off
	global_load_b64 v[54:55], v[54:55], off
	;; [unrolled: 1-line block ×3, first 2 shown]
	v_add_nc_u32_e32 v18, 3, v30
	v_add_co_u32 v48, vcc_lo, s8, v48
	v_add_co_ci_u32_e32 v49, vcc_lo, s9, v49, vcc_lo
	s_delay_alu instid0(VALU_DEP_3) | instskip(SKIP_1) | instid1(VALU_DEP_1)
	v_lshlrev_b64 v[58:59], 3, v[18:19]
	v_add_nc_u32_e32 v18, -11, v16
	v_lshlrev_b64 v[60:61], 3, v[18:19]
	v_add_nc_u32_e32 v18, -6, v16
	s_delay_alu instid0(VALU_DEP_4) | instskip(NEXT) | instid1(VALU_DEP_1)
	v_add_co_u32 v58, s2, s10, v58
	v_add_co_ci_u32_e64 v59, s2, s11, v59, s2
	s_delay_alu instid0(VALU_DEP_3) | instskip(SKIP_2) | instid1(VALU_DEP_1)
	v_lshlrev_b64 v[62:63], 3, v[18:19]
	v_add_nc_u32_e32 v18, -1, v16
	v_add_co_u32 v60, s2, s8, v60
	v_add_co_ci_u32_e64 v61, s2, s9, v61, s2
	s_delay_alu instid0(VALU_DEP_3) | instskip(SKIP_1) | instid1(VALU_DEP_1)
	v_lshlrev_b64 v[17:18], 3, v[18:19]
	v_add_co_u32 v62, s2, s8, v62
	v_add_co_ci_u32_e64 v63, s2, s9, v63, s2
	s_delay_alu instid0(VALU_DEP_3) | instskip(NEXT) | instid1(VALU_DEP_1)
	v_add_co_u32 v17, s2, s8, v17
	v_add_co_ci_u32_e64 v18, s2, s9, v18, s2
	global_load_b64 v[58:59], v[58:59], off
	s_clause 0x2
	global_load_b64 v[60:61], v[60:61], off
	global_load_b64 v[62:63], v[62:63], off
	;; [unrolled: 1-line block ×3, first 2 shown]
	v_add_nc_u32_e32 v18, -15, v16
	s_delay_alu instid0(VALU_DEP_1) | instskip(SKIP_1) | instid1(VALU_DEP_1)
	v_lshlrev_b64 v[66:67], 3, v[18:19]
	v_add_nc_u32_e32 v18, 4, v30
	v_lshlrev_b64 v[30:31], 3, v[18:19]
	v_add_nc_u32_e32 v18, -10, v16
	s_delay_alu instid0(VALU_DEP_4) | instskip(SKIP_1) | instid1(VALU_DEP_3)
	v_add_co_u32 v66, vcc_lo, s8, v66
	v_add_co_ci_u32_e32 v67, vcc_lo, s9, v67, vcc_lo
	v_lshlrev_b64 v[68:69], 3, v[18:19]
	v_add_nc_u32_e32 v18, -5, v16
	v_add_co_u32 v30, vcc_lo, s10, v30
	v_add_co_ci_u32_e32 v31, vcc_lo, s11, v31, vcc_lo
	s_delay_alu instid0(VALU_DEP_3) | instskip(SKIP_3) | instid1(VALU_DEP_4)
	v_lshlrev_b64 v[17:18], 3, v[18:19]
	v_add_co_u32 v68, vcc_lo, s8, v68
	v_add_co_ci_u32_e32 v69, vcc_lo, s9, v69, vcc_lo
	v_add_nc_u32_e32 v16, 0x50, v16
	v_add_co_u32 v17, vcc_lo, s8, v17
	v_add_co_ci_u32_e32 v18, vcc_lo, s9, v18, vcc_lo
	global_load_b64 v[66:67], v[66:67], off
	global_load_b64 v[30:31], v[30:31], off
	s_clause 0x2
	global_load_b64 v[68:69], v[68:69], off
	global_load_b64 v[17:18], v[17:18], off
	;; [unrolled: 1-line block ×3, first 2 shown]
	v_cmp_ge_i32_e32 vcc_lo, v8, v21
	s_or_b32 s4, vcc_lo, s4
	s_waitcnt vmcnt(17)
	v_fma_f64 v[6:7], v[26:27], v[38:39], v[6:7]
	v_fma_f64 v[14:15], v[32:33], v[38:39], v[14:15]
	;; [unrolled: 1-line block ×4, first 2 shown]
	s_waitcnt vmcnt(16)
	s_delay_alu instid0(VALU_DEP_4) | instskip(SKIP_1) | instid1(VALU_DEP_4)
	v_fma_f64 v[6:7], v[28:29], v[40:41], v[6:7]
	s_waitcnt vmcnt(15)
	v_fma_f64 v[14:15], v[42:43], v[40:41], v[14:15]
	s_waitcnt vmcnt(14)
	s_delay_alu instid0(VALU_DEP_4) | instskip(SKIP_1) | instid1(VALU_DEP_4)
	v_fma_f64 v[11:12], v[44:45], v[40:41], v[12:13]
	s_waitcnt vmcnt(13)
	v_fma_f64 v[9:10], v[46:47], v[40:41], v[9:10]
	;; [unrolled: 5-line block ×8, first 2 shown]
	s_and_not1_b32 exec_lo, exec_lo, s4
	s_cbranch_execnz .LBB52_15
; %bb.16:
	s_or_b32 exec_lo, exec_lo, s4
.LBB52_17:
	s_delay_alu instid0(SALU_CYCLE_1)
	s_or_b32 exec_lo, exec_lo, s3
.LBB52_18:
	v_mbcnt_lo_u32_b32 v24, -1, 0
	s_delay_alu instid0(VALU_DEP_1) | instskip(NEXT) | instid1(VALU_DEP_1)
	v_xor_b32_e32 v8, 2, v24
	v_cmp_gt_i32_e32 vcc_lo, 32, v8
	v_cndmask_b32_e32 v8, v24, v8, vcc_lo
	s_delay_alu instid0(VALU_DEP_1)
	v_lshlrev_b32_e32 v16, 2, v8
	ds_bpermute_b32 v8, v16, v6
	ds_bpermute_b32 v9, v16, v7
	;; [unrolled: 1-line block ×8, first 2 shown]
	s_waitcnt lgkmcnt(6)
	v_add_f64 v[16:17], v[6:7], v[8:9]
	s_waitcnt lgkmcnt(4)
	v_add_f64 v[8:9], v[14:15], v[18:19]
	;; [unrolled: 2-line block ×4, first 2 shown]
	v_xor_b32_e32 v10, 1, v24
	s_delay_alu instid0(VALU_DEP_1) | instskip(SKIP_2) | instid1(VALU_DEP_2)
	v_cmp_gt_i32_e32 vcc_lo, 32, v10
	v_cndmask_b32_e32 v10, v24, v10, vcc_lo
	v_cmp_eq_u32_e32 vcc_lo, 3, v0
	v_lshlrev_b32_e32 v19, 2, v10
	ds_bpermute_b32 v12, v19, v16
	ds_bpermute_b32 v13, v19, v17
	;; [unrolled: 1-line block ×8, first 2 shown]
	s_and_b32 exec_lo, exec_lo, vcc_lo
	s_cbranch_execz .LBB52_23
; %bb.19:
	s_waitcnt lgkmcnt(6)
	v_add_f64 v[12:13], v[16:17], v[12:13]
	s_waitcnt lgkmcnt(4)
	v_add_f64 v[10:11], v[8:9], v[10:11]
	s_waitcnt lgkmcnt(2)
	v_add_f64 v[8:9], v[6:7], v[20:21]
	s_waitcnt lgkmcnt(0)
	v_add_f64 v[6:7], v[14:15], v[18:19]
	s_load_b64 s[0:1], s[0:1], 0x38
	s_mov_b32 s2, exec_lo
	v_cmpx_eq_f64_e32 0, v[3:4]
	s_xor_b32 s2, exec_lo, s2
	s_cbranch_execz .LBB52_21
; %bb.20:
	v_mul_f64 v[12:13], v[1:2], v[12:13]
	v_mul_f64 v[14:15], v[1:2], v[10:11]
	;; [unrolled: 1-line block ×4, first 2 shown]
	v_lshlrev_b32_e32 v0, 2, v5
                                        ; implicit-def: $vgpr5
                                        ; implicit-def: $vgpr3_vgpr4
                                        ; implicit-def: $vgpr6_vgpr7
	s_delay_alu instid0(VALU_DEP_1) | instskip(NEXT) | instid1(VALU_DEP_1)
	v_ashrrev_i32_e32 v1, 31, v0
	v_lshlrev_b64 v[0:1], 3, v[0:1]
	s_waitcnt lgkmcnt(0)
	s_delay_alu instid0(VALU_DEP_1) | instskip(NEXT) | instid1(VALU_DEP_2)
	v_add_co_u32 v0, vcc_lo, s0, v0
	v_add_co_ci_u32_e32 v1, vcc_lo, s1, v1, vcc_lo
	s_clause 0x1
	global_store_b128 v[0:1], v[12:15], off
	global_store_b128 v[0:1], v[8:11], off offset:16
                                        ; implicit-def: $vgpr1_vgpr2
                                        ; implicit-def: $vgpr12_vgpr13
                                        ; implicit-def: $vgpr10_vgpr11
                                        ; implicit-def: $vgpr8_vgpr9
.LBB52_21:
	s_and_not1_saveexec_b32 s2, s2
	s_cbranch_execz .LBB52_23
; %bb.22:
	v_lshlrev_b32_e32 v14, 2, v5
	v_mul_f64 v[12:13], v[1:2], v[12:13]
	v_mul_f64 v[10:11], v[1:2], v[10:11]
	;; [unrolled: 1-line block ×4, first 2 shown]
	v_ashrrev_i32_e32 v15, 31, v14
	s_delay_alu instid0(VALU_DEP_1) | instskip(SKIP_1) | instid1(VALU_DEP_1)
	v_lshlrev_b64 v[14:15], 3, v[14:15]
	s_waitcnt lgkmcnt(0)
	v_add_co_u32 v22, vcc_lo, s0, v14
	s_delay_alu instid0(VALU_DEP_2)
	v_add_co_ci_u32_e32 v23, vcc_lo, s1, v15, vcc_lo
	s_clause 0x1
	global_load_b128 v[14:17], v[22:23], off
	global_load_b128 v[18:21], v[22:23], off offset:16
	s_waitcnt vmcnt(1)
	v_fma_f64 v[5:6], v[3:4], v[14:15], v[12:13]
	v_fma_f64 v[7:8], v[3:4], v[16:17], v[10:11]
	s_waitcnt vmcnt(0)
	v_fma_f64 v[0:1], v[3:4], v[18:19], v[24:25]
	v_fma_f64 v[2:3], v[3:4], v[20:21], v[26:27]
	s_clause 0x1
	global_store_b128 v[22:23], v[5:8], off
	global_store_b128 v[22:23], v[0:3], off offset:16
.LBB52_23:
	s_nop 0
	s_sendmsg sendmsg(MSG_DEALLOC_VGPRS)
	s_endpgm
	.section	.rodata,"a",@progbits
	.p2align	6, 0x0
	.amdhsa_kernel _ZN9rocsparseL19gebsrmvn_4xn_kernelILj128ELj5ELj4EdEEvi20rocsparse_direction_NS_24const_host_device_scalarIT2_EEPKiS6_PKS3_S8_S4_PS3_21rocsparse_index_base_b
		.amdhsa_group_segment_fixed_size 0
		.amdhsa_private_segment_fixed_size 0
		.amdhsa_kernarg_size 72
		.amdhsa_user_sgpr_count 15
		.amdhsa_user_sgpr_dispatch_ptr 0
		.amdhsa_user_sgpr_queue_ptr 0
		.amdhsa_user_sgpr_kernarg_segment_ptr 1
		.amdhsa_user_sgpr_dispatch_id 0
		.amdhsa_user_sgpr_private_segment_size 0
		.amdhsa_wavefront_size32 1
		.amdhsa_uses_dynamic_stack 0
		.amdhsa_enable_private_segment 0
		.amdhsa_system_sgpr_workgroup_id_x 1
		.amdhsa_system_sgpr_workgroup_id_y 0
		.amdhsa_system_sgpr_workgroup_id_z 0
		.amdhsa_system_sgpr_workgroup_info 0
		.amdhsa_system_vgpr_workitem_id 0
		.amdhsa_next_free_vgpr 72
		.amdhsa_next_free_sgpr 16
		.amdhsa_reserve_vcc 1
		.amdhsa_float_round_mode_32 0
		.amdhsa_float_round_mode_16_64 0
		.amdhsa_float_denorm_mode_32 3
		.amdhsa_float_denorm_mode_16_64 3
		.amdhsa_dx10_clamp 1
		.amdhsa_ieee_mode 1
		.amdhsa_fp16_overflow 0
		.amdhsa_workgroup_processor_mode 1
		.amdhsa_memory_ordered 1
		.amdhsa_forward_progress 0
		.amdhsa_shared_vgpr_count 0
		.amdhsa_exception_fp_ieee_invalid_op 0
		.amdhsa_exception_fp_denorm_src 0
		.amdhsa_exception_fp_ieee_div_zero 0
		.amdhsa_exception_fp_ieee_overflow 0
		.amdhsa_exception_fp_ieee_underflow 0
		.amdhsa_exception_fp_ieee_inexact 0
		.amdhsa_exception_int_div_zero 0
	.end_amdhsa_kernel
	.section	.text._ZN9rocsparseL19gebsrmvn_4xn_kernelILj128ELj5ELj4EdEEvi20rocsparse_direction_NS_24const_host_device_scalarIT2_EEPKiS6_PKS3_S8_S4_PS3_21rocsparse_index_base_b,"axG",@progbits,_ZN9rocsparseL19gebsrmvn_4xn_kernelILj128ELj5ELj4EdEEvi20rocsparse_direction_NS_24const_host_device_scalarIT2_EEPKiS6_PKS3_S8_S4_PS3_21rocsparse_index_base_b,comdat
.Lfunc_end52:
	.size	_ZN9rocsparseL19gebsrmvn_4xn_kernelILj128ELj5ELj4EdEEvi20rocsparse_direction_NS_24const_host_device_scalarIT2_EEPKiS6_PKS3_S8_S4_PS3_21rocsparse_index_base_b, .Lfunc_end52-_ZN9rocsparseL19gebsrmvn_4xn_kernelILj128ELj5ELj4EdEEvi20rocsparse_direction_NS_24const_host_device_scalarIT2_EEPKiS6_PKS3_S8_S4_PS3_21rocsparse_index_base_b
                                        ; -- End function
	.section	.AMDGPU.csdata,"",@progbits
; Kernel info:
; codeLenInByte = 2972
; NumSgprs: 18
; NumVgprs: 72
; ScratchSize: 0
; MemoryBound: 1
; FloatMode: 240
; IeeeMode: 1
; LDSByteSize: 0 bytes/workgroup (compile time only)
; SGPRBlocks: 2
; VGPRBlocks: 8
; NumSGPRsForWavesPerEU: 18
; NumVGPRsForWavesPerEU: 72
; Occupancy: 16
; WaveLimiterHint : 1
; COMPUTE_PGM_RSRC2:SCRATCH_EN: 0
; COMPUTE_PGM_RSRC2:USER_SGPR: 15
; COMPUTE_PGM_RSRC2:TRAP_HANDLER: 0
; COMPUTE_PGM_RSRC2:TGID_X_EN: 1
; COMPUTE_PGM_RSRC2:TGID_Y_EN: 0
; COMPUTE_PGM_RSRC2:TGID_Z_EN: 0
; COMPUTE_PGM_RSRC2:TIDIG_COMP_CNT: 0
	.section	.text._ZN9rocsparseL19gebsrmvn_4xn_kernelILj128ELj5ELj8EdEEvi20rocsparse_direction_NS_24const_host_device_scalarIT2_EEPKiS6_PKS3_S8_S4_PS3_21rocsparse_index_base_b,"axG",@progbits,_ZN9rocsparseL19gebsrmvn_4xn_kernelILj128ELj5ELj8EdEEvi20rocsparse_direction_NS_24const_host_device_scalarIT2_EEPKiS6_PKS3_S8_S4_PS3_21rocsparse_index_base_b,comdat
	.globl	_ZN9rocsparseL19gebsrmvn_4xn_kernelILj128ELj5ELj8EdEEvi20rocsparse_direction_NS_24const_host_device_scalarIT2_EEPKiS6_PKS3_S8_S4_PS3_21rocsparse_index_base_b ; -- Begin function _ZN9rocsparseL19gebsrmvn_4xn_kernelILj128ELj5ELj8EdEEvi20rocsparse_direction_NS_24const_host_device_scalarIT2_EEPKiS6_PKS3_S8_S4_PS3_21rocsparse_index_base_b
	.p2align	8
	.type	_ZN9rocsparseL19gebsrmvn_4xn_kernelILj128ELj5ELj8EdEEvi20rocsparse_direction_NS_24const_host_device_scalarIT2_EEPKiS6_PKS3_S8_S4_PS3_21rocsparse_index_base_b,@function
_ZN9rocsparseL19gebsrmvn_4xn_kernelILj128ELj5ELj8EdEEvi20rocsparse_direction_NS_24const_host_device_scalarIT2_EEPKiS6_PKS3_S8_S4_PS3_21rocsparse_index_base_b: ; @_ZN9rocsparseL19gebsrmvn_4xn_kernelILj128ELj5ELj8EdEEvi20rocsparse_direction_NS_24const_host_device_scalarIT2_EEPKiS6_PKS3_S8_S4_PS3_21rocsparse_index_base_b
; %bb.0:
	s_clause 0x2
	s_load_b64 s[12:13], s[0:1], 0x40
	s_load_b64 s[4:5], s[0:1], 0x8
	s_load_b64 s[2:3], s[0:1], 0x30
	s_waitcnt lgkmcnt(0)
	s_bitcmp1_b32 s13, 0
	v_dual_mov_b32 v1, s4 :: v_dual_mov_b32 v2, s5
	s_cselect_b32 s6, -1, 0
	s_delay_alu instid0(SALU_CYCLE_1)
	s_and_b32 vcc_lo, exec_lo, s6
	s_xor_b32 s6, s6, -1
	s_cbranch_vccnz .LBB53_2
; %bb.1:
	v_dual_mov_b32 v1, s4 :: v_dual_mov_b32 v2, s5
	flat_load_b64 v[1:2], v[1:2]
.LBB53_2:
	v_dual_mov_b32 v4, s3 :: v_dual_mov_b32 v3, s2
	s_and_not1_b32 vcc_lo, exec_lo, s6
	s_cbranch_vccnz .LBB53_4
; %bb.3:
	v_dual_mov_b32 v4, s3 :: v_dual_mov_b32 v3, s2
	flat_load_b64 v[3:4], v[3:4]
.LBB53_4:
	s_waitcnt vmcnt(0) lgkmcnt(0)
	v_cmp_neq_f64_e32 vcc_lo, 0, v[1:2]
	v_cmp_neq_f64_e64 s2, 1.0, v[3:4]
	s_delay_alu instid0(VALU_DEP_1) | instskip(NEXT) | instid1(SALU_CYCLE_1)
	s_or_b32 s2, vcc_lo, s2
	s_and_saveexec_b32 s3, s2
	s_cbranch_execz .LBB53_23
; %bb.5:
	s_load_b64 s[2:3], s[0:1], 0x0
	v_lshrrev_b32_e32 v5, 3, v0
	s_delay_alu instid0(VALU_DEP_1) | instskip(SKIP_1) | instid1(VALU_DEP_1)
	v_lshl_or_b32 v5, s15, 4, v5
	s_waitcnt lgkmcnt(0)
	v_cmp_gt_i32_e32 vcc_lo, s2, v5
	s_and_b32 exec_lo, exec_lo, vcc_lo
	s_cbranch_execz .LBB53_23
; %bb.6:
	s_load_b256 s[4:11], s[0:1], 0x10
	v_ashrrev_i32_e32 v6, 31, v5
	v_and_b32_e32 v0, 7, v0
	s_cmp_lg_u32 s3, 0
	s_delay_alu instid0(VALU_DEP_2) | instskip(SKIP_1) | instid1(VALU_DEP_1)
	v_lshlrev_b64 v[6:7], 2, v[5:6]
	s_waitcnt lgkmcnt(0)
	v_add_co_u32 v6, vcc_lo, s4, v6
	s_delay_alu instid0(VALU_DEP_2) | instskip(SKIP_4) | instid1(VALU_DEP_2)
	v_add_co_ci_u32_e32 v7, vcc_lo, s5, v7, vcc_lo
	global_load_b64 v[6:7], v[6:7], off
	s_waitcnt vmcnt(0)
	v_subrev_nc_u32_e32 v6, s12, v6
	v_subrev_nc_u32_e32 v21, s12, v7
	v_add_nc_u32_e32 v12, v6, v0
	s_delay_alu instid0(VALU_DEP_1)
	v_cmp_lt_i32_e64 s2, v12, v21
	s_cbranch_scc0 .LBB53_12
; %bb.7:
	v_mov_b32_e32 v6, 0
	v_mov_b32_e32 v7, 0
	s_delay_alu instid0(VALU_DEP_1)
	v_dual_mov_b32 v9, v7 :: v_dual_mov_b32 v8, v6
	v_dual_mov_b32 v11, v7 :: v_dual_mov_b32 v10, v6
	v_dual_mov_b32 v15, v7 :: v_dual_mov_b32 v14, v6
	s_and_saveexec_b32 s3, s2
	s_cbranch_execz .LBB53_11
; %bb.8:
	v_dual_mov_b32 v6, 0 :: v_dual_mov_b32 v19, v12
	v_dual_mov_b32 v7, 0 :: v_dual_mov_b32 v18, 0
	v_mad_u64_u32 v[16:17], null, v12, 20, 16
	s_mov_b32 s4, 0
	s_delay_alu instid0(VALU_DEP_2)
	v_dual_mov_b32 v9, v7 :: v_dual_mov_b32 v8, v6
	v_dual_mov_b32 v11, v7 :: v_dual_mov_b32 v10, v6
	;; [unrolled: 1-line block ×3, first 2 shown]
.LBB53_9:                               ; =>This Inner Loop Header: Depth=1
	v_ashrrev_i32_e32 v20, 31, v19
	v_add_nc_u32_e32 v17, -16, v16
	v_mov_b32_e32 v59, v18
	s_delay_alu instid0(VALU_DEP_3) | instskip(SKIP_1) | instid1(VALU_DEP_2)
	v_lshlrev_b64 v[22:23], 2, v[19:20]
	v_add_nc_u32_e32 v19, 8, v19
	v_add_co_u32 v22, vcc_lo, s6, v22
	s_delay_alu instid0(VALU_DEP_3) | instskip(SKIP_3) | instid1(VALU_DEP_2)
	v_add_co_ci_u32_e32 v23, vcc_lo, s7, v23, vcc_lo
	global_load_b32 v13, v[22:23], off
	v_lshlrev_b64 v[22:23], 3, v[17:18]
	v_add_nc_u32_e32 v17, -12, v16
	v_add_co_u32 v26, vcc_lo, s8, v22
	s_delay_alu instid0(VALU_DEP_3) | instskip(SKIP_3) | instid1(VALU_DEP_1)
	v_add_co_ci_u32_e32 v27, vcc_lo, s9, v23, vcc_lo
	global_load_b128 v[22:25], v[26:27], off offset:16
	s_waitcnt vmcnt(1)
	v_subrev_nc_u32_e32 v13, s12, v13
	v_lshl_add_u32 v58, v13, 2, v13
	s_delay_alu instid0(VALU_DEP_1) | instskip(NEXT) | instid1(VALU_DEP_1)
	v_lshlrev_b64 v[28:29], 3, v[58:59]
	v_add_co_u32 v30, vcc_lo, s10, v28
	s_delay_alu instid0(VALU_DEP_2) | instskip(SKIP_4) | instid1(VALU_DEP_1)
	v_add_co_ci_u32_e32 v31, vcc_lo, s11, v29, vcc_lo
	global_load_b128 v[26:29], v[26:27], off
	global_load_b64 v[62:63], v[30:31], off
	v_lshlrev_b64 v[30:31], 3, v[17:18]
	v_add_nc_u32_e32 v17, 1, v58
	v_lshlrev_b64 v[36:37], 3, v[17:18]
	s_delay_alu instid0(VALU_DEP_3) | instskip(NEXT) | instid1(VALU_DEP_4)
	v_add_co_u32 v34, vcc_lo, s8, v30
	v_add_co_ci_u32_e32 v35, vcc_lo, s9, v31, vcc_lo
	v_add_nc_u32_e32 v17, -8, v16
	s_delay_alu instid0(VALU_DEP_4)
	v_add_co_u32 v38, vcc_lo, s10, v36
	v_add_co_ci_u32_e32 v39, vcc_lo, s11, v37, vcc_lo
	s_clause 0x1
	global_load_b128 v[30:33], v[34:35], off offset:16
	global_load_b128 v[34:37], v[34:35], off
	global_load_b64 v[64:65], v[38:39], off
	v_lshlrev_b64 v[38:39], 3, v[17:18]
	v_add_nc_u32_e32 v17, 2, v58
	s_delay_alu instid0(VALU_DEP_1) | instskip(NEXT) | instid1(VALU_DEP_3)
	v_lshlrev_b64 v[40:41], 3, v[17:18]
	v_add_co_u32 v42, vcc_lo, s8, v38
	s_delay_alu instid0(VALU_DEP_4) | instskip(SKIP_1) | instid1(VALU_DEP_4)
	v_add_co_ci_u32_e32 v43, vcc_lo, s9, v39, vcc_lo
	v_add_nc_u32_e32 v17, -4, v16
	v_add_co_u32 v46, vcc_lo, s10, v40
	v_add_co_ci_u32_e32 v47, vcc_lo, s11, v41, vcc_lo
	s_clause 0x1
	global_load_b128 v[38:41], v[42:43], off offset:16
	global_load_b128 v[42:45], v[42:43], off
	global_load_b64 v[66:67], v[46:47], off
	v_lshlrev_b64 v[46:47], 3, v[17:18]
	v_add_nc_u32_e32 v17, 3, v58
	s_delay_alu instid0(VALU_DEP_1) | instskip(NEXT) | instid1(VALU_DEP_3)
	v_lshlrev_b64 v[48:49], 3, v[17:18]
	v_add_co_u32 v50, vcc_lo, s8, v46
	s_delay_alu instid0(VALU_DEP_4) | instskip(SKIP_1) | instid1(VALU_DEP_4)
	v_add_co_ci_u32_e32 v51, vcc_lo, s9, v47, vcc_lo
	v_mov_b32_e32 v17, v18
	v_add_co_u32 v54, vcc_lo, s10, v48
	v_add_co_ci_u32_e32 v55, vcc_lo, s11, v49, vcc_lo
	s_clause 0x1
	global_load_b128 v[46:49], v[50:51], off offset:16
	global_load_b128 v[50:53], v[50:51], off
	global_load_b64 v[68:69], v[54:55], off
	v_lshlrev_b64 v[54:55], 3, v[16:17]
	v_add_nc_u32_e32 v16, 0xa0, v16
	v_add_nc_u32_e32 v17, 4, v58
	s_delay_alu instid0(VALU_DEP_3) | instskip(NEXT) | instid1(VALU_DEP_2)
	v_add_co_u32 v59, vcc_lo, s8, v54
	v_lshlrev_b64 v[70:71], 3, v[17:18]
	v_add_co_ci_u32_e32 v60, vcc_lo, s9, v55, vcc_lo
	s_delay_alu instid0(VALU_DEP_2) | instskip(NEXT) | instid1(VALU_DEP_3)
	v_add_co_u32 v70, vcc_lo, s10, v70
	v_add_co_ci_u32_e32 v71, vcc_lo, s11, v71, vcc_lo
	s_clause 0x1
	global_load_b128 v[54:57], v[59:60], off offset:16
	global_load_b128 v[58:61], v[59:60], off
	global_load_b64 v[70:71], v[70:71], off
	v_cmp_ge_i32_e32 vcc_lo, v19, v21
	s_or_b32 s4, vcc_lo, s4
	s_waitcnt vmcnt(12)
	v_fma_f64 v[6:7], v[26:27], v[62:63], v[6:7]
	v_fma_f64 v[13:14], v[28:29], v[62:63], v[14:15]
	;; [unrolled: 1-line block ×4, first 2 shown]
	s_waitcnt vmcnt(9)
	s_delay_alu instid0(VALU_DEP_4) | instskip(NEXT) | instid1(VALU_DEP_4)
	v_fma_f64 v[6:7], v[34:35], v[64:65], v[6:7]
	v_fma_f64 v[13:14], v[36:37], v[64:65], v[13:14]
	s_delay_alu instid0(VALU_DEP_4) | instskip(NEXT) | instid1(VALU_DEP_4)
	v_fma_f64 v[10:11], v[30:31], v[64:65], v[10:11]
	v_fma_f64 v[8:9], v[32:33], v[64:65], v[8:9]
	s_waitcnt vmcnt(6)
	s_delay_alu instid0(VALU_DEP_4) | instskip(NEXT) | instid1(VALU_DEP_4)
	v_fma_f64 v[6:7], v[42:43], v[66:67], v[6:7]
	v_fma_f64 v[13:14], v[44:45], v[66:67], v[13:14]
	s_delay_alu instid0(VALU_DEP_4) | instskip(NEXT) | instid1(VALU_DEP_4)
	v_fma_f64 v[10:11], v[38:39], v[66:67], v[10:11]
	v_fma_f64 v[8:9], v[40:41], v[66:67], v[8:9]
	;; [unrolled: 7-line block ×4, first 2 shown]
	s_and_not1_b32 exec_lo, exec_lo, s4
	s_cbranch_execnz .LBB53_9
; %bb.10:
	s_or_b32 exec_lo, exec_lo, s4
.LBB53_11:
	s_delay_alu instid0(SALU_CYCLE_1)
	s_or_b32 exec_lo, exec_lo, s3
	s_cbranch_execz .LBB53_13
	s_branch .LBB53_18
.LBB53_12:
                                        ; implicit-def: $vgpr6_vgpr7
                                        ; implicit-def: $vgpr8_vgpr9
                                        ; implicit-def: $vgpr10_vgpr11
                                        ; implicit-def: $vgpr14_vgpr15
.LBB53_13:
	v_mov_b32_e32 v6, 0
	v_mov_b32_e32 v7, 0
	s_delay_alu instid0(VALU_DEP_1)
	v_dual_mov_b32 v9, v7 :: v_dual_mov_b32 v8, v6
	v_dual_mov_b32 v11, v7 :: v_dual_mov_b32 v10, v6
	;; [unrolled: 1-line block ×3, first 2 shown]
	s_and_saveexec_b32 s3, s2
	s_cbranch_execz .LBB53_17
; %bb.14:
	v_dual_mov_b32 v6, 0 :: v_dual_mov_b32 v19, 0
	v_mov_b32_e32 v7, 0
	v_mad_u64_u32 v[16:17], null, v12, 20, 19
	s_mov_b32 s4, 0
	s_delay_alu instid0(VALU_DEP_2)
	v_dual_mov_b32 v9, v7 :: v_dual_mov_b32 v8, v6
	v_dual_mov_b32 v11, v7 :: v_dual_mov_b32 v10, v6
	v_dual_mov_b32 v15, v7 :: v_dual_mov_b32 v14, v6
.LBB53_15:                              ; =>This Inner Loop Header: Depth=1
	v_ashrrev_i32_e32 v13, 31, v12
	v_dual_mov_b32 v31, v19 :: v_dual_add_nc_u32 v22, -14, v16
	v_dual_mov_b32 v23, v19 :: v_dual_add_nc_u32 v24, -9, v16
	s_delay_alu instid0(VALU_DEP_3) | instskip(SKIP_2) | instid1(VALU_DEP_4)
	v_lshlrev_b64 v[17:18], 2, v[12:13]
	v_dual_mov_b32 v25, v19 :: v_dual_add_nc_u32 v26, -4, v16
	v_add_nc_u32_e32 v12, 8, v12
	v_lshlrev_b64 v[22:23], 3, v[22:23]
	s_delay_alu instid0(VALU_DEP_4) | instskip(SKIP_4) | instid1(VALU_DEP_1)
	v_add_co_u32 v17, vcc_lo, s6, v17
	v_add_co_ci_u32_e32 v18, vcc_lo, s7, v18, vcc_lo
	v_lshlrev_b64 v[24:25], 3, v[24:25]
	global_load_b32 v13, v[17:18], off
	v_subrev_nc_u32_e32 v18, 19, v16
	v_lshlrev_b64 v[17:18], 3, v[18:19]
	s_delay_alu instid0(VALU_DEP_1) | instskip(NEXT) | instid1(VALU_DEP_2)
	v_add_co_u32 v17, vcc_lo, s8, v17
	v_add_co_ci_u32_e32 v18, vcc_lo, s9, v18, vcc_lo
	v_add_co_u32 v32, vcc_lo, s8, v22
	v_add_co_ci_u32_e32 v33, vcc_lo, s9, v23, vcc_lo
	;; [unrolled: 2-line block ×3, first 2 shown]
	s_waitcnt vmcnt(0)
	v_subrev_nc_u32_e32 v13, s12, v13
	s_delay_alu instid0(VALU_DEP_1) | instskip(SKIP_1) | instid1(VALU_DEP_1)
	v_lshl_add_u32 v30, v13, 2, v13
	v_mov_b32_e32 v27, v19
	v_lshlrev_b64 v[26:27], 3, v[26:27]
	s_delay_alu instid0(VALU_DEP_1) | instskip(NEXT) | instid1(VALU_DEP_2)
	v_add_co_u32 v36, vcc_lo, s8, v26
	v_add_co_ci_u32_e32 v37, vcc_lo, s9, v27, vcc_lo
	s_clause 0x3
	global_load_b128 v[22:25], v[17:18], off offset:16
	global_load_b128 v[26:29], v[17:18], off
	global_load_b64 v[32:33], v[32:33], off
	global_load_b64 v[34:35], v[34:35], off
	v_lshlrev_b64 v[17:18], 3, v[30:31]
	s_delay_alu instid0(VALU_DEP_1) | instskip(NEXT) | instid1(VALU_DEP_2)
	v_add_co_u32 v17, vcc_lo, s10, v17
	v_add_co_ci_u32_e32 v18, vcc_lo, s11, v18, vcc_lo
	global_load_b64 v[36:37], v[36:37], off
	global_load_b64 v[38:39], v[17:18], off
	v_dual_mov_b32 v17, v19 :: v_dual_add_nc_u32 v18, 1, v30
	s_delay_alu instid0(VALU_DEP_1) | instskip(SKIP_1) | instid1(VALU_DEP_3)
	v_lshlrev_b64 v[40:41], 3, v[18:19]
	v_add_nc_u32_e32 v18, -13, v16
	v_lshlrev_b64 v[48:49], 3, v[16:17]
	s_delay_alu instid0(VALU_DEP_2) | instskip(SKIP_3) | instid1(VALU_DEP_3)
	v_lshlrev_b64 v[42:43], 3, v[18:19]
	v_add_nc_u32_e32 v18, -8, v16
	v_add_co_u32 v40, vcc_lo, s10, v40
	v_add_co_ci_u32_e32 v41, vcc_lo, s11, v41, vcc_lo
	v_lshlrev_b64 v[44:45], 3, v[18:19]
	v_add_nc_u32_e32 v18, -3, v16
	v_add_co_u32 v42, vcc_lo, s8, v42
	v_add_co_ci_u32_e32 v43, vcc_lo, s9, v43, vcc_lo
	s_delay_alu instid0(VALU_DEP_3) | instskip(SKIP_3) | instid1(VALU_DEP_4)
	v_lshlrev_b64 v[46:47], 3, v[18:19]
	v_add_co_u32 v44, vcc_lo, s8, v44
	v_add_co_ci_u32_e32 v45, vcc_lo, s9, v45, vcc_lo
	v_add_nc_u32_e32 v18, 2, v30
	v_add_co_u32 v46, vcc_lo, s8, v46
	v_add_co_ci_u32_e32 v47, vcc_lo, s9, v47, vcc_lo
	global_load_b64 v[40:41], v[40:41], off
	s_clause 0x2
	global_load_b64 v[42:43], v[42:43], off
	global_load_b64 v[44:45], v[44:45], off
	;; [unrolled: 1-line block ×3, first 2 shown]
	v_lshlrev_b64 v[50:51], 3, v[18:19]
	v_add_nc_u32_e32 v18, -12, v16
	s_delay_alu instid0(VALU_DEP_1) | instskip(SKIP_1) | instid1(VALU_DEP_4)
	v_lshlrev_b64 v[52:53], 3, v[18:19]
	v_add_nc_u32_e32 v18, -7, v16
	v_add_co_u32 v50, vcc_lo, s10, v50
	v_add_co_ci_u32_e32 v51, vcc_lo, s11, v51, vcc_lo
	s_delay_alu instid0(VALU_DEP_3) | instskip(SKIP_3) | instid1(VALU_DEP_3)
	v_lshlrev_b64 v[54:55], 3, v[18:19]
	v_add_nc_u32_e32 v18, -2, v16
	v_add_co_u32 v52, vcc_lo, s8, v52
	v_add_co_ci_u32_e32 v53, vcc_lo, s9, v53, vcc_lo
	v_lshlrev_b64 v[17:18], 3, v[18:19]
	v_add_co_u32 v54, vcc_lo, s8, v54
	v_add_co_ci_u32_e32 v55, vcc_lo, s9, v55, vcc_lo
	s_delay_alu instid0(VALU_DEP_3) | instskip(NEXT) | instid1(VALU_DEP_4)
	v_add_co_u32 v17, vcc_lo, s8, v17
	v_add_co_ci_u32_e32 v18, vcc_lo, s9, v18, vcc_lo
	global_load_b64 v[50:51], v[50:51], off
	s_clause 0x2
	global_load_b64 v[52:53], v[52:53], off
	global_load_b64 v[54:55], v[54:55], off
	;; [unrolled: 1-line block ×3, first 2 shown]
	v_add_nc_u32_e32 v18, 3, v30
	v_add_co_u32 v48, vcc_lo, s8, v48
	v_add_co_ci_u32_e32 v49, vcc_lo, s9, v49, vcc_lo
	s_delay_alu instid0(VALU_DEP_3) | instskip(SKIP_1) | instid1(VALU_DEP_1)
	v_lshlrev_b64 v[58:59], 3, v[18:19]
	v_add_nc_u32_e32 v18, -11, v16
	v_lshlrev_b64 v[60:61], 3, v[18:19]
	v_add_nc_u32_e32 v18, -6, v16
	s_delay_alu instid0(VALU_DEP_4) | instskip(NEXT) | instid1(VALU_DEP_1)
	v_add_co_u32 v58, s2, s10, v58
	v_add_co_ci_u32_e64 v59, s2, s11, v59, s2
	s_delay_alu instid0(VALU_DEP_3) | instskip(SKIP_2) | instid1(VALU_DEP_1)
	v_lshlrev_b64 v[62:63], 3, v[18:19]
	v_add_nc_u32_e32 v18, -1, v16
	v_add_co_u32 v60, s2, s8, v60
	v_add_co_ci_u32_e64 v61, s2, s9, v61, s2
	s_delay_alu instid0(VALU_DEP_3) | instskip(SKIP_1) | instid1(VALU_DEP_1)
	v_lshlrev_b64 v[17:18], 3, v[18:19]
	v_add_co_u32 v62, s2, s8, v62
	v_add_co_ci_u32_e64 v63, s2, s9, v63, s2
	s_delay_alu instid0(VALU_DEP_3) | instskip(NEXT) | instid1(VALU_DEP_1)
	v_add_co_u32 v17, s2, s8, v17
	v_add_co_ci_u32_e64 v18, s2, s9, v18, s2
	global_load_b64 v[58:59], v[58:59], off
	s_clause 0x2
	global_load_b64 v[60:61], v[60:61], off
	global_load_b64 v[62:63], v[62:63], off
	;; [unrolled: 1-line block ×3, first 2 shown]
	v_add_nc_u32_e32 v18, -15, v16
	s_delay_alu instid0(VALU_DEP_1) | instskip(SKIP_1) | instid1(VALU_DEP_1)
	v_lshlrev_b64 v[66:67], 3, v[18:19]
	v_add_nc_u32_e32 v18, 4, v30
	v_lshlrev_b64 v[30:31], 3, v[18:19]
	v_add_nc_u32_e32 v18, -10, v16
	s_delay_alu instid0(VALU_DEP_4) | instskip(SKIP_1) | instid1(VALU_DEP_3)
	v_add_co_u32 v66, vcc_lo, s8, v66
	v_add_co_ci_u32_e32 v67, vcc_lo, s9, v67, vcc_lo
	v_lshlrev_b64 v[68:69], 3, v[18:19]
	v_add_nc_u32_e32 v18, -5, v16
	v_add_co_u32 v30, vcc_lo, s10, v30
	v_add_co_ci_u32_e32 v31, vcc_lo, s11, v31, vcc_lo
	s_delay_alu instid0(VALU_DEP_3) | instskip(SKIP_3) | instid1(VALU_DEP_4)
	v_lshlrev_b64 v[17:18], 3, v[18:19]
	v_add_co_u32 v68, vcc_lo, s8, v68
	v_add_co_ci_u32_e32 v69, vcc_lo, s9, v69, vcc_lo
	v_add_nc_u32_e32 v16, 0xa0, v16
	v_add_co_u32 v17, vcc_lo, s8, v17
	v_add_co_ci_u32_e32 v18, vcc_lo, s9, v18, vcc_lo
	global_load_b64 v[66:67], v[66:67], off
	global_load_b64 v[30:31], v[30:31], off
	s_clause 0x2
	global_load_b64 v[68:69], v[68:69], off
	global_load_b64 v[17:18], v[17:18], off
	;; [unrolled: 1-line block ×3, first 2 shown]
	v_cmp_ge_i32_e32 vcc_lo, v12, v21
	s_or_b32 s4, vcc_lo, s4
	s_waitcnt vmcnt(17)
	v_fma_f64 v[6:7], v[26:27], v[38:39], v[6:7]
	v_fma_f64 v[13:14], v[32:33], v[38:39], v[14:15]
	;; [unrolled: 1-line block ×4, first 2 shown]
	s_waitcnt vmcnt(16)
	s_delay_alu instid0(VALU_DEP_4) | instskip(SKIP_1) | instid1(VALU_DEP_4)
	v_fma_f64 v[6:7], v[28:29], v[40:41], v[6:7]
	s_waitcnt vmcnt(15)
	v_fma_f64 v[13:14], v[42:43], v[40:41], v[13:14]
	s_waitcnt vmcnt(14)
	s_delay_alu instid0(VALU_DEP_4) | instskip(SKIP_1) | instid1(VALU_DEP_4)
	v_fma_f64 v[10:11], v[44:45], v[40:41], v[10:11]
	s_waitcnt vmcnt(13)
	v_fma_f64 v[8:9], v[46:47], v[40:41], v[8:9]
	;; [unrolled: 5-line block ×8, first 2 shown]
	s_and_not1_b32 exec_lo, exec_lo, s4
	s_cbranch_execnz .LBB53_15
; %bb.16:
	s_or_b32 exec_lo, exec_lo, s4
.LBB53_17:
	s_delay_alu instid0(SALU_CYCLE_1)
	s_or_b32 exec_lo, exec_lo, s3
.LBB53_18:
	v_mbcnt_lo_u32_b32 v24, -1, 0
	s_delay_alu instid0(VALU_DEP_1) | instskip(NEXT) | instid1(VALU_DEP_1)
	v_xor_b32_e32 v12, 4, v24
	v_cmp_gt_i32_e32 vcc_lo, 32, v12
	v_cndmask_b32_e32 v12, v24, v12, vcc_lo
	s_delay_alu instid0(VALU_DEP_1)
	v_lshlrev_b32_e32 v21, 2, v12
	ds_bpermute_b32 v12, v21, v6
	ds_bpermute_b32 v13, v21, v7
	;; [unrolled: 1-line block ×8, first 2 shown]
	s_waitcnt lgkmcnt(6)
	v_add_f64 v[6:7], v[6:7], v[12:13]
	s_waitcnt lgkmcnt(4)
	v_add_f64 v[12:13], v[14:15], v[16:17]
	;; [unrolled: 2-line block ×4, first 2 shown]
	v_xor_b32_e32 v8, 2, v24
	s_delay_alu instid0(VALU_DEP_1) | instskip(SKIP_1) | instid1(VALU_DEP_1)
	v_cmp_gt_i32_e32 vcc_lo, 32, v8
	v_cndmask_b32_e32 v8, v24, v8, vcc_lo
	v_lshlrev_b32_e32 v10, 2, v8
	ds_bpermute_b32 v8, v10, v6
	ds_bpermute_b32 v9, v10, v7
	;; [unrolled: 1-line block ×8, first 2 shown]
	s_waitcnt lgkmcnt(6)
	v_add_f64 v[10:11], v[6:7], v[8:9]
	s_waitcnt lgkmcnt(4)
	v_add_f64 v[8:9], v[12:13], v[18:19]
	v_xor_b32_e32 v12, 1, v24
	s_waitcnt lgkmcnt(2)
	v_add_f64 v[6:7], v[14:15], v[20:21]
	s_waitcnt lgkmcnt(0)
	v_add_f64 v[14:15], v[16:17], v[22:23]
	v_cmp_gt_i32_e32 vcc_lo, 32, v12
	v_cndmask_b32_e32 v12, v24, v12, vcc_lo
	v_cmp_eq_u32_e32 vcc_lo, 7, v0
	s_delay_alu instid0(VALU_DEP_2)
	v_lshlrev_b32_e32 v17, 2, v12
	ds_bpermute_b32 v12, v17, v10
	ds_bpermute_b32 v13, v17, v11
	;; [unrolled: 1-line block ×8, first 2 shown]
	s_and_b32 exec_lo, exec_lo, vcc_lo
	s_cbranch_execz .LBB53_23
; %bb.19:
	s_waitcnt lgkmcnt(6)
	v_add_f64 v[12:13], v[10:11], v[12:13]
	s_waitcnt lgkmcnt(4)
	v_add_f64 v[10:11], v[8:9], v[20:21]
	s_waitcnt lgkmcnt(2)
	v_add_f64 v[8:9], v[6:7], v[18:19]
	s_waitcnt lgkmcnt(0)
	v_add_f64 v[6:7], v[14:15], v[16:17]
	s_load_b64 s[0:1], s[0:1], 0x38
	s_mov_b32 s2, exec_lo
	v_cmpx_eq_f64_e32 0, v[3:4]
	s_xor_b32 s2, exec_lo, s2
	s_cbranch_execz .LBB53_21
; %bb.20:
	v_mul_f64 v[12:13], v[1:2], v[12:13]
	v_mul_f64 v[14:15], v[1:2], v[10:11]
	;; [unrolled: 1-line block ×4, first 2 shown]
	v_lshlrev_b32_e32 v0, 2, v5
                                        ; implicit-def: $vgpr5
                                        ; implicit-def: $vgpr3_vgpr4
                                        ; implicit-def: $vgpr6_vgpr7
	s_delay_alu instid0(VALU_DEP_1) | instskip(NEXT) | instid1(VALU_DEP_1)
	v_ashrrev_i32_e32 v1, 31, v0
	v_lshlrev_b64 v[0:1], 3, v[0:1]
	s_waitcnt lgkmcnt(0)
	s_delay_alu instid0(VALU_DEP_1) | instskip(NEXT) | instid1(VALU_DEP_2)
	v_add_co_u32 v0, vcc_lo, s0, v0
	v_add_co_ci_u32_e32 v1, vcc_lo, s1, v1, vcc_lo
	s_clause 0x1
	global_store_b128 v[0:1], v[12:15], off
	global_store_b128 v[0:1], v[8:11], off offset:16
                                        ; implicit-def: $vgpr1_vgpr2
                                        ; implicit-def: $vgpr12_vgpr13
                                        ; implicit-def: $vgpr10_vgpr11
                                        ; implicit-def: $vgpr8_vgpr9
.LBB53_21:
	s_and_not1_saveexec_b32 s2, s2
	s_cbranch_execz .LBB53_23
; %bb.22:
	v_lshlrev_b32_e32 v14, 2, v5
	v_mul_f64 v[12:13], v[1:2], v[12:13]
	v_mul_f64 v[10:11], v[1:2], v[10:11]
	v_mul_f64 v[24:25], v[1:2], v[8:9]
	v_mul_f64 v[26:27], v[1:2], v[6:7]
	v_ashrrev_i32_e32 v15, 31, v14
	s_delay_alu instid0(VALU_DEP_1) | instskip(SKIP_1) | instid1(VALU_DEP_1)
	v_lshlrev_b64 v[14:15], 3, v[14:15]
	s_waitcnt lgkmcnt(0)
	v_add_co_u32 v22, vcc_lo, s0, v14
	s_delay_alu instid0(VALU_DEP_2)
	v_add_co_ci_u32_e32 v23, vcc_lo, s1, v15, vcc_lo
	s_clause 0x1
	global_load_b128 v[14:17], v[22:23], off
	global_load_b128 v[18:21], v[22:23], off offset:16
	s_waitcnt vmcnt(1)
	v_fma_f64 v[5:6], v[3:4], v[14:15], v[12:13]
	v_fma_f64 v[7:8], v[3:4], v[16:17], v[10:11]
	s_waitcnt vmcnt(0)
	v_fma_f64 v[0:1], v[3:4], v[18:19], v[24:25]
	v_fma_f64 v[2:3], v[3:4], v[20:21], v[26:27]
	s_clause 0x1
	global_store_b128 v[22:23], v[5:8], off
	global_store_b128 v[22:23], v[0:3], off offset:16
.LBB53_23:
	s_nop 0
	s_sendmsg sendmsg(MSG_DEALLOC_VGPRS)
	s_endpgm
	.section	.rodata,"a",@progbits
	.p2align	6, 0x0
	.amdhsa_kernel _ZN9rocsparseL19gebsrmvn_4xn_kernelILj128ELj5ELj8EdEEvi20rocsparse_direction_NS_24const_host_device_scalarIT2_EEPKiS6_PKS3_S8_S4_PS3_21rocsparse_index_base_b
		.amdhsa_group_segment_fixed_size 0
		.amdhsa_private_segment_fixed_size 0
		.amdhsa_kernarg_size 72
		.amdhsa_user_sgpr_count 15
		.amdhsa_user_sgpr_dispatch_ptr 0
		.amdhsa_user_sgpr_queue_ptr 0
		.amdhsa_user_sgpr_kernarg_segment_ptr 1
		.amdhsa_user_sgpr_dispatch_id 0
		.amdhsa_user_sgpr_private_segment_size 0
		.amdhsa_wavefront_size32 1
		.amdhsa_uses_dynamic_stack 0
		.amdhsa_enable_private_segment 0
		.amdhsa_system_sgpr_workgroup_id_x 1
		.amdhsa_system_sgpr_workgroup_id_y 0
		.amdhsa_system_sgpr_workgroup_id_z 0
		.amdhsa_system_sgpr_workgroup_info 0
		.amdhsa_system_vgpr_workitem_id 0
		.amdhsa_next_free_vgpr 72
		.amdhsa_next_free_sgpr 16
		.amdhsa_reserve_vcc 1
		.amdhsa_float_round_mode_32 0
		.amdhsa_float_round_mode_16_64 0
		.amdhsa_float_denorm_mode_32 3
		.amdhsa_float_denorm_mode_16_64 3
		.amdhsa_dx10_clamp 1
		.amdhsa_ieee_mode 1
		.amdhsa_fp16_overflow 0
		.amdhsa_workgroup_processor_mode 1
		.amdhsa_memory_ordered 1
		.amdhsa_forward_progress 0
		.amdhsa_shared_vgpr_count 0
		.amdhsa_exception_fp_ieee_invalid_op 0
		.amdhsa_exception_fp_denorm_src 0
		.amdhsa_exception_fp_ieee_div_zero 0
		.amdhsa_exception_fp_ieee_overflow 0
		.amdhsa_exception_fp_ieee_underflow 0
		.amdhsa_exception_fp_ieee_inexact 0
		.amdhsa_exception_int_div_zero 0
	.end_amdhsa_kernel
	.section	.text._ZN9rocsparseL19gebsrmvn_4xn_kernelILj128ELj5ELj8EdEEvi20rocsparse_direction_NS_24const_host_device_scalarIT2_EEPKiS6_PKS3_S8_S4_PS3_21rocsparse_index_base_b,"axG",@progbits,_ZN9rocsparseL19gebsrmvn_4xn_kernelILj128ELj5ELj8EdEEvi20rocsparse_direction_NS_24const_host_device_scalarIT2_EEPKiS6_PKS3_S8_S4_PS3_21rocsparse_index_base_b,comdat
.Lfunc_end53:
	.size	_ZN9rocsparseL19gebsrmvn_4xn_kernelILj128ELj5ELj8EdEEvi20rocsparse_direction_NS_24const_host_device_scalarIT2_EEPKiS6_PKS3_S8_S4_PS3_21rocsparse_index_base_b, .Lfunc_end53-_ZN9rocsparseL19gebsrmvn_4xn_kernelILj128ELj5ELj8EdEEvi20rocsparse_direction_NS_24const_host_device_scalarIT2_EEPKiS6_PKS3_S8_S4_PS3_21rocsparse_index_base_b
                                        ; -- End function
	.section	.AMDGPU.csdata,"",@progbits
; Kernel info:
; codeLenInByte = 3104
; NumSgprs: 18
; NumVgprs: 72
; ScratchSize: 0
; MemoryBound: 1
; FloatMode: 240
; IeeeMode: 1
; LDSByteSize: 0 bytes/workgroup (compile time only)
; SGPRBlocks: 2
; VGPRBlocks: 8
; NumSGPRsForWavesPerEU: 18
; NumVGPRsForWavesPerEU: 72
; Occupancy: 16
; WaveLimiterHint : 1
; COMPUTE_PGM_RSRC2:SCRATCH_EN: 0
; COMPUTE_PGM_RSRC2:USER_SGPR: 15
; COMPUTE_PGM_RSRC2:TRAP_HANDLER: 0
; COMPUTE_PGM_RSRC2:TGID_X_EN: 1
; COMPUTE_PGM_RSRC2:TGID_Y_EN: 0
; COMPUTE_PGM_RSRC2:TGID_Z_EN: 0
; COMPUTE_PGM_RSRC2:TIDIG_COMP_CNT: 0
	.section	.text._ZN9rocsparseL19gebsrmvn_4xn_kernelILj128ELj5ELj16EdEEvi20rocsparse_direction_NS_24const_host_device_scalarIT2_EEPKiS6_PKS3_S8_S4_PS3_21rocsparse_index_base_b,"axG",@progbits,_ZN9rocsparseL19gebsrmvn_4xn_kernelILj128ELj5ELj16EdEEvi20rocsparse_direction_NS_24const_host_device_scalarIT2_EEPKiS6_PKS3_S8_S4_PS3_21rocsparse_index_base_b,comdat
	.globl	_ZN9rocsparseL19gebsrmvn_4xn_kernelILj128ELj5ELj16EdEEvi20rocsparse_direction_NS_24const_host_device_scalarIT2_EEPKiS6_PKS3_S8_S4_PS3_21rocsparse_index_base_b ; -- Begin function _ZN9rocsparseL19gebsrmvn_4xn_kernelILj128ELj5ELj16EdEEvi20rocsparse_direction_NS_24const_host_device_scalarIT2_EEPKiS6_PKS3_S8_S4_PS3_21rocsparse_index_base_b
	.p2align	8
	.type	_ZN9rocsparseL19gebsrmvn_4xn_kernelILj128ELj5ELj16EdEEvi20rocsparse_direction_NS_24const_host_device_scalarIT2_EEPKiS6_PKS3_S8_S4_PS3_21rocsparse_index_base_b,@function
_ZN9rocsparseL19gebsrmvn_4xn_kernelILj128ELj5ELj16EdEEvi20rocsparse_direction_NS_24const_host_device_scalarIT2_EEPKiS6_PKS3_S8_S4_PS3_21rocsparse_index_base_b: ; @_ZN9rocsparseL19gebsrmvn_4xn_kernelILj128ELj5ELj16EdEEvi20rocsparse_direction_NS_24const_host_device_scalarIT2_EEPKiS6_PKS3_S8_S4_PS3_21rocsparse_index_base_b
; %bb.0:
	s_clause 0x2
	s_load_b64 s[12:13], s[0:1], 0x40
	s_load_b64 s[4:5], s[0:1], 0x8
	;; [unrolled: 1-line block ×3, first 2 shown]
	s_waitcnt lgkmcnt(0)
	s_bitcmp1_b32 s13, 0
	v_dual_mov_b32 v1, s4 :: v_dual_mov_b32 v2, s5
	s_cselect_b32 s6, -1, 0
	s_delay_alu instid0(SALU_CYCLE_1)
	s_and_b32 vcc_lo, exec_lo, s6
	s_xor_b32 s6, s6, -1
	s_cbranch_vccnz .LBB54_2
; %bb.1:
	v_dual_mov_b32 v1, s4 :: v_dual_mov_b32 v2, s5
	flat_load_b64 v[1:2], v[1:2]
.LBB54_2:
	v_dual_mov_b32 v4, s3 :: v_dual_mov_b32 v3, s2
	s_and_not1_b32 vcc_lo, exec_lo, s6
	s_cbranch_vccnz .LBB54_4
; %bb.3:
	v_dual_mov_b32 v4, s3 :: v_dual_mov_b32 v3, s2
	flat_load_b64 v[3:4], v[3:4]
.LBB54_4:
	s_waitcnt vmcnt(0) lgkmcnt(0)
	v_cmp_neq_f64_e32 vcc_lo, 0, v[1:2]
	v_cmp_neq_f64_e64 s2, 1.0, v[3:4]
	s_delay_alu instid0(VALU_DEP_1) | instskip(NEXT) | instid1(SALU_CYCLE_1)
	s_or_b32 s2, vcc_lo, s2
	s_and_saveexec_b32 s3, s2
	s_cbranch_execz .LBB54_23
; %bb.5:
	s_load_b64 s[2:3], s[0:1], 0x0
	v_lshrrev_b32_e32 v5, 4, v0
	s_delay_alu instid0(VALU_DEP_1) | instskip(SKIP_1) | instid1(VALU_DEP_1)
	v_lshl_or_b32 v5, s15, 3, v5
	s_waitcnt lgkmcnt(0)
	v_cmp_gt_i32_e32 vcc_lo, s2, v5
	s_and_b32 exec_lo, exec_lo, vcc_lo
	s_cbranch_execz .LBB54_23
; %bb.6:
	s_load_b256 s[4:11], s[0:1], 0x10
	v_ashrrev_i32_e32 v6, 31, v5
	v_and_b32_e32 v0, 15, v0
	s_cmp_lg_u32 s3, 0
	s_delay_alu instid0(VALU_DEP_2) | instskip(SKIP_1) | instid1(VALU_DEP_1)
	v_lshlrev_b64 v[6:7], 2, v[5:6]
	s_waitcnt lgkmcnt(0)
	v_add_co_u32 v6, vcc_lo, s4, v6
	s_delay_alu instid0(VALU_DEP_2) | instskip(SKIP_4) | instid1(VALU_DEP_2)
	v_add_co_ci_u32_e32 v7, vcc_lo, s5, v7, vcc_lo
	global_load_b64 v[6:7], v[6:7], off
	s_waitcnt vmcnt(0)
	v_subrev_nc_u32_e32 v6, s12, v6
	v_subrev_nc_u32_e32 v20, s12, v7
	v_add_nc_u32_e32 v14, v6, v0
	s_delay_alu instid0(VALU_DEP_1)
	v_cmp_lt_i32_e64 s2, v14, v20
	s_cbranch_scc0 .LBB54_12
; %bb.7:
	v_mov_b32_e32 v6, 0
	v_mov_b32_e32 v7, 0
	s_delay_alu instid0(VALU_DEP_1)
	v_dual_mov_b32 v9, v7 :: v_dual_mov_b32 v8, v6
	v_dual_mov_b32 v11, v7 :: v_dual_mov_b32 v10, v6
	;; [unrolled: 1-line block ×3, first 2 shown]
	s_and_saveexec_b32 s3, s2
	s_cbranch_execz .LBB54_11
; %bb.8:
	v_dual_mov_b32 v6, 0 :: v_dual_mov_b32 v17, 0
	v_dual_mov_b32 v7, 0 :: v_dual_mov_b32 v18, v14
	v_mad_u64_u32 v[15:16], null, v14, 20, 16
	s_mov_b32 s4, 0
	s_delay_alu instid0(VALU_DEP_2)
	v_dual_mov_b32 v9, v7 :: v_dual_mov_b32 v8, v6
	v_dual_mov_b32 v11, v7 :: v_dual_mov_b32 v10, v6
	;; [unrolled: 1-line block ×3, first 2 shown]
.LBB54_9:                               ; =>This Inner Loop Header: Depth=1
	v_ashrrev_i32_e32 v19, 31, v18
	v_add_nc_u32_e32 v16, -16, v15
	v_mov_b32_e32 v58, v17
	s_delay_alu instid0(VALU_DEP_3) | instskip(SKIP_1) | instid1(VALU_DEP_2)
	v_lshlrev_b64 v[21:22], 2, v[18:19]
	v_add_nc_u32_e32 v18, 16, v18
	v_add_co_u32 v21, vcc_lo, s6, v21
	s_delay_alu instid0(VALU_DEP_3) | instskip(SKIP_2) | instid1(VALU_DEP_1)
	v_add_co_ci_u32_e32 v22, vcc_lo, s7, v22, vcc_lo
	global_load_b32 v19, v[21:22], off
	v_lshlrev_b64 v[21:22], 3, v[16:17]
	v_add_co_u32 v25, vcc_lo, s8, v21
	s_delay_alu instid0(VALU_DEP_2) | instskip(SKIP_3) | instid1(VALU_DEP_1)
	v_add_co_ci_u32_e32 v26, vcc_lo, s9, v22, vcc_lo
	global_load_b128 v[21:24], v[25:26], off offset:16
	s_waitcnt vmcnt(1)
	v_subrev_nc_u32_e32 v16, s12, v19
	v_lshl_add_u32 v57, v16, 2, v16
	v_add_nc_u32_e32 v16, -12, v15
	s_delay_alu instid0(VALU_DEP_2) | instskip(NEXT) | instid1(VALU_DEP_1)
	v_lshlrev_b64 v[27:28], 3, v[57:58]
	v_add_co_u32 v29, vcc_lo, s10, v27
	s_delay_alu instid0(VALU_DEP_2) | instskip(SKIP_4) | instid1(VALU_DEP_1)
	v_add_co_ci_u32_e32 v30, vcc_lo, s11, v28, vcc_lo
	global_load_b128 v[25:28], v[25:26], off
	global_load_b64 v[61:62], v[29:30], off
	v_lshlrev_b64 v[29:30], 3, v[16:17]
	v_add_nc_u32_e32 v16, 1, v57
	v_lshlrev_b64 v[35:36], 3, v[16:17]
	s_delay_alu instid0(VALU_DEP_3) | instskip(NEXT) | instid1(VALU_DEP_4)
	v_add_co_u32 v33, vcc_lo, s8, v29
	v_add_co_ci_u32_e32 v34, vcc_lo, s9, v30, vcc_lo
	v_add_nc_u32_e32 v16, -8, v15
	s_delay_alu instid0(VALU_DEP_4)
	v_add_co_u32 v37, vcc_lo, s10, v35
	v_add_co_ci_u32_e32 v38, vcc_lo, s11, v36, vcc_lo
	s_clause 0x1
	global_load_b128 v[29:32], v[33:34], off offset:16
	global_load_b128 v[33:36], v[33:34], off
	global_load_b64 v[63:64], v[37:38], off
	v_lshlrev_b64 v[37:38], 3, v[16:17]
	v_add_nc_u32_e32 v16, 2, v57
	s_delay_alu instid0(VALU_DEP_1) | instskip(NEXT) | instid1(VALU_DEP_3)
	v_lshlrev_b64 v[39:40], 3, v[16:17]
	v_add_co_u32 v41, vcc_lo, s8, v37
	s_delay_alu instid0(VALU_DEP_4) | instskip(SKIP_1) | instid1(VALU_DEP_4)
	v_add_co_ci_u32_e32 v42, vcc_lo, s9, v38, vcc_lo
	v_add_nc_u32_e32 v16, -4, v15
	v_add_co_u32 v45, vcc_lo, s10, v39
	v_add_co_ci_u32_e32 v46, vcc_lo, s11, v40, vcc_lo
	s_clause 0x1
	global_load_b128 v[37:40], v[41:42], off offset:16
	global_load_b128 v[41:44], v[41:42], off
	global_load_b64 v[65:66], v[45:46], off
	v_lshlrev_b64 v[45:46], 3, v[16:17]
	v_add_nc_u32_e32 v16, 3, v57
	s_delay_alu instid0(VALU_DEP_1) | instskip(NEXT) | instid1(VALU_DEP_3)
	v_lshlrev_b64 v[47:48], 3, v[16:17]
	v_add_co_u32 v49, vcc_lo, s8, v45
	s_delay_alu instid0(VALU_DEP_4) | instskip(SKIP_1) | instid1(VALU_DEP_4)
	v_add_co_ci_u32_e32 v50, vcc_lo, s9, v46, vcc_lo
	v_mov_b32_e32 v16, v17
	v_add_co_u32 v53, vcc_lo, s10, v47
	v_add_co_ci_u32_e32 v54, vcc_lo, s11, v48, vcc_lo
	s_clause 0x1
	global_load_b128 v[45:48], v[49:50], off offset:16
	global_load_b128 v[49:52], v[49:50], off
	global_load_b64 v[67:68], v[53:54], off
	v_lshlrev_b64 v[53:54], 3, v[15:16]
	v_add_nc_u32_e32 v15, 0x140, v15
	v_add_nc_u32_e32 v16, 4, v57
	s_delay_alu instid0(VALU_DEP_3) | instskip(NEXT) | instid1(VALU_DEP_2)
	v_add_co_u32 v58, vcc_lo, s8, v53
	v_lshlrev_b64 v[69:70], 3, v[16:17]
	v_add_co_ci_u32_e32 v59, vcc_lo, s9, v54, vcc_lo
	s_delay_alu instid0(VALU_DEP_2) | instskip(NEXT) | instid1(VALU_DEP_3)
	v_add_co_u32 v69, vcc_lo, s10, v69
	v_add_co_ci_u32_e32 v70, vcc_lo, s11, v70, vcc_lo
	s_clause 0x1
	global_load_b128 v[53:56], v[58:59], off offset:16
	global_load_b128 v[57:60], v[58:59], off
	global_load_b64 v[69:70], v[69:70], off
	v_cmp_ge_i32_e32 vcc_lo, v18, v20
	s_or_b32 s4, vcc_lo, s4
	s_waitcnt vmcnt(12)
	v_fma_f64 v[6:7], v[25:26], v[61:62], v[6:7]
	v_fma_f64 v[12:13], v[27:28], v[61:62], v[12:13]
	;; [unrolled: 1-line block ×4, first 2 shown]
	s_waitcnt vmcnt(9)
	s_delay_alu instid0(VALU_DEP_4) | instskip(NEXT) | instid1(VALU_DEP_4)
	v_fma_f64 v[6:7], v[33:34], v[63:64], v[6:7]
	v_fma_f64 v[12:13], v[35:36], v[63:64], v[12:13]
	s_delay_alu instid0(VALU_DEP_4) | instskip(NEXT) | instid1(VALU_DEP_4)
	v_fma_f64 v[10:11], v[29:30], v[63:64], v[10:11]
	v_fma_f64 v[8:9], v[31:32], v[63:64], v[8:9]
	s_waitcnt vmcnt(6)
	s_delay_alu instid0(VALU_DEP_4) | instskip(NEXT) | instid1(VALU_DEP_4)
	v_fma_f64 v[6:7], v[41:42], v[65:66], v[6:7]
	v_fma_f64 v[12:13], v[43:44], v[65:66], v[12:13]
	s_delay_alu instid0(VALU_DEP_4) | instskip(NEXT) | instid1(VALU_DEP_4)
	v_fma_f64 v[10:11], v[37:38], v[65:66], v[10:11]
	v_fma_f64 v[8:9], v[39:40], v[65:66], v[8:9]
	;; [unrolled: 7-line block ×4, first 2 shown]
	s_and_not1_b32 exec_lo, exec_lo, s4
	s_cbranch_execnz .LBB54_9
; %bb.10:
	s_or_b32 exec_lo, exec_lo, s4
.LBB54_11:
	s_delay_alu instid0(SALU_CYCLE_1)
	s_or_b32 exec_lo, exec_lo, s3
	s_cbranch_execz .LBB54_13
	s_branch .LBB54_18
.LBB54_12:
                                        ; implicit-def: $vgpr6_vgpr7
                                        ; implicit-def: $vgpr8_vgpr9
                                        ; implicit-def: $vgpr10_vgpr11
                                        ; implicit-def: $vgpr12_vgpr13
.LBB54_13:
	v_mov_b32_e32 v6, 0
	v_mov_b32_e32 v7, 0
	s_delay_alu instid0(VALU_DEP_1)
	v_dual_mov_b32 v9, v7 :: v_dual_mov_b32 v8, v6
	v_dual_mov_b32 v11, v7 :: v_dual_mov_b32 v10, v6
	v_dual_mov_b32 v13, v7 :: v_dual_mov_b32 v12, v6
	s_and_saveexec_b32 s3, s2
	s_cbranch_execz .LBB54_17
; %bb.14:
	v_dual_mov_b32 v6, 0 :: v_dual_mov_b32 v19, 0
	v_mov_b32_e32 v7, 0
	v_mad_u64_u32 v[16:17], null, v14, 20, 19
	s_mov_b32 s4, 0
	s_delay_alu instid0(VALU_DEP_2)
	v_dual_mov_b32 v9, v7 :: v_dual_mov_b32 v8, v6
	v_dual_mov_b32 v11, v7 :: v_dual_mov_b32 v10, v6
	;; [unrolled: 1-line block ×3, first 2 shown]
.LBB54_15:                              ; =>This Inner Loop Header: Depth=1
	v_ashrrev_i32_e32 v15, 31, v14
	v_dual_mov_b32 v30, v19 :: v_dual_add_nc_u32 v21, -14, v16
	v_dual_mov_b32 v22, v19 :: v_dual_add_nc_u32 v23, -9, v16
	s_delay_alu instid0(VALU_DEP_3) | instskip(SKIP_2) | instid1(VALU_DEP_4)
	v_lshlrev_b64 v[17:18], 2, v[14:15]
	v_dual_mov_b32 v24, v19 :: v_dual_add_nc_u32 v25, -4, v16
	v_mov_b32_e32 v26, v19
	v_lshlrev_b64 v[21:22], 3, v[21:22]
	v_add_nc_u32_e32 v14, 16, v14
	v_add_co_u32 v17, vcc_lo, s6, v17
	v_add_co_ci_u32_e32 v18, vcc_lo, s7, v18, vcc_lo
	v_lshlrev_b64 v[23:24], 3, v[23:24]
	v_lshlrev_b64 v[25:26], 3, v[25:26]
	global_load_b32 v15, v[17:18], off
	v_subrev_nc_u32_e32 v18, 19, v16
	s_delay_alu instid0(VALU_DEP_1) | instskip(NEXT) | instid1(VALU_DEP_1)
	v_lshlrev_b64 v[17:18], 3, v[18:19]
	v_add_co_u32 v17, vcc_lo, s8, v17
	s_delay_alu instid0(VALU_DEP_2)
	v_add_co_ci_u32_e32 v18, vcc_lo, s9, v18, vcc_lo
	v_add_co_u32 v31, vcc_lo, s8, v21
	v_add_co_ci_u32_e32 v32, vcc_lo, s9, v22, vcc_lo
	v_add_co_u32 v33, vcc_lo, s8, v23
	;; [unrolled: 2-line block ×3, first 2 shown]
	v_add_co_ci_u32_e32 v36, vcc_lo, s9, v26, vcc_lo
	s_clause 0x3
	global_load_b128 v[21:24], v[17:18], off offset:16
	global_load_b128 v[25:28], v[17:18], off
	global_load_b64 v[31:32], v[31:32], off
	global_load_b64 v[33:34], v[33:34], off
	s_waitcnt vmcnt(4)
	v_subrev_nc_u32_e32 v15, s12, v15
	s_delay_alu instid0(VALU_DEP_1) | instskip(NEXT) | instid1(VALU_DEP_1)
	v_lshl_add_u32 v29, v15, 2, v15
	v_lshlrev_b64 v[17:18], 3, v[29:30]
	s_delay_alu instid0(VALU_DEP_1) | instskip(NEXT) | instid1(VALU_DEP_2)
	v_add_co_u32 v17, vcc_lo, s10, v17
	v_add_co_ci_u32_e32 v18, vcc_lo, s11, v18, vcc_lo
	global_load_b64 v[35:36], v[35:36], off
	global_load_b64 v[37:38], v[17:18], off
	v_dual_mov_b32 v17, v19 :: v_dual_add_nc_u32 v18, 1, v29
	s_delay_alu instid0(VALU_DEP_1) | instskip(NEXT) | instid1(VALU_DEP_2)
	v_lshlrev_b64 v[47:48], 3, v[16:17]
	v_lshlrev_b64 v[39:40], 3, v[18:19]
	v_add_nc_u32_e32 v18, -13, v16
	s_delay_alu instid0(VALU_DEP_1) | instskip(SKIP_1) | instid1(VALU_DEP_4)
	v_lshlrev_b64 v[41:42], 3, v[18:19]
	v_add_nc_u32_e32 v18, -8, v16
	v_add_co_u32 v39, vcc_lo, s10, v39
	v_add_co_ci_u32_e32 v40, vcc_lo, s11, v40, vcc_lo
	s_delay_alu instid0(VALU_DEP_3) | instskip(SKIP_3) | instid1(VALU_DEP_3)
	v_lshlrev_b64 v[43:44], 3, v[18:19]
	v_add_nc_u32_e32 v18, -3, v16
	v_add_co_u32 v41, vcc_lo, s8, v41
	v_add_co_ci_u32_e32 v42, vcc_lo, s9, v42, vcc_lo
	v_lshlrev_b64 v[45:46], 3, v[18:19]
	v_add_co_u32 v43, vcc_lo, s8, v43
	v_add_co_ci_u32_e32 v44, vcc_lo, s9, v44, vcc_lo
	v_add_nc_u32_e32 v18, 2, v29
	s_delay_alu instid0(VALU_DEP_4)
	v_add_co_u32 v45, vcc_lo, s8, v45
	v_add_co_ci_u32_e32 v46, vcc_lo, s9, v46, vcc_lo
	global_load_b64 v[39:40], v[39:40], off
	s_clause 0x2
	global_load_b64 v[41:42], v[41:42], off
	global_load_b64 v[43:44], v[43:44], off
	;; [unrolled: 1-line block ×3, first 2 shown]
	v_lshlrev_b64 v[49:50], 3, v[18:19]
	v_add_nc_u32_e32 v18, -12, v16
	s_delay_alu instid0(VALU_DEP_1) | instskip(SKIP_1) | instid1(VALU_DEP_4)
	v_lshlrev_b64 v[51:52], 3, v[18:19]
	v_add_nc_u32_e32 v18, -7, v16
	v_add_co_u32 v49, vcc_lo, s10, v49
	v_add_co_ci_u32_e32 v50, vcc_lo, s11, v50, vcc_lo
	s_delay_alu instid0(VALU_DEP_3) | instskip(SKIP_3) | instid1(VALU_DEP_3)
	v_lshlrev_b64 v[53:54], 3, v[18:19]
	v_add_nc_u32_e32 v18, -2, v16
	v_add_co_u32 v51, vcc_lo, s8, v51
	v_add_co_ci_u32_e32 v52, vcc_lo, s9, v52, vcc_lo
	v_lshlrev_b64 v[17:18], 3, v[18:19]
	v_add_co_u32 v53, vcc_lo, s8, v53
	v_add_co_ci_u32_e32 v54, vcc_lo, s9, v54, vcc_lo
	s_delay_alu instid0(VALU_DEP_3) | instskip(NEXT) | instid1(VALU_DEP_4)
	v_add_co_u32 v17, vcc_lo, s8, v17
	v_add_co_ci_u32_e32 v18, vcc_lo, s9, v18, vcc_lo
	global_load_b64 v[49:50], v[49:50], off
	s_clause 0x2
	global_load_b64 v[51:52], v[51:52], off
	global_load_b64 v[53:54], v[53:54], off
	;; [unrolled: 1-line block ×3, first 2 shown]
	v_add_nc_u32_e32 v18, 3, v29
	v_add_co_u32 v47, vcc_lo, s8, v47
	v_add_co_ci_u32_e32 v48, vcc_lo, s9, v48, vcc_lo
	s_delay_alu instid0(VALU_DEP_3) | instskip(SKIP_1) | instid1(VALU_DEP_1)
	v_lshlrev_b64 v[57:58], 3, v[18:19]
	v_add_nc_u32_e32 v18, -11, v16
	v_lshlrev_b64 v[59:60], 3, v[18:19]
	v_add_nc_u32_e32 v18, -6, v16
	s_delay_alu instid0(VALU_DEP_4) | instskip(NEXT) | instid1(VALU_DEP_1)
	v_add_co_u32 v57, s2, s10, v57
	v_add_co_ci_u32_e64 v58, s2, s11, v58, s2
	s_delay_alu instid0(VALU_DEP_3) | instskip(SKIP_2) | instid1(VALU_DEP_1)
	v_lshlrev_b64 v[61:62], 3, v[18:19]
	v_add_nc_u32_e32 v18, -1, v16
	v_add_co_u32 v59, s2, s8, v59
	v_add_co_ci_u32_e64 v60, s2, s9, v60, s2
	s_delay_alu instid0(VALU_DEP_3) | instskip(SKIP_1) | instid1(VALU_DEP_1)
	v_lshlrev_b64 v[17:18], 3, v[18:19]
	v_add_co_u32 v61, s2, s8, v61
	v_add_co_ci_u32_e64 v62, s2, s9, v62, s2
	s_delay_alu instid0(VALU_DEP_3) | instskip(NEXT) | instid1(VALU_DEP_1)
	v_add_co_u32 v17, s2, s8, v17
	v_add_co_ci_u32_e64 v18, s2, s9, v18, s2
	global_load_b64 v[57:58], v[57:58], off
	s_clause 0x2
	global_load_b64 v[59:60], v[59:60], off
	global_load_b64 v[61:62], v[61:62], off
	;; [unrolled: 1-line block ×3, first 2 shown]
	v_add_nc_u32_e32 v18, -15, v16
	s_delay_alu instid0(VALU_DEP_1) | instskip(SKIP_1) | instid1(VALU_DEP_1)
	v_lshlrev_b64 v[65:66], 3, v[18:19]
	v_add_nc_u32_e32 v18, 4, v29
	v_lshlrev_b64 v[29:30], 3, v[18:19]
	v_add_nc_u32_e32 v18, -10, v16
	s_delay_alu instid0(VALU_DEP_4) | instskip(SKIP_1) | instid1(VALU_DEP_3)
	v_add_co_u32 v65, vcc_lo, s8, v65
	v_add_co_ci_u32_e32 v66, vcc_lo, s9, v66, vcc_lo
	v_lshlrev_b64 v[67:68], 3, v[18:19]
	v_add_nc_u32_e32 v18, -5, v16
	v_add_co_u32 v29, vcc_lo, s10, v29
	v_add_co_ci_u32_e32 v30, vcc_lo, s11, v30, vcc_lo
	s_delay_alu instid0(VALU_DEP_3) | instskip(SKIP_3) | instid1(VALU_DEP_4)
	v_lshlrev_b64 v[17:18], 3, v[18:19]
	v_add_co_u32 v67, vcc_lo, s8, v67
	v_add_co_ci_u32_e32 v68, vcc_lo, s9, v68, vcc_lo
	v_add_nc_u32_e32 v16, 0x140, v16
	v_add_co_u32 v17, vcc_lo, s8, v17
	v_add_co_ci_u32_e32 v18, vcc_lo, s9, v18, vcc_lo
	global_load_b64 v[65:66], v[65:66], off
	global_load_b64 v[29:30], v[29:30], off
	s_clause 0x2
	global_load_b64 v[67:68], v[67:68], off
	global_load_b64 v[17:18], v[17:18], off
	;; [unrolled: 1-line block ×3, first 2 shown]
	v_cmp_ge_i32_e32 vcc_lo, v14, v20
	s_or_b32 s4, vcc_lo, s4
	s_waitcnt vmcnt(17)
	v_fma_f64 v[6:7], v[25:26], v[37:38], v[6:7]
	v_fma_f64 v[12:13], v[31:32], v[37:38], v[12:13]
	;; [unrolled: 1-line block ×4, first 2 shown]
	s_waitcnt vmcnt(16)
	s_delay_alu instid0(VALU_DEP_4) | instskip(SKIP_1) | instid1(VALU_DEP_4)
	v_fma_f64 v[6:7], v[27:28], v[39:40], v[6:7]
	s_waitcnt vmcnt(15)
	v_fma_f64 v[12:13], v[41:42], v[39:40], v[12:13]
	s_waitcnt vmcnt(14)
	s_delay_alu instid0(VALU_DEP_4) | instskip(SKIP_1) | instid1(VALU_DEP_4)
	v_fma_f64 v[10:11], v[43:44], v[39:40], v[10:11]
	s_waitcnt vmcnt(13)
	v_fma_f64 v[8:9], v[45:46], v[39:40], v[8:9]
	;; [unrolled: 5-line block ×8, first 2 shown]
	s_and_not1_b32 exec_lo, exec_lo, s4
	s_cbranch_execnz .LBB54_15
; %bb.16:
	s_or_b32 exec_lo, exec_lo, s4
.LBB54_17:
	s_delay_alu instid0(SALU_CYCLE_1)
	s_or_b32 exec_lo, exec_lo, s3
.LBB54_18:
	v_mbcnt_lo_u32_b32 v24, -1, 0
	s_delay_alu instid0(VALU_DEP_1) | instskip(NEXT) | instid1(VALU_DEP_1)
	v_xor_b32_e32 v14, 8, v24
	v_cmp_gt_i32_e32 vcc_lo, 32, v14
	v_cndmask_b32_e32 v14, v24, v14, vcc_lo
	s_delay_alu instid0(VALU_DEP_1)
	v_lshlrev_b32_e32 v21, 2, v14
	ds_bpermute_b32 v14, v21, v6
	ds_bpermute_b32 v15, v21, v7
	ds_bpermute_b32 v16, v21, v12
	ds_bpermute_b32 v17, v21, v13
	ds_bpermute_b32 v18, v21, v10
	ds_bpermute_b32 v19, v21, v11
	ds_bpermute_b32 v20, v21, v8
	ds_bpermute_b32 v21, v21, v9
	s_waitcnt lgkmcnt(6)
	v_add_f64 v[6:7], v[6:7], v[14:15]
	v_xor_b32_e32 v14, 4, v24
	s_waitcnt lgkmcnt(4)
	v_add_f64 v[12:13], v[12:13], v[16:17]
	s_waitcnt lgkmcnt(2)
	v_add_f64 v[10:11], v[10:11], v[18:19]
	;; [unrolled: 2-line block ×3, first 2 shown]
	v_cmp_gt_i32_e32 vcc_lo, 32, v14
	v_cndmask_b32_e32 v14, v24, v14, vcc_lo
	s_delay_alu instid0(VALU_DEP_1)
	v_lshlrev_b32_e32 v21, 2, v14
	ds_bpermute_b32 v14, v21, v6
	ds_bpermute_b32 v15, v21, v7
	ds_bpermute_b32 v16, v21, v12
	ds_bpermute_b32 v17, v21, v13
	ds_bpermute_b32 v18, v21, v10
	ds_bpermute_b32 v19, v21, v11
	ds_bpermute_b32 v20, v21, v8
	ds_bpermute_b32 v21, v21, v9
	s_waitcnt lgkmcnt(6)
	v_add_f64 v[6:7], v[6:7], v[14:15]
	s_waitcnt lgkmcnt(4)
	v_add_f64 v[12:13], v[12:13], v[16:17]
	;; [unrolled: 2-line block ×4, first 2 shown]
	v_xor_b32_e32 v8, 2, v24
	s_delay_alu instid0(VALU_DEP_1) | instskip(SKIP_1) | instid1(VALU_DEP_1)
	v_cmp_gt_i32_e32 vcc_lo, 32, v8
	v_cndmask_b32_e32 v8, v24, v8, vcc_lo
	v_lshlrev_b32_e32 v10, 2, v8
	ds_bpermute_b32 v8, v10, v6
	ds_bpermute_b32 v9, v10, v7
	;; [unrolled: 1-line block ×8, first 2 shown]
	s_waitcnt lgkmcnt(6)
	v_add_f64 v[10:11], v[6:7], v[8:9]
	s_waitcnt lgkmcnt(4)
	v_add_f64 v[8:9], v[12:13], v[18:19]
	v_xor_b32_e32 v12, 1, v24
	s_waitcnt lgkmcnt(2)
	v_add_f64 v[6:7], v[14:15], v[20:21]
	s_waitcnt lgkmcnt(0)
	v_add_f64 v[14:15], v[16:17], v[22:23]
	v_cmp_gt_i32_e32 vcc_lo, 32, v12
	v_cndmask_b32_e32 v12, v24, v12, vcc_lo
	v_cmp_eq_u32_e32 vcc_lo, 15, v0
	s_delay_alu instid0(VALU_DEP_2)
	v_lshlrev_b32_e32 v17, 2, v12
	ds_bpermute_b32 v12, v17, v10
	ds_bpermute_b32 v13, v17, v11
	;; [unrolled: 1-line block ×8, first 2 shown]
	s_and_b32 exec_lo, exec_lo, vcc_lo
	s_cbranch_execz .LBB54_23
; %bb.19:
	s_waitcnt lgkmcnt(6)
	v_add_f64 v[12:13], v[10:11], v[12:13]
	s_waitcnt lgkmcnt(4)
	v_add_f64 v[10:11], v[8:9], v[20:21]
	;; [unrolled: 2-line block ×4, first 2 shown]
	s_load_b64 s[0:1], s[0:1], 0x38
	s_mov_b32 s2, exec_lo
	v_cmpx_eq_f64_e32 0, v[3:4]
	s_xor_b32 s2, exec_lo, s2
	s_cbranch_execz .LBB54_21
; %bb.20:
	v_mul_f64 v[12:13], v[1:2], v[12:13]
	v_mul_f64 v[14:15], v[1:2], v[10:11]
	;; [unrolled: 1-line block ×4, first 2 shown]
	v_lshlrev_b32_e32 v0, 2, v5
                                        ; implicit-def: $vgpr5
                                        ; implicit-def: $vgpr3_vgpr4
                                        ; implicit-def: $vgpr6_vgpr7
	s_delay_alu instid0(VALU_DEP_1) | instskip(NEXT) | instid1(VALU_DEP_1)
	v_ashrrev_i32_e32 v1, 31, v0
	v_lshlrev_b64 v[0:1], 3, v[0:1]
	s_waitcnt lgkmcnt(0)
	s_delay_alu instid0(VALU_DEP_1) | instskip(NEXT) | instid1(VALU_DEP_2)
	v_add_co_u32 v0, vcc_lo, s0, v0
	v_add_co_ci_u32_e32 v1, vcc_lo, s1, v1, vcc_lo
	s_clause 0x1
	global_store_b128 v[0:1], v[12:15], off
	global_store_b128 v[0:1], v[8:11], off offset:16
                                        ; implicit-def: $vgpr1_vgpr2
                                        ; implicit-def: $vgpr12_vgpr13
                                        ; implicit-def: $vgpr10_vgpr11
                                        ; implicit-def: $vgpr8_vgpr9
.LBB54_21:
	s_and_not1_saveexec_b32 s2, s2
	s_cbranch_execz .LBB54_23
; %bb.22:
	v_lshlrev_b32_e32 v14, 2, v5
	v_mul_f64 v[12:13], v[1:2], v[12:13]
	v_mul_f64 v[10:11], v[1:2], v[10:11]
	;; [unrolled: 1-line block ×4, first 2 shown]
	v_ashrrev_i32_e32 v15, 31, v14
	s_delay_alu instid0(VALU_DEP_1) | instskip(SKIP_1) | instid1(VALU_DEP_1)
	v_lshlrev_b64 v[14:15], 3, v[14:15]
	s_waitcnt lgkmcnt(0)
	v_add_co_u32 v22, vcc_lo, s0, v14
	s_delay_alu instid0(VALU_DEP_2)
	v_add_co_ci_u32_e32 v23, vcc_lo, s1, v15, vcc_lo
	s_clause 0x1
	global_load_b128 v[14:17], v[22:23], off
	global_load_b128 v[18:21], v[22:23], off offset:16
	s_waitcnt vmcnt(1)
	v_fma_f64 v[5:6], v[3:4], v[14:15], v[12:13]
	v_fma_f64 v[7:8], v[3:4], v[16:17], v[10:11]
	s_waitcnt vmcnt(0)
	v_fma_f64 v[0:1], v[3:4], v[18:19], v[24:25]
	v_fma_f64 v[2:3], v[3:4], v[20:21], v[26:27]
	s_clause 0x1
	global_store_b128 v[22:23], v[5:8], off
	global_store_b128 v[22:23], v[0:3], off offset:16
.LBB54_23:
	s_nop 0
	s_sendmsg sendmsg(MSG_DEALLOC_VGPRS)
	s_endpgm
	.section	.rodata,"a",@progbits
	.p2align	6, 0x0
	.amdhsa_kernel _ZN9rocsparseL19gebsrmvn_4xn_kernelILj128ELj5ELj16EdEEvi20rocsparse_direction_NS_24const_host_device_scalarIT2_EEPKiS6_PKS3_S8_S4_PS3_21rocsparse_index_base_b
		.amdhsa_group_segment_fixed_size 0
		.amdhsa_private_segment_fixed_size 0
		.amdhsa_kernarg_size 72
		.amdhsa_user_sgpr_count 15
		.amdhsa_user_sgpr_dispatch_ptr 0
		.amdhsa_user_sgpr_queue_ptr 0
		.amdhsa_user_sgpr_kernarg_segment_ptr 1
		.amdhsa_user_sgpr_dispatch_id 0
		.amdhsa_user_sgpr_private_segment_size 0
		.amdhsa_wavefront_size32 1
		.amdhsa_uses_dynamic_stack 0
		.amdhsa_enable_private_segment 0
		.amdhsa_system_sgpr_workgroup_id_x 1
		.amdhsa_system_sgpr_workgroup_id_y 0
		.amdhsa_system_sgpr_workgroup_id_z 0
		.amdhsa_system_sgpr_workgroup_info 0
		.amdhsa_system_vgpr_workitem_id 0
		.amdhsa_next_free_vgpr 71
		.amdhsa_next_free_sgpr 16
		.amdhsa_reserve_vcc 1
		.amdhsa_float_round_mode_32 0
		.amdhsa_float_round_mode_16_64 0
		.amdhsa_float_denorm_mode_32 3
		.amdhsa_float_denorm_mode_16_64 3
		.amdhsa_dx10_clamp 1
		.amdhsa_ieee_mode 1
		.amdhsa_fp16_overflow 0
		.amdhsa_workgroup_processor_mode 1
		.amdhsa_memory_ordered 1
		.amdhsa_forward_progress 0
		.amdhsa_shared_vgpr_count 0
		.amdhsa_exception_fp_ieee_invalid_op 0
		.amdhsa_exception_fp_denorm_src 0
		.amdhsa_exception_fp_ieee_div_zero 0
		.amdhsa_exception_fp_ieee_overflow 0
		.amdhsa_exception_fp_ieee_underflow 0
		.amdhsa_exception_fp_ieee_inexact 0
		.amdhsa_exception_int_div_zero 0
	.end_amdhsa_kernel
	.section	.text._ZN9rocsparseL19gebsrmvn_4xn_kernelILj128ELj5ELj16EdEEvi20rocsparse_direction_NS_24const_host_device_scalarIT2_EEPKiS6_PKS3_S8_S4_PS3_21rocsparse_index_base_b,"axG",@progbits,_ZN9rocsparseL19gebsrmvn_4xn_kernelILj128ELj5ELj16EdEEvi20rocsparse_direction_NS_24const_host_device_scalarIT2_EEPKiS6_PKS3_S8_S4_PS3_21rocsparse_index_base_b,comdat
.Lfunc_end54:
	.size	_ZN9rocsparseL19gebsrmvn_4xn_kernelILj128ELj5ELj16EdEEvi20rocsparse_direction_NS_24const_host_device_scalarIT2_EEPKiS6_PKS3_S8_S4_PS3_21rocsparse_index_base_b, .Lfunc_end54-_ZN9rocsparseL19gebsrmvn_4xn_kernelILj128ELj5ELj16EdEEvi20rocsparse_direction_NS_24const_host_device_scalarIT2_EEPKiS6_PKS3_S8_S4_PS3_21rocsparse_index_base_b
                                        ; -- End function
	.section	.AMDGPU.csdata,"",@progbits
; Kernel info:
; codeLenInByte = 3236
; NumSgprs: 18
; NumVgprs: 71
; ScratchSize: 0
; MemoryBound: 1
; FloatMode: 240
; IeeeMode: 1
; LDSByteSize: 0 bytes/workgroup (compile time only)
; SGPRBlocks: 2
; VGPRBlocks: 8
; NumSGPRsForWavesPerEU: 18
; NumVGPRsForWavesPerEU: 71
; Occupancy: 16
; WaveLimiterHint : 1
; COMPUTE_PGM_RSRC2:SCRATCH_EN: 0
; COMPUTE_PGM_RSRC2:USER_SGPR: 15
; COMPUTE_PGM_RSRC2:TRAP_HANDLER: 0
; COMPUTE_PGM_RSRC2:TGID_X_EN: 1
; COMPUTE_PGM_RSRC2:TGID_Y_EN: 0
; COMPUTE_PGM_RSRC2:TGID_Z_EN: 0
; COMPUTE_PGM_RSRC2:TIDIG_COMP_CNT: 0
	.section	.text._ZN9rocsparseL19gebsrmvn_4xn_kernelILj128ELj5ELj32EdEEvi20rocsparse_direction_NS_24const_host_device_scalarIT2_EEPKiS6_PKS3_S8_S4_PS3_21rocsparse_index_base_b,"axG",@progbits,_ZN9rocsparseL19gebsrmvn_4xn_kernelILj128ELj5ELj32EdEEvi20rocsparse_direction_NS_24const_host_device_scalarIT2_EEPKiS6_PKS3_S8_S4_PS3_21rocsparse_index_base_b,comdat
	.globl	_ZN9rocsparseL19gebsrmvn_4xn_kernelILj128ELj5ELj32EdEEvi20rocsparse_direction_NS_24const_host_device_scalarIT2_EEPKiS6_PKS3_S8_S4_PS3_21rocsparse_index_base_b ; -- Begin function _ZN9rocsparseL19gebsrmvn_4xn_kernelILj128ELj5ELj32EdEEvi20rocsparse_direction_NS_24const_host_device_scalarIT2_EEPKiS6_PKS3_S8_S4_PS3_21rocsparse_index_base_b
	.p2align	8
	.type	_ZN9rocsparseL19gebsrmvn_4xn_kernelILj128ELj5ELj32EdEEvi20rocsparse_direction_NS_24const_host_device_scalarIT2_EEPKiS6_PKS3_S8_S4_PS3_21rocsparse_index_base_b,@function
_ZN9rocsparseL19gebsrmvn_4xn_kernelILj128ELj5ELj32EdEEvi20rocsparse_direction_NS_24const_host_device_scalarIT2_EEPKiS6_PKS3_S8_S4_PS3_21rocsparse_index_base_b: ; @_ZN9rocsparseL19gebsrmvn_4xn_kernelILj128ELj5ELj32EdEEvi20rocsparse_direction_NS_24const_host_device_scalarIT2_EEPKiS6_PKS3_S8_S4_PS3_21rocsparse_index_base_b
; %bb.0:
	s_clause 0x2
	s_load_b64 s[12:13], s[0:1], 0x40
	s_load_b64 s[4:5], s[0:1], 0x8
	;; [unrolled: 1-line block ×3, first 2 shown]
	s_waitcnt lgkmcnt(0)
	s_bitcmp1_b32 s13, 0
	v_dual_mov_b32 v1, s4 :: v_dual_mov_b32 v2, s5
	s_cselect_b32 s6, -1, 0
	s_delay_alu instid0(SALU_CYCLE_1)
	s_and_b32 vcc_lo, exec_lo, s6
	s_xor_b32 s6, s6, -1
	s_cbranch_vccnz .LBB55_2
; %bb.1:
	v_dual_mov_b32 v1, s4 :: v_dual_mov_b32 v2, s5
	flat_load_b64 v[1:2], v[1:2]
.LBB55_2:
	v_dual_mov_b32 v4, s3 :: v_dual_mov_b32 v3, s2
	s_and_not1_b32 vcc_lo, exec_lo, s6
	s_cbranch_vccnz .LBB55_4
; %bb.3:
	v_dual_mov_b32 v4, s3 :: v_dual_mov_b32 v3, s2
	flat_load_b64 v[3:4], v[3:4]
.LBB55_4:
	s_waitcnt vmcnt(0) lgkmcnt(0)
	v_cmp_neq_f64_e32 vcc_lo, 0, v[1:2]
	v_cmp_neq_f64_e64 s2, 1.0, v[3:4]
	s_delay_alu instid0(VALU_DEP_1) | instskip(NEXT) | instid1(SALU_CYCLE_1)
	s_or_b32 s2, vcc_lo, s2
	s_and_saveexec_b32 s3, s2
	s_cbranch_execz .LBB55_23
; %bb.5:
	s_load_b64 s[2:3], s[0:1], 0x0
	v_lshrrev_b32_e32 v5, 5, v0
	s_delay_alu instid0(VALU_DEP_1) | instskip(SKIP_1) | instid1(VALU_DEP_1)
	v_lshl_or_b32 v5, s15, 2, v5
	s_waitcnt lgkmcnt(0)
	v_cmp_gt_i32_e32 vcc_lo, s2, v5
	s_and_b32 exec_lo, exec_lo, vcc_lo
	s_cbranch_execz .LBB55_23
; %bb.6:
	s_load_b256 s[4:11], s[0:1], 0x10
	v_ashrrev_i32_e32 v6, 31, v5
	v_and_b32_e32 v0, 31, v0
	s_cmp_lg_u32 s3, 0
	s_delay_alu instid0(VALU_DEP_2) | instskip(SKIP_1) | instid1(VALU_DEP_1)
	v_lshlrev_b64 v[6:7], 2, v[5:6]
	s_waitcnt lgkmcnt(0)
	v_add_co_u32 v6, vcc_lo, s4, v6
	s_delay_alu instid0(VALU_DEP_2) | instskip(SKIP_4) | instid1(VALU_DEP_2)
	v_add_co_ci_u32_e32 v7, vcc_lo, s5, v7, vcc_lo
	global_load_b64 v[6:7], v[6:7], off
	s_waitcnt vmcnt(0)
	v_subrev_nc_u32_e32 v6, s12, v6
	v_subrev_nc_u32_e32 v20, s12, v7
	v_add_nc_u32_e32 v14, v6, v0
	s_delay_alu instid0(VALU_DEP_1)
	v_cmp_lt_i32_e64 s2, v14, v20
	s_cbranch_scc0 .LBB55_12
; %bb.7:
	v_mov_b32_e32 v6, 0
	v_mov_b32_e32 v7, 0
	s_delay_alu instid0(VALU_DEP_1)
	v_dual_mov_b32 v9, v7 :: v_dual_mov_b32 v8, v6
	v_dual_mov_b32 v11, v7 :: v_dual_mov_b32 v10, v6
	;; [unrolled: 1-line block ×3, first 2 shown]
	s_and_saveexec_b32 s3, s2
	s_cbranch_execz .LBB55_11
; %bb.8:
	v_dual_mov_b32 v6, 0 :: v_dual_mov_b32 v17, 0
	v_dual_mov_b32 v7, 0 :: v_dual_mov_b32 v18, v14
	v_mad_u64_u32 v[15:16], null, v14, 20, 16
	s_mov_b32 s4, 0
	s_delay_alu instid0(VALU_DEP_2)
	v_dual_mov_b32 v9, v7 :: v_dual_mov_b32 v8, v6
	v_dual_mov_b32 v11, v7 :: v_dual_mov_b32 v10, v6
	;; [unrolled: 1-line block ×3, first 2 shown]
.LBB55_9:                               ; =>This Inner Loop Header: Depth=1
	v_ashrrev_i32_e32 v19, 31, v18
	v_add_nc_u32_e32 v16, -16, v15
	v_mov_b32_e32 v58, v17
	s_delay_alu instid0(VALU_DEP_3) | instskip(SKIP_1) | instid1(VALU_DEP_2)
	v_lshlrev_b64 v[21:22], 2, v[18:19]
	v_add_nc_u32_e32 v18, 32, v18
	v_add_co_u32 v21, vcc_lo, s6, v21
	s_delay_alu instid0(VALU_DEP_3) | instskip(SKIP_2) | instid1(VALU_DEP_1)
	v_add_co_ci_u32_e32 v22, vcc_lo, s7, v22, vcc_lo
	global_load_b32 v19, v[21:22], off
	v_lshlrev_b64 v[21:22], 3, v[16:17]
	v_add_co_u32 v25, vcc_lo, s8, v21
	s_delay_alu instid0(VALU_DEP_2) | instskip(SKIP_3) | instid1(VALU_DEP_1)
	v_add_co_ci_u32_e32 v26, vcc_lo, s9, v22, vcc_lo
	global_load_b128 v[21:24], v[25:26], off offset:16
	s_waitcnt vmcnt(1)
	v_subrev_nc_u32_e32 v16, s12, v19
	v_lshl_add_u32 v57, v16, 2, v16
	v_add_nc_u32_e32 v16, -12, v15
	s_delay_alu instid0(VALU_DEP_2) | instskip(NEXT) | instid1(VALU_DEP_1)
	v_lshlrev_b64 v[27:28], 3, v[57:58]
	v_add_co_u32 v29, vcc_lo, s10, v27
	s_delay_alu instid0(VALU_DEP_2) | instskip(SKIP_4) | instid1(VALU_DEP_1)
	v_add_co_ci_u32_e32 v30, vcc_lo, s11, v28, vcc_lo
	global_load_b128 v[25:28], v[25:26], off
	global_load_b64 v[61:62], v[29:30], off
	v_lshlrev_b64 v[29:30], 3, v[16:17]
	v_add_nc_u32_e32 v16, 1, v57
	v_lshlrev_b64 v[35:36], 3, v[16:17]
	s_delay_alu instid0(VALU_DEP_3) | instskip(NEXT) | instid1(VALU_DEP_4)
	v_add_co_u32 v33, vcc_lo, s8, v29
	v_add_co_ci_u32_e32 v34, vcc_lo, s9, v30, vcc_lo
	v_add_nc_u32_e32 v16, -8, v15
	s_delay_alu instid0(VALU_DEP_4)
	v_add_co_u32 v37, vcc_lo, s10, v35
	v_add_co_ci_u32_e32 v38, vcc_lo, s11, v36, vcc_lo
	s_clause 0x1
	global_load_b128 v[29:32], v[33:34], off offset:16
	global_load_b128 v[33:36], v[33:34], off
	global_load_b64 v[63:64], v[37:38], off
	v_lshlrev_b64 v[37:38], 3, v[16:17]
	v_add_nc_u32_e32 v16, 2, v57
	s_delay_alu instid0(VALU_DEP_1) | instskip(NEXT) | instid1(VALU_DEP_3)
	v_lshlrev_b64 v[39:40], 3, v[16:17]
	v_add_co_u32 v41, vcc_lo, s8, v37
	s_delay_alu instid0(VALU_DEP_4) | instskip(SKIP_1) | instid1(VALU_DEP_4)
	v_add_co_ci_u32_e32 v42, vcc_lo, s9, v38, vcc_lo
	v_add_nc_u32_e32 v16, -4, v15
	v_add_co_u32 v45, vcc_lo, s10, v39
	v_add_co_ci_u32_e32 v46, vcc_lo, s11, v40, vcc_lo
	s_clause 0x1
	global_load_b128 v[37:40], v[41:42], off offset:16
	global_load_b128 v[41:44], v[41:42], off
	global_load_b64 v[65:66], v[45:46], off
	v_lshlrev_b64 v[45:46], 3, v[16:17]
	v_add_nc_u32_e32 v16, 3, v57
	s_delay_alu instid0(VALU_DEP_1) | instskip(NEXT) | instid1(VALU_DEP_3)
	v_lshlrev_b64 v[47:48], 3, v[16:17]
	v_add_co_u32 v49, vcc_lo, s8, v45
	s_delay_alu instid0(VALU_DEP_4) | instskip(SKIP_1) | instid1(VALU_DEP_4)
	v_add_co_ci_u32_e32 v50, vcc_lo, s9, v46, vcc_lo
	v_mov_b32_e32 v16, v17
	v_add_co_u32 v53, vcc_lo, s10, v47
	v_add_co_ci_u32_e32 v54, vcc_lo, s11, v48, vcc_lo
	s_clause 0x1
	global_load_b128 v[45:48], v[49:50], off offset:16
	global_load_b128 v[49:52], v[49:50], off
	global_load_b64 v[67:68], v[53:54], off
	v_lshlrev_b64 v[53:54], 3, v[15:16]
	v_add_nc_u32_e32 v15, 0x280, v15
	v_add_nc_u32_e32 v16, 4, v57
	s_delay_alu instid0(VALU_DEP_3) | instskip(NEXT) | instid1(VALU_DEP_2)
	v_add_co_u32 v58, vcc_lo, s8, v53
	v_lshlrev_b64 v[69:70], 3, v[16:17]
	v_add_co_ci_u32_e32 v59, vcc_lo, s9, v54, vcc_lo
	s_delay_alu instid0(VALU_DEP_2) | instskip(NEXT) | instid1(VALU_DEP_3)
	v_add_co_u32 v69, vcc_lo, s10, v69
	v_add_co_ci_u32_e32 v70, vcc_lo, s11, v70, vcc_lo
	s_clause 0x1
	global_load_b128 v[53:56], v[58:59], off offset:16
	global_load_b128 v[57:60], v[58:59], off
	global_load_b64 v[69:70], v[69:70], off
	v_cmp_ge_i32_e32 vcc_lo, v18, v20
	s_or_b32 s4, vcc_lo, s4
	s_waitcnt vmcnt(12)
	v_fma_f64 v[6:7], v[25:26], v[61:62], v[6:7]
	v_fma_f64 v[12:13], v[27:28], v[61:62], v[12:13]
	;; [unrolled: 1-line block ×4, first 2 shown]
	s_waitcnt vmcnt(9)
	s_delay_alu instid0(VALU_DEP_4) | instskip(NEXT) | instid1(VALU_DEP_4)
	v_fma_f64 v[6:7], v[33:34], v[63:64], v[6:7]
	v_fma_f64 v[12:13], v[35:36], v[63:64], v[12:13]
	s_delay_alu instid0(VALU_DEP_4) | instskip(NEXT) | instid1(VALU_DEP_4)
	v_fma_f64 v[10:11], v[29:30], v[63:64], v[10:11]
	v_fma_f64 v[8:9], v[31:32], v[63:64], v[8:9]
	s_waitcnt vmcnt(6)
	s_delay_alu instid0(VALU_DEP_4) | instskip(NEXT) | instid1(VALU_DEP_4)
	v_fma_f64 v[6:7], v[41:42], v[65:66], v[6:7]
	v_fma_f64 v[12:13], v[43:44], v[65:66], v[12:13]
	s_delay_alu instid0(VALU_DEP_4) | instskip(NEXT) | instid1(VALU_DEP_4)
	v_fma_f64 v[10:11], v[37:38], v[65:66], v[10:11]
	v_fma_f64 v[8:9], v[39:40], v[65:66], v[8:9]
	;; [unrolled: 7-line block ×4, first 2 shown]
	s_and_not1_b32 exec_lo, exec_lo, s4
	s_cbranch_execnz .LBB55_9
; %bb.10:
	s_or_b32 exec_lo, exec_lo, s4
.LBB55_11:
	s_delay_alu instid0(SALU_CYCLE_1)
	s_or_b32 exec_lo, exec_lo, s3
	s_cbranch_execz .LBB55_13
	s_branch .LBB55_18
.LBB55_12:
                                        ; implicit-def: $vgpr6_vgpr7
                                        ; implicit-def: $vgpr8_vgpr9
                                        ; implicit-def: $vgpr10_vgpr11
                                        ; implicit-def: $vgpr12_vgpr13
.LBB55_13:
	v_mov_b32_e32 v6, 0
	v_mov_b32_e32 v7, 0
	s_delay_alu instid0(VALU_DEP_1)
	v_dual_mov_b32 v9, v7 :: v_dual_mov_b32 v8, v6
	v_dual_mov_b32 v11, v7 :: v_dual_mov_b32 v10, v6
	;; [unrolled: 1-line block ×3, first 2 shown]
	s_and_saveexec_b32 s3, s2
	s_cbranch_execz .LBB55_17
; %bb.14:
	v_dual_mov_b32 v6, 0 :: v_dual_mov_b32 v19, 0
	v_mov_b32_e32 v7, 0
	v_mad_u64_u32 v[16:17], null, v14, 20, 19
	s_mov_b32 s4, 0
	s_delay_alu instid0(VALU_DEP_2)
	v_dual_mov_b32 v9, v7 :: v_dual_mov_b32 v8, v6
	v_dual_mov_b32 v11, v7 :: v_dual_mov_b32 v10, v6
	;; [unrolled: 1-line block ×3, first 2 shown]
.LBB55_15:                              ; =>This Inner Loop Header: Depth=1
	v_ashrrev_i32_e32 v15, 31, v14
	v_dual_mov_b32 v30, v19 :: v_dual_add_nc_u32 v21, -14, v16
	v_dual_mov_b32 v22, v19 :: v_dual_add_nc_u32 v23, -9, v16
	s_delay_alu instid0(VALU_DEP_3) | instskip(SKIP_2) | instid1(VALU_DEP_4)
	v_lshlrev_b64 v[17:18], 2, v[14:15]
	v_dual_mov_b32 v24, v19 :: v_dual_add_nc_u32 v25, -4, v16
	v_mov_b32_e32 v26, v19
	v_lshlrev_b64 v[21:22], 3, v[21:22]
	v_add_nc_u32_e32 v14, 32, v14
	v_add_co_u32 v17, vcc_lo, s6, v17
	v_add_co_ci_u32_e32 v18, vcc_lo, s7, v18, vcc_lo
	v_lshlrev_b64 v[23:24], 3, v[23:24]
	v_lshlrev_b64 v[25:26], 3, v[25:26]
	global_load_b32 v15, v[17:18], off
	v_subrev_nc_u32_e32 v18, 19, v16
	s_delay_alu instid0(VALU_DEP_1) | instskip(NEXT) | instid1(VALU_DEP_1)
	v_lshlrev_b64 v[17:18], 3, v[18:19]
	v_add_co_u32 v17, vcc_lo, s8, v17
	s_delay_alu instid0(VALU_DEP_2)
	v_add_co_ci_u32_e32 v18, vcc_lo, s9, v18, vcc_lo
	v_add_co_u32 v31, vcc_lo, s8, v21
	v_add_co_ci_u32_e32 v32, vcc_lo, s9, v22, vcc_lo
	v_add_co_u32 v33, vcc_lo, s8, v23
	;; [unrolled: 2-line block ×3, first 2 shown]
	v_add_co_ci_u32_e32 v36, vcc_lo, s9, v26, vcc_lo
	s_clause 0x3
	global_load_b128 v[21:24], v[17:18], off offset:16
	global_load_b128 v[25:28], v[17:18], off
	global_load_b64 v[31:32], v[31:32], off
	global_load_b64 v[33:34], v[33:34], off
	s_waitcnt vmcnt(4)
	v_subrev_nc_u32_e32 v15, s12, v15
	s_delay_alu instid0(VALU_DEP_1) | instskip(NEXT) | instid1(VALU_DEP_1)
	v_lshl_add_u32 v29, v15, 2, v15
	v_lshlrev_b64 v[17:18], 3, v[29:30]
	s_delay_alu instid0(VALU_DEP_1) | instskip(NEXT) | instid1(VALU_DEP_2)
	v_add_co_u32 v17, vcc_lo, s10, v17
	v_add_co_ci_u32_e32 v18, vcc_lo, s11, v18, vcc_lo
	global_load_b64 v[35:36], v[35:36], off
	global_load_b64 v[37:38], v[17:18], off
	v_dual_mov_b32 v17, v19 :: v_dual_add_nc_u32 v18, 1, v29
	s_delay_alu instid0(VALU_DEP_1) | instskip(NEXT) | instid1(VALU_DEP_2)
	v_lshlrev_b64 v[47:48], 3, v[16:17]
	v_lshlrev_b64 v[39:40], 3, v[18:19]
	v_add_nc_u32_e32 v18, -13, v16
	s_delay_alu instid0(VALU_DEP_1) | instskip(SKIP_1) | instid1(VALU_DEP_4)
	v_lshlrev_b64 v[41:42], 3, v[18:19]
	v_add_nc_u32_e32 v18, -8, v16
	v_add_co_u32 v39, vcc_lo, s10, v39
	v_add_co_ci_u32_e32 v40, vcc_lo, s11, v40, vcc_lo
	s_delay_alu instid0(VALU_DEP_3) | instskip(SKIP_3) | instid1(VALU_DEP_3)
	v_lshlrev_b64 v[43:44], 3, v[18:19]
	v_add_nc_u32_e32 v18, -3, v16
	v_add_co_u32 v41, vcc_lo, s8, v41
	v_add_co_ci_u32_e32 v42, vcc_lo, s9, v42, vcc_lo
	v_lshlrev_b64 v[45:46], 3, v[18:19]
	v_add_co_u32 v43, vcc_lo, s8, v43
	v_add_co_ci_u32_e32 v44, vcc_lo, s9, v44, vcc_lo
	v_add_nc_u32_e32 v18, 2, v29
	s_delay_alu instid0(VALU_DEP_4)
	v_add_co_u32 v45, vcc_lo, s8, v45
	v_add_co_ci_u32_e32 v46, vcc_lo, s9, v46, vcc_lo
	global_load_b64 v[39:40], v[39:40], off
	s_clause 0x2
	global_load_b64 v[41:42], v[41:42], off
	global_load_b64 v[43:44], v[43:44], off
	global_load_b64 v[45:46], v[45:46], off
	v_lshlrev_b64 v[49:50], 3, v[18:19]
	v_add_nc_u32_e32 v18, -12, v16
	s_delay_alu instid0(VALU_DEP_1) | instskip(SKIP_1) | instid1(VALU_DEP_4)
	v_lshlrev_b64 v[51:52], 3, v[18:19]
	v_add_nc_u32_e32 v18, -7, v16
	v_add_co_u32 v49, vcc_lo, s10, v49
	v_add_co_ci_u32_e32 v50, vcc_lo, s11, v50, vcc_lo
	s_delay_alu instid0(VALU_DEP_3) | instskip(SKIP_3) | instid1(VALU_DEP_3)
	v_lshlrev_b64 v[53:54], 3, v[18:19]
	v_add_nc_u32_e32 v18, -2, v16
	v_add_co_u32 v51, vcc_lo, s8, v51
	v_add_co_ci_u32_e32 v52, vcc_lo, s9, v52, vcc_lo
	v_lshlrev_b64 v[17:18], 3, v[18:19]
	v_add_co_u32 v53, vcc_lo, s8, v53
	v_add_co_ci_u32_e32 v54, vcc_lo, s9, v54, vcc_lo
	s_delay_alu instid0(VALU_DEP_3) | instskip(NEXT) | instid1(VALU_DEP_4)
	v_add_co_u32 v17, vcc_lo, s8, v17
	v_add_co_ci_u32_e32 v18, vcc_lo, s9, v18, vcc_lo
	global_load_b64 v[49:50], v[49:50], off
	s_clause 0x2
	global_load_b64 v[51:52], v[51:52], off
	global_load_b64 v[53:54], v[53:54], off
	;; [unrolled: 1-line block ×3, first 2 shown]
	v_add_nc_u32_e32 v18, 3, v29
	v_add_co_u32 v47, vcc_lo, s8, v47
	v_add_co_ci_u32_e32 v48, vcc_lo, s9, v48, vcc_lo
	s_delay_alu instid0(VALU_DEP_3) | instskip(SKIP_1) | instid1(VALU_DEP_1)
	v_lshlrev_b64 v[57:58], 3, v[18:19]
	v_add_nc_u32_e32 v18, -11, v16
	v_lshlrev_b64 v[59:60], 3, v[18:19]
	v_add_nc_u32_e32 v18, -6, v16
	s_delay_alu instid0(VALU_DEP_4) | instskip(NEXT) | instid1(VALU_DEP_1)
	v_add_co_u32 v57, s2, s10, v57
	v_add_co_ci_u32_e64 v58, s2, s11, v58, s2
	s_delay_alu instid0(VALU_DEP_3) | instskip(SKIP_2) | instid1(VALU_DEP_1)
	v_lshlrev_b64 v[61:62], 3, v[18:19]
	v_add_nc_u32_e32 v18, -1, v16
	v_add_co_u32 v59, s2, s8, v59
	v_add_co_ci_u32_e64 v60, s2, s9, v60, s2
	s_delay_alu instid0(VALU_DEP_3) | instskip(SKIP_1) | instid1(VALU_DEP_1)
	v_lshlrev_b64 v[17:18], 3, v[18:19]
	v_add_co_u32 v61, s2, s8, v61
	v_add_co_ci_u32_e64 v62, s2, s9, v62, s2
	s_delay_alu instid0(VALU_DEP_3) | instskip(NEXT) | instid1(VALU_DEP_1)
	v_add_co_u32 v17, s2, s8, v17
	v_add_co_ci_u32_e64 v18, s2, s9, v18, s2
	global_load_b64 v[57:58], v[57:58], off
	s_clause 0x2
	global_load_b64 v[59:60], v[59:60], off
	global_load_b64 v[61:62], v[61:62], off
	;; [unrolled: 1-line block ×3, first 2 shown]
	v_add_nc_u32_e32 v18, -15, v16
	s_delay_alu instid0(VALU_DEP_1) | instskip(SKIP_1) | instid1(VALU_DEP_1)
	v_lshlrev_b64 v[65:66], 3, v[18:19]
	v_add_nc_u32_e32 v18, 4, v29
	v_lshlrev_b64 v[29:30], 3, v[18:19]
	v_add_nc_u32_e32 v18, -10, v16
	s_delay_alu instid0(VALU_DEP_4) | instskip(SKIP_1) | instid1(VALU_DEP_3)
	v_add_co_u32 v65, vcc_lo, s8, v65
	v_add_co_ci_u32_e32 v66, vcc_lo, s9, v66, vcc_lo
	v_lshlrev_b64 v[67:68], 3, v[18:19]
	v_add_nc_u32_e32 v18, -5, v16
	v_add_co_u32 v29, vcc_lo, s10, v29
	v_add_co_ci_u32_e32 v30, vcc_lo, s11, v30, vcc_lo
	s_delay_alu instid0(VALU_DEP_3) | instskip(SKIP_3) | instid1(VALU_DEP_4)
	v_lshlrev_b64 v[17:18], 3, v[18:19]
	v_add_co_u32 v67, vcc_lo, s8, v67
	v_add_co_ci_u32_e32 v68, vcc_lo, s9, v68, vcc_lo
	v_add_nc_u32_e32 v16, 0x280, v16
	v_add_co_u32 v17, vcc_lo, s8, v17
	v_add_co_ci_u32_e32 v18, vcc_lo, s9, v18, vcc_lo
	global_load_b64 v[65:66], v[65:66], off
	global_load_b64 v[29:30], v[29:30], off
	s_clause 0x2
	global_load_b64 v[67:68], v[67:68], off
	global_load_b64 v[17:18], v[17:18], off
	global_load_b64 v[47:48], v[47:48], off
	v_cmp_ge_i32_e32 vcc_lo, v14, v20
	s_or_b32 s4, vcc_lo, s4
	s_waitcnt vmcnt(17)
	v_fma_f64 v[6:7], v[25:26], v[37:38], v[6:7]
	v_fma_f64 v[12:13], v[31:32], v[37:38], v[12:13]
	;; [unrolled: 1-line block ×4, first 2 shown]
	s_waitcnt vmcnt(16)
	s_delay_alu instid0(VALU_DEP_4) | instskip(SKIP_1) | instid1(VALU_DEP_4)
	v_fma_f64 v[6:7], v[27:28], v[39:40], v[6:7]
	s_waitcnt vmcnt(15)
	v_fma_f64 v[12:13], v[41:42], v[39:40], v[12:13]
	s_waitcnt vmcnt(14)
	s_delay_alu instid0(VALU_DEP_4) | instskip(SKIP_1) | instid1(VALU_DEP_4)
	v_fma_f64 v[10:11], v[43:44], v[39:40], v[10:11]
	s_waitcnt vmcnt(13)
	v_fma_f64 v[8:9], v[45:46], v[39:40], v[8:9]
	;; [unrolled: 5-line block ×8, first 2 shown]
	s_and_not1_b32 exec_lo, exec_lo, s4
	s_cbranch_execnz .LBB55_15
; %bb.16:
	s_or_b32 exec_lo, exec_lo, s4
.LBB55_17:
	s_delay_alu instid0(SALU_CYCLE_1)
	s_or_b32 exec_lo, exec_lo, s3
.LBB55_18:
	v_mbcnt_lo_u32_b32 v24, -1, 0
	s_delay_alu instid0(VALU_DEP_1) | instskip(NEXT) | instid1(VALU_DEP_1)
	v_xor_b32_e32 v14, 16, v24
	v_cmp_gt_i32_e32 vcc_lo, 32, v14
	v_cndmask_b32_e32 v14, v24, v14, vcc_lo
	s_delay_alu instid0(VALU_DEP_1)
	v_lshlrev_b32_e32 v21, 2, v14
	ds_bpermute_b32 v14, v21, v6
	ds_bpermute_b32 v15, v21, v7
	;; [unrolled: 1-line block ×8, first 2 shown]
	s_waitcnt lgkmcnt(6)
	v_add_f64 v[6:7], v[6:7], v[14:15]
	v_xor_b32_e32 v14, 8, v24
	s_waitcnt lgkmcnt(4)
	v_add_f64 v[12:13], v[12:13], v[16:17]
	s_waitcnt lgkmcnt(2)
	v_add_f64 v[10:11], v[10:11], v[18:19]
	;; [unrolled: 2-line block ×3, first 2 shown]
	v_cmp_gt_i32_e32 vcc_lo, 32, v14
	v_cndmask_b32_e32 v14, v24, v14, vcc_lo
	s_delay_alu instid0(VALU_DEP_1)
	v_lshlrev_b32_e32 v21, 2, v14
	ds_bpermute_b32 v14, v21, v6
	ds_bpermute_b32 v15, v21, v7
	;; [unrolled: 1-line block ×8, first 2 shown]
	s_waitcnt lgkmcnt(6)
	v_add_f64 v[6:7], v[6:7], v[14:15]
	v_xor_b32_e32 v14, 4, v24
	s_waitcnt lgkmcnt(4)
	v_add_f64 v[12:13], v[12:13], v[16:17]
	s_waitcnt lgkmcnt(2)
	v_add_f64 v[10:11], v[10:11], v[18:19]
	;; [unrolled: 2-line block ×3, first 2 shown]
	v_cmp_gt_i32_e32 vcc_lo, 32, v14
	v_cndmask_b32_e32 v14, v24, v14, vcc_lo
	s_delay_alu instid0(VALU_DEP_1)
	v_lshlrev_b32_e32 v21, 2, v14
	ds_bpermute_b32 v14, v21, v6
	ds_bpermute_b32 v15, v21, v7
	;; [unrolled: 1-line block ×8, first 2 shown]
	s_waitcnt lgkmcnt(6)
	v_add_f64 v[6:7], v[6:7], v[14:15]
	s_waitcnt lgkmcnt(4)
	v_add_f64 v[12:13], v[12:13], v[16:17]
	;; [unrolled: 2-line block ×4, first 2 shown]
	v_xor_b32_e32 v8, 2, v24
	s_delay_alu instid0(VALU_DEP_1) | instskip(SKIP_1) | instid1(VALU_DEP_1)
	v_cmp_gt_i32_e32 vcc_lo, 32, v8
	v_cndmask_b32_e32 v8, v24, v8, vcc_lo
	v_lshlrev_b32_e32 v10, 2, v8
	ds_bpermute_b32 v8, v10, v6
	ds_bpermute_b32 v9, v10, v7
	;; [unrolled: 1-line block ×8, first 2 shown]
	s_waitcnt lgkmcnt(6)
	v_add_f64 v[10:11], v[6:7], v[8:9]
	s_waitcnt lgkmcnt(4)
	v_add_f64 v[8:9], v[12:13], v[18:19]
	v_xor_b32_e32 v12, 1, v24
	s_waitcnt lgkmcnt(2)
	v_add_f64 v[6:7], v[14:15], v[20:21]
	s_waitcnt lgkmcnt(0)
	v_add_f64 v[14:15], v[16:17], v[22:23]
	v_cmp_gt_i32_e32 vcc_lo, 32, v12
	v_cndmask_b32_e32 v12, v24, v12, vcc_lo
	v_cmp_eq_u32_e32 vcc_lo, 31, v0
	s_delay_alu instid0(VALU_DEP_2)
	v_lshlrev_b32_e32 v17, 2, v12
	ds_bpermute_b32 v12, v17, v10
	ds_bpermute_b32 v13, v17, v11
	ds_bpermute_b32 v20, v17, v8
	ds_bpermute_b32 v21, v17, v9
	ds_bpermute_b32 v18, v17, v6
	ds_bpermute_b32 v19, v17, v7
	ds_bpermute_b32 v16, v17, v14
	ds_bpermute_b32 v17, v17, v15
	s_and_b32 exec_lo, exec_lo, vcc_lo
	s_cbranch_execz .LBB55_23
; %bb.19:
	s_waitcnt lgkmcnt(6)
	v_add_f64 v[12:13], v[10:11], v[12:13]
	s_waitcnt lgkmcnt(4)
	v_add_f64 v[10:11], v[8:9], v[20:21]
	;; [unrolled: 2-line block ×4, first 2 shown]
	s_load_b64 s[0:1], s[0:1], 0x38
	s_mov_b32 s2, exec_lo
	v_cmpx_eq_f64_e32 0, v[3:4]
	s_xor_b32 s2, exec_lo, s2
	s_cbranch_execz .LBB55_21
; %bb.20:
	v_mul_f64 v[12:13], v[1:2], v[12:13]
	v_mul_f64 v[14:15], v[1:2], v[10:11]
	;; [unrolled: 1-line block ×4, first 2 shown]
	v_lshlrev_b32_e32 v0, 2, v5
                                        ; implicit-def: $vgpr5
                                        ; implicit-def: $vgpr3_vgpr4
                                        ; implicit-def: $vgpr6_vgpr7
	s_delay_alu instid0(VALU_DEP_1) | instskip(NEXT) | instid1(VALU_DEP_1)
	v_ashrrev_i32_e32 v1, 31, v0
	v_lshlrev_b64 v[0:1], 3, v[0:1]
	s_waitcnt lgkmcnt(0)
	s_delay_alu instid0(VALU_DEP_1) | instskip(NEXT) | instid1(VALU_DEP_2)
	v_add_co_u32 v0, vcc_lo, s0, v0
	v_add_co_ci_u32_e32 v1, vcc_lo, s1, v1, vcc_lo
	s_clause 0x1
	global_store_b128 v[0:1], v[12:15], off
	global_store_b128 v[0:1], v[8:11], off offset:16
                                        ; implicit-def: $vgpr1_vgpr2
                                        ; implicit-def: $vgpr12_vgpr13
                                        ; implicit-def: $vgpr10_vgpr11
                                        ; implicit-def: $vgpr8_vgpr9
.LBB55_21:
	s_and_not1_saveexec_b32 s2, s2
	s_cbranch_execz .LBB55_23
; %bb.22:
	v_lshlrev_b32_e32 v14, 2, v5
	v_mul_f64 v[12:13], v[1:2], v[12:13]
	v_mul_f64 v[10:11], v[1:2], v[10:11]
	;; [unrolled: 1-line block ×4, first 2 shown]
	v_ashrrev_i32_e32 v15, 31, v14
	s_delay_alu instid0(VALU_DEP_1) | instskip(SKIP_1) | instid1(VALU_DEP_1)
	v_lshlrev_b64 v[14:15], 3, v[14:15]
	s_waitcnt lgkmcnt(0)
	v_add_co_u32 v22, vcc_lo, s0, v14
	s_delay_alu instid0(VALU_DEP_2)
	v_add_co_ci_u32_e32 v23, vcc_lo, s1, v15, vcc_lo
	s_clause 0x1
	global_load_b128 v[14:17], v[22:23], off
	global_load_b128 v[18:21], v[22:23], off offset:16
	s_waitcnt vmcnt(1)
	v_fma_f64 v[5:6], v[3:4], v[14:15], v[12:13]
	v_fma_f64 v[7:8], v[3:4], v[16:17], v[10:11]
	s_waitcnt vmcnt(0)
	v_fma_f64 v[0:1], v[3:4], v[18:19], v[24:25]
	v_fma_f64 v[2:3], v[3:4], v[20:21], v[26:27]
	s_clause 0x1
	global_store_b128 v[22:23], v[5:8], off
	global_store_b128 v[22:23], v[0:3], off offset:16
.LBB55_23:
	s_nop 0
	s_sendmsg sendmsg(MSG_DEALLOC_VGPRS)
	s_endpgm
	.section	.rodata,"a",@progbits
	.p2align	6, 0x0
	.amdhsa_kernel _ZN9rocsparseL19gebsrmvn_4xn_kernelILj128ELj5ELj32EdEEvi20rocsparse_direction_NS_24const_host_device_scalarIT2_EEPKiS6_PKS3_S8_S4_PS3_21rocsparse_index_base_b
		.amdhsa_group_segment_fixed_size 0
		.amdhsa_private_segment_fixed_size 0
		.amdhsa_kernarg_size 72
		.amdhsa_user_sgpr_count 15
		.amdhsa_user_sgpr_dispatch_ptr 0
		.amdhsa_user_sgpr_queue_ptr 0
		.amdhsa_user_sgpr_kernarg_segment_ptr 1
		.amdhsa_user_sgpr_dispatch_id 0
		.amdhsa_user_sgpr_private_segment_size 0
		.amdhsa_wavefront_size32 1
		.amdhsa_uses_dynamic_stack 0
		.amdhsa_enable_private_segment 0
		.amdhsa_system_sgpr_workgroup_id_x 1
		.amdhsa_system_sgpr_workgroup_id_y 0
		.amdhsa_system_sgpr_workgroup_id_z 0
		.amdhsa_system_sgpr_workgroup_info 0
		.amdhsa_system_vgpr_workitem_id 0
		.amdhsa_next_free_vgpr 71
		.amdhsa_next_free_sgpr 16
		.amdhsa_reserve_vcc 1
		.amdhsa_float_round_mode_32 0
		.amdhsa_float_round_mode_16_64 0
		.amdhsa_float_denorm_mode_32 3
		.amdhsa_float_denorm_mode_16_64 3
		.amdhsa_dx10_clamp 1
		.amdhsa_ieee_mode 1
		.amdhsa_fp16_overflow 0
		.amdhsa_workgroup_processor_mode 1
		.amdhsa_memory_ordered 1
		.amdhsa_forward_progress 0
		.amdhsa_shared_vgpr_count 0
		.amdhsa_exception_fp_ieee_invalid_op 0
		.amdhsa_exception_fp_denorm_src 0
		.amdhsa_exception_fp_ieee_div_zero 0
		.amdhsa_exception_fp_ieee_overflow 0
		.amdhsa_exception_fp_ieee_underflow 0
		.amdhsa_exception_fp_ieee_inexact 0
		.amdhsa_exception_int_div_zero 0
	.end_amdhsa_kernel
	.section	.text._ZN9rocsparseL19gebsrmvn_4xn_kernelILj128ELj5ELj32EdEEvi20rocsparse_direction_NS_24const_host_device_scalarIT2_EEPKiS6_PKS3_S8_S4_PS3_21rocsparse_index_base_b,"axG",@progbits,_ZN9rocsparseL19gebsrmvn_4xn_kernelILj128ELj5ELj32EdEEvi20rocsparse_direction_NS_24const_host_device_scalarIT2_EEPKiS6_PKS3_S8_S4_PS3_21rocsparse_index_base_b,comdat
.Lfunc_end55:
	.size	_ZN9rocsparseL19gebsrmvn_4xn_kernelILj128ELj5ELj32EdEEvi20rocsparse_direction_NS_24const_host_device_scalarIT2_EEPKiS6_PKS3_S8_S4_PS3_21rocsparse_index_base_b, .Lfunc_end55-_ZN9rocsparseL19gebsrmvn_4xn_kernelILj128ELj5ELj32EdEEvi20rocsparse_direction_NS_24const_host_device_scalarIT2_EEPKiS6_PKS3_S8_S4_PS3_21rocsparse_index_base_b
                                        ; -- End function
	.section	.AMDGPU.csdata,"",@progbits
; Kernel info:
; codeLenInByte = 3368
; NumSgprs: 18
; NumVgprs: 71
; ScratchSize: 0
; MemoryBound: 1
; FloatMode: 240
; IeeeMode: 1
; LDSByteSize: 0 bytes/workgroup (compile time only)
; SGPRBlocks: 2
; VGPRBlocks: 8
; NumSGPRsForWavesPerEU: 18
; NumVGPRsForWavesPerEU: 71
; Occupancy: 16
; WaveLimiterHint : 1
; COMPUTE_PGM_RSRC2:SCRATCH_EN: 0
; COMPUTE_PGM_RSRC2:USER_SGPR: 15
; COMPUTE_PGM_RSRC2:TRAP_HANDLER: 0
; COMPUTE_PGM_RSRC2:TGID_X_EN: 1
; COMPUTE_PGM_RSRC2:TGID_Y_EN: 0
; COMPUTE_PGM_RSRC2:TGID_Z_EN: 0
; COMPUTE_PGM_RSRC2:TIDIG_COMP_CNT: 0
	.section	.text._ZN9rocsparseL19gebsrmvn_4xn_kernelILj128ELj5ELj64EdEEvi20rocsparse_direction_NS_24const_host_device_scalarIT2_EEPKiS6_PKS3_S8_S4_PS3_21rocsparse_index_base_b,"axG",@progbits,_ZN9rocsparseL19gebsrmvn_4xn_kernelILj128ELj5ELj64EdEEvi20rocsparse_direction_NS_24const_host_device_scalarIT2_EEPKiS6_PKS3_S8_S4_PS3_21rocsparse_index_base_b,comdat
	.globl	_ZN9rocsparseL19gebsrmvn_4xn_kernelILj128ELj5ELj64EdEEvi20rocsparse_direction_NS_24const_host_device_scalarIT2_EEPKiS6_PKS3_S8_S4_PS3_21rocsparse_index_base_b ; -- Begin function _ZN9rocsparseL19gebsrmvn_4xn_kernelILj128ELj5ELj64EdEEvi20rocsparse_direction_NS_24const_host_device_scalarIT2_EEPKiS6_PKS3_S8_S4_PS3_21rocsparse_index_base_b
	.p2align	8
	.type	_ZN9rocsparseL19gebsrmvn_4xn_kernelILj128ELj5ELj64EdEEvi20rocsparse_direction_NS_24const_host_device_scalarIT2_EEPKiS6_PKS3_S8_S4_PS3_21rocsparse_index_base_b,@function
_ZN9rocsparseL19gebsrmvn_4xn_kernelILj128ELj5ELj64EdEEvi20rocsparse_direction_NS_24const_host_device_scalarIT2_EEPKiS6_PKS3_S8_S4_PS3_21rocsparse_index_base_b: ; @_ZN9rocsparseL19gebsrmvn_4xn_kernelILj128ELj5ELj64EdEEvi20rocsparse_direction_NS_24const_host_device_scalarIT2_EEPKiS6_PKS3_S8_S4_PS3_21rocsparse_index_base_b
; %bb.0:
	s_clause 0x2
	s_load_b64 s[12:13], s[0:1], 0x40
	s_load_b64 s[4:5], s[0:1], 0x8
	;; [unrolled: 1-line block ×3, first 2 shown]
	s_waitcnt lgkmcnt(0)
	s_bitcmp1_b32 s13, 0
	v_dual_mov_b32 v1, s4 :: v_dual_mov_b32 v2, s5
	s_cselect_b32 s6, -1, 0
	s_delay_alu instid0(SALU_CYCLE_1)
	s_and_b32 vcc_lo, exec_lo, s6
	s_xor_b32 s6, s6, -1
	s_cbranch_vccnz .LBB56_2
; %bb.1:
	v_dual_mov_b32 v1, s4 :: v_dual_mov_b32 v2, s5
	flat_load_b64 v[1:2], v[1:2]
.LBB56_2:
	v_dual_mov_b32 v4, s3 :: v_dual_mov_b32 v3, s2
	s_and_not1_b32 vcc_lo, exec_lo, s6
	s_cbranch_vccnz .LBB56_4
; %bb.3:
	v_dual_mov_b32 v4, s3 :: v_dual_mov_b32 v3, s2
	flat_load_b64 v[3:4], v[3:4]
.LBB56_4:
	s_waitcnt vmcnt(0) lgkmcnt(0)
	v_cmp_neq_f64_e32 vcc_lo, 0, v[1:2]
	v_cmp_neq_f64_e64 s2, 1.0, v[3:4]
	s_delay_alu instid0(VALU_DEP_1) | instskip(NEXT) | instid1(SALU_CYCLE_1)
	s_or_b32 s2, vcc_lo, s2
	s_and_saveexec_b32 s3, s2
	s_cbranch_execz .LBB56_23
; %bb.5:
	s_load_b64 s[2:3], s[0:1], 0x0
	v_lshrrev_b32_e32 v5, 6, v0
	s_delay_alu instid0(VALU_DEP_1) | instskip(SKIP_1) | instid1(VALU_DEP_1)
	v_lshl_or_b32 v5, s15, 1, v5
	s_waitcnt lgkmcnt(0)
	v_cmp_gt_i32_e32 vcc_lo, s2, v5
	s_and_b32 exec_lo, exec_lo, vcc_lo
	s_cbranch_execz .LBB56_23
; %bb.6:
	s_load_b256 s[4:11], s[0:1], 0x10
	v_ashrrev_i32_e32 v6, 31, v5
	v_and_b32_e32 v0, 63, v0
	s_cmp_lg_u32 s3, 0
	s_delay_alu instid0(VALU_DEP_2) | instskip(SKIP_1) | instid1(VALU_DEP_1)
	v_lshlrev_b64 v[6:7], 2, v[5:6]
	s_waitcnt lgkmcnt(0)
	v_add_co_u32 v6, vcc_lo, s4, v6
	s_delay_alu instid0(VALU_DEP_2) | instskip(SKIP_4) | instid1(VALU_DEP_2)
	v_add_co_ci_u32_e32 v7, vcc_lo, s5, v7, vcc_lo
	global_load_b64 v[6:7], v[6:7], off
	s_waitcnt vmcnt(0)
	v_subrev_nc_u32_e32 v6, s12, v6
	v_subrev_nc_u32_e32 v20, s12, v7
	v_add_nc_u32_e32 v14, v6, v0
	s_delay_alu instid0(VALU_DEP_1)
	v_cmp_lt_i32_e64 s2, v14, v20
	s_cbranch_scc0 .LBB56_12
; %bb.7:
	v_mov_b32_e32 v6, 0
	v_mov_b32_e32 v7, 0
	s_delay_alu instid0(VALU_DEP_1)
	v_dual_mov_b32 v9, v7 :: v_dual_mov_b32 v8, v6
	v_dual_mov_b32 v11, v7 :: v_dual_mov_b32 v10, v6
	;; [unrolled: 1-line block ×3, first 2 shown]
	s_and_saveexec_b32 s3, s2
	s_cbranch_execz .LBB56_11
; %bb.8:
	v_dual_mov_b32 v6, 0 :: v_dual_mov_b32 v17, 0
	v_dual_mov_b32 v7, 0 :: v_dual_mov_b32 v18, v14
	v_mad_u64_u32 v[15:16], null, v14, 20, 16
	s_mov_b32 s4, 0
	s_delay_alu instid0(VALU_DEP_2)
	v_dual_mov_b32 v9, v7 :: v_dual_mov_b32 v8, v6
	v_dual_mov_b32 v11, v7 :: v_dual_mov_b32 v10, v6
	;; [unrolled: 1-line block ×3, first 2 shown]
.LBB56_9:                               ; =>This Inner Loop Header: Depth=1
	v_ashrrev_i32_e32 v19, 31, v18
	v_add_nc_u32_e32 v16, -16, v15
	v_mov_b32_e32 v58, v17
	s_delay_alu instid0(VALU_DEP_3) | instskip(SKIP_1) | instid1(VALU_DEP_2)
	v_lshlrev_b64 v[21:22], 2, v[18:19]
	v_add_nc_u32_e32 v18, 64, v18
	v_add_co_u32 v21, vcc_lo, s6, v21
	s_delay_alu instid0(VALU_DEP_3) | instskip(SKIP_2) | instid1(VALU_DEP_1)
	v_add_co_ci_u32_e32 v22, vcc_lo, s7, v22, vcc_lo
	global_load_b32 v19, v[21:22], off
	v_lshlrev_b64 v[21:22], 3, v[16:17]
	v_add_co_u32 v25, vcc_lo, s8, v21
	s_delay_alu instid0(VALU_DEP_2) | instskip(SKIP_3) | instid1(VALU_DEP_1)
	v_add_co_ci_u32_e32 v26, vcc_lo, s9, v22, vcc_lo
	global_load_b128 v[21:24], v[25:26], off offset:16
	s_waitcnt vmcnt(1)
	v_subrev_nc_u32_e32 v16, s12, v19
	v_lshl_add_u32 v57, v16, 2, v16
	v_add_nc_u32_e32 v16, -12, v15
	s_delay_alu instid0(VALU_DEP_2) | instskip(NEXT) | instid1(VALU_DEP_1)
	v_lshlrev_b64 v[27:28], 3, v[57:58]
	v_add_co_u32 v29, vcc_lo, s10, v27
	s_delay_alu instid0(VALU_DEP_2) | instskip(SKIP_4) | instid1(VALU_DEP_1)
	v_add_co_ci_u32_e32 v30, vcc_lo, s11, v28, vcc_lo
	global_load_b128 v[25:28], v[25:26], off
	global_load_b64 v[61:62], v[29:30], off
	v_lshlrev_b64 v[29:30], 3, v[16:17]
	v_add_nc_u32_e32 v16, 1, v57
	v_lshlrev_b64 v[35:36], 3, v[16:17]
	s_delay_alu instid0(VALU_DEP_3) | instskip(NEXT) | instid1(VALU_DEP_4)
	v_add_co_u32 v33, vcc_lo, s8, v29
	v_add_co_ci_u32_e32 v34, vcc_lo, s9, v30, vcc_lo
	v_add_nc_u32_e32 v16, -8, v15
	s_delay_alu instid0(VALU_DEP_4)
	v_add_co_u32 v37, vcc_lo, s10, v35
	v_add_co_ci_u32_e32 v38, vcc_lo, s11, v36, vcc_lo
	s_clause 0x1
	global_load_b128 v[29:32], v[33:34], off offset:16
	global_load_b128 v[33:36], v[33:34], off
	global_load_b64 v[63:64], v[37:38], off
	v_lshlrev_b64 v[37:38], 3, v[16:17]
	v_add_nc_u32_e32 v16, 2, v57
	s_delay_alu instid0(VALU_DEP_1) | instskip(NEXT) | instid1(VALU_DEP_3)
	v_lshlrev_b64 v[39:40], 3, v[16:17]
	v_add_co_u32 v41, vcc_lo, s8, v37
	s_delay_alu instid0(VALU_DEP_4) | instskip(SKIP_1) | instid1(VALU_DEP_4)
	v_add_co_ci_u32_e32 v42, vcc_lo, s9, v38, vcc_lo
	v_add_nc_u32_e32 v16, -4, v15
	v_add_co_u32 v45, vcc_lo, s10, v39
	v_add_co_ci_u32_e32 v46, vcc_lo, s11, v40, vcc_lo
	s_clause 0x1
	global_load_b128 v[37:40], v[41:42], off offset:16
	global_load_b128 v[41:44], v[41:42], off
	global_load_b64 v[65:66], v[45:46], off
	v_lshlrev_b64 v[45:46], 3, v[16:17]
	v_add_nc_u32_e32 v16, 3, v57
	s_delay_alu instid0(VALU_DEP_1) | instskip(NEXT) | instid1(VALU_DEP_3)
	v_lshlrev_b64 v[47:48], 3, v[16:17]
	v_add_co_u32 v49, vcc_lo, s8, v45
	s_delay_alu instid0(VALU_DEP_4) | instskip(SKIP_1) | instid1(VALU_DEP_4)
	v_add_co_ci_u32_e32 v50, vcc_lo, s9, v46, vcc_lo
	v_mov_b32_e32 v16, v17
	v_add_co_u32 v53, vcc_lo, s10, v47
	v_add_co_ci_u32_e32 v54, vcc_lo, s11, v48, vcc_lo
	s_clause 0x1
	global_load_b128 v[45:48], v[49:50], off offset:16
	global_load_b128 v[49:52], v[49:50], off
	global_load_b64 v[67:68], v[53:54], off
	v_lshlrev_b64 v[53:54], 3, v[15:16]
	v_add_nc_u32_e32 v15, 0x500, v15
	v_add_nc_u32_e32 v16, 4, v57
	s_delay_alu instid0(VALU_DEP_3) | instskip(NEXT) | instid1(VALU_DEP_2)
	v_add_co_u32 v58, vcc_lo, s8, v53
	v_lshlrev_b64 v[69:70], 3, v[16:17]
	v_add_co_ci_u32_e32 v59, vcc_lo, s9, v54, vcc_lo
	s_delay_alu instid0(VALU_DEP_2) | instskip(NEXT) | instid1(VALU_DEP_3)
	v_add_co_u32 v69, vcc_lo, s10, v69
	v_add_co_ci_u32_e32 v70, vcc_lo, s11, v70, vcc_lo
	s_clause 0x1
	global_load_b128 v[53:56], v[58:59], off offset:16
	global_load_b128 v[57:60], v[58:59], off
	global_load_b64 v[69:70], v[69:70], off
	v_cmp_ge_i32_e32 vcc_lo, v18, v20
	s_or_b32 s4, vcc_lo, s4
	s_waitcnt vmcnt(12)
	v_fma_f64 v[6:7], v[25:26], v[61:62], v[6:7]
	v_fma_f64 v[12:13], v[27:28], v[61:62], v[12:13]
	;; [unrolled: 1-line block ×4, first 2 shown]
	s_waitcnt vmcnt(9)
	s_delay_alu instid0(VALU_DEP_4) | instskip(NEXT) | instid1(VALU_DEP_4)
	v_fma_f64 v[6:7], v[33:34], v[63:64], v[6:7]
	v_fma_f64 v[12:13], v[35:36], v[63:64], v[12:13]
	s_delay_alu instid0(VALU_DEP_4) | instskip(NEXT) | instid1(VALU_DEP_4)
	v_fma_f64 v[10:11], v[29:30], v[63:64], v[10:11]
	v_fma_f64 v[8:9], v[31:32], v[63:64], v[8:9]
	s_waitcnt vmcnt(6)
	s_delay_alu instid0(VALU_DEP_4) | instskip(NEXT) | instid1(VALU_DEP_4)
	v_fma_f64 v[6:7], v[41:42], v[65:66], v[6:7]
	v_fma_f64 v[12:13], v[43:44], v[65:66], v[12:13]
	s_delay_alu instid0(VALU_DEP_4) | instskip(NEXT) | instid1(VALU_DEP_4)
	v_fma_f64 v[10:11], v[37:38], v[65:66], v[10:11]
	v_fma_f64 v[8:9], v[39:40], v[65:66], v[8:9]
	;; [unrolled: 7-line block ×4, first 2 shown]
	s_and_not1_b32 exec_lo, exec_lo, s4
	s_cbranch_execnz .LBB56_9
; %bb.10:
	s_or_b32 exec_lo, exec_lo, s4
.LBB56_11:
	s_delay_alu instid0(SALU_CYCLE_1)
	s_or_b32 exec_lo, exec_lo, s3
	s_cbranch_execz .LBB56_13
	s_branch .LBB56_18
.LBB56_12:
                                        ; implicit-def: $vgpr6_vgpr7
                                        ; implicit-def: $vgpr8_vgpr9
                                        ; implicit-def: $vgpr10_vgpr11
                                        ; implicit-def: $vgpr12_vgpr13
.LBB56_13:
	v_mov_b32_e32 v6, 0
	v_mov_b32_e32 v7, 0
	s_delay_alu instid0(VALU_DEP_1)
	v_dual_mov_b32 v9, v7 :: v_dual_mov_b32 v8, v6
	v_dual_mov_b32 v11, v7 :: v_dual_mov_b32 v10, v6
	;; [unrolled: 1-line block ×3, first 2 shown]
	s_and_saveexec_b32 s3, s2
	s_cbranch_execz .LBB56_17
; %bb.14:
	v_dual_mov_b32 v6, 0 :: v_dual_mov_b32 v19, 0
	v_mov_b32_e32 v7, 0
	v_mad_u64_u32 v[16:17], null, v14, 20, 19
	s_mov_b32 s4, 0
	s_delay_alu instid0(VALU_DEP_2)
	v_dual_mov_b32 v9, v7 :: v_dual_mov_b32 v8, v6
	v_dual_mov_b32 v11, v7 :: v_dual_mov_b32 v10, v6
	;; [unrolled: 1-line block ×3, first 2 shown]
.LBB56_15:                              ; =>This Inner Loop Header: Depth=1
	v_ashrrev_i32_e32 v15, 31, v14
	v_dual_mov_b32 v30, v19 :: v_dual_add_nc_u32 v21, -14, v16
	v_dual_mov_b32 v22, v19 :: v_dual_add_nc_u32 v23, -9, v16
	s_delay_alu instid0(VALU_DEP_3) | instskip(SKIP_2) | instid1(VALU_DEP_4)
	v_lshlrev_b64 v[17:18], 2, v[14:15]
	v_dual_mov_b32 v24, v19 :: v_dual_add_nc_u32 v25, -4, v16
	v_mov_b32_e32 v26, v19
	v_lshlrev_b64 v[21:22], 3, v[21:22]
	v_add_nc_u32_e32 v14, 64, v14
	v_add_co_u32 v17, vcc_lo, s6, v17
	v_add_co_ci_u32_e32 v18, vcc_lo, s7, v18, vcc_lo
	v_lshlrev_b64 v[23:24], 3, v[23:24]
	v_lshlrev_b64 v[25:26], 3, v[25:26]
	global_load_b32 v15, v[17:18], off
	v_subrev_nc_u32_e32 v18, 19, v16
	s_delay_alu instid0(VALU_DEP_1) | instskip(NEXT) | instid1(VALU_DEP_1)
	v_lshlrev_b64 v[17:18], 3, v[18:19]
	v_add_co_u32 v17, vcc_lo, s8, v17
	s_delay_alu instid0(VALU_DEP_2)
	v_add_co_ci_u32_e32 v18, vcc_lo, s9, v18, vcc_lo
	v_add_co_u32 v31, vcc_lo, s8, v21
	v_add_co_ci_u32_e32 v32, vcc_lo, s9, v22, vcc_lo
	v_add_co_u32 v33, vcc_lo, s8, v23
	;; [unrolled: 2-line block ×3, first 2 shown]
	v_add_co_ci_u32_e32 v36, vcc_lo, s9, v26, vcc_lo
	s_clause 0x3
	global_load_b128 v[21:24], v[17:18], off offset:16
	global_load_b128 v[25:28], v[17:18], off
	global_load_b64 v[31:32], v[31:32], off
	global_load_b64 v[33:34], v[33:34], off
	s_waitcnt vmcnt(4)
	v_subrev_nc_u32_e32 v15, s12, v15
	s_delay_alu instid0(VALU_DEP_1) | instskip(NEXT) | instid1(VALU_DEP_1)
	v_lshl_add_u32 v29, v15, 2, v15
	v_lshlrev_b64 v[17:18], 3, v[29:30]
	s_delay_alu instid0(VALU_DEP_1) | instskip(NEXT) | instid1(VALU_DEP_2)
	v_add_co_u32 v17, vcc_lo, s10, v17
	v_add_co_ci_u32_e32 v18, vcc_lo, s11, v18, vcc_lo
	global_load_b64 v[35:36], v[35:36], off
	global_load_b64 v[37:38], v[17:18], off
	v_dual_mov_b32 v17, v19 :: v_dual_add_nc_u32 v18, 1, v29
	s_delay_alu instid0(VALU_DEP_1) | instskip(NEXT) | instid1(VALU_DEP_2)
	v_lshlrev_b64 v[47:48], 3, v[16:17]
	v_lshlrev_b64 v[39:40], 3, v[18:19]
	v_add_nc_u32_e32 v18, -13, v16
	s_delay_alu instid0(VALU_DEP_1) | instskip(SKIP_1) | instid1(VALU_DEP_4)
	v_lshlrev_b64 v[41:42], 3, v[18:19]
	v_add_nc_u32_e32 v18, -8, v16
	v_add_co_u32 v39, vcc_lo, s10, v39
	v_add_co_ci_u32_e32 v40, vcc_lo, s11, v40, vcc_lo
	s_delay_alu instid0(VALU_DEP_3) | instskip(SKIP_3) | instid1(VALU_DEP_3)
	v_lshlrev_b64 v[43:44], 3, v[18:19]
	v_add_nc_u32_e32 v18, -3, v16
	v_add_co_u32 v41, vcc_lo, s8, v41
	v_add_co_ci_u32_e32 v42, vcc_lo, s9, v42, vcc_lo
	v_lshlrev_b64 v[45:46], 3, v[18:19]
	v_add_co_u32 v43, vcc_lo, s8, v43
	v_add_co_ci_u32_e32 v44, vcc_lo, s9, v44, vcc_lo
	v_add_nc_u32_e32 v18, 2, v29
	s_delay_alu instid0(VALU_DEP_4)
	v_add_co_u32 v45, vcc_lo, s8, v45
	v_add_co_ci_u32_e32 v46, vcc_lo, s9, v46, vcc_lo
	global_load_b64 v[39:40], v[39:40], off
	s_clause 0x2
	global_load_b64 v[41:42], v[41:42], off
	global_load_b64 v[43:44], v[43:44], off
	;; [unrolled: 1-line block ×3, first 2 shown]
	v_lshlrev_b64 v[49:50], 3, v[18:19]
	v_add_nc_u32_e32 v18, -12, v16
	s_delay_alu instid0(VALU_DEP_1) | instskip(SKIP_1) | instid1(VALU_DEP_4)
	v_lshlrev_b64 v[51:52], 3, v[18:19]
	v_add_nc_u32_e32 v18, -7, v16
	v_add_co_u32 v49, vcc_lo, s10, v49
	v_add_co_ci_u32_e32 v50, vcc_lo, s11, v50, vcc_lo
	s_delay_alu instid0(VALU_DEP_3) | instskip(SKIP_3) | instid1(VALU_DEP_3)
	v_lshlrev_b64 v[53:54], 3, v[18:19]
	v_add_nc_u32_e32 v18, -2, v16
	v_add_co_u32 v51, vcc_lo, s8, v51
	v_add_co_ci_u32_e32 v52, vcc_lo, s9, v52, vcc_lo
	v_lshlrev_b64 v[17:18], 3, v[18:19]
	v_add_co_u32 v53, vcc_lo, s8, v53
	v_add_co_ci_u32_e32 v54, vcc_lo, s9, v54, vcc_lo
	s_delay_alu instid0(VALU_DEP_3) | instskip(NEXT) | instid1(VALU_DEP_4)
	v_add_co_u32 v17, vcc_lo, s8, v17
	v_add_co_ci_u32_e32 v18, vcc_lo, s9, v18, vcc_lo
	global_load_b64 v[49:50], v[49:50], off
	s_clause 0x2
	global_load_b64 v[51:52], v[51:52], off
	global_load_b64 v[53:54], v[53:54], off
	;; [unrolled: 1-line block ×3, first 2 shown]
	v_add_nc_u32_e32 v18, 3, v29
	v_add_co_u32 v47, vcc_lo, s8, v47
	v_add_co_ci_u32_e32 v48, vcc_lo, s9, v48, vcc_lo
	s_delay_alu instid0(VALU_DEP_3) | instskip(SKIP_1) | instid1(VALU_DEP_1)
	v_lshlrev_b64 v[57:58], 3, v[18:19]
	v_add_nc_u32_e32 v18, -11, v16
	v_lshlrev_b64 v[59:60], 3, v[18:19]
	v_add_nc_u32_e32 v18, -6, v16
	s_delay_alu instid0(VALU_DEP_4) | instskip(NEXT) | instid1(VALU_DEP_1)
	v_add_co_u32 v57, s2, s10, v57
	v_add_co_ci_u32_e64 v58, s2, s11, v58, s2
	s_delay_alu instid0(VALU_DEP_3) | instskip(SKIP_2) | instid1(VALU_DEP_1)
	v_lshlrev_b64 v[61:62], 3, v[18:19]
	v_add_nc_u32_e32 v18, -1, v16
	v_add_co_u32 v59, s2, s8, v59
	v_add_co_ci_u32_e64 v60, s2, s9, v60, s2
	s_delay_alu instid0(VALU_DEP_3) | instskip(SKIP_1) | instid1(VALU_DEP_1)
	v_lshlrev_b64 v[17:18], 3, v[18:19]
	v_add_co_u32 v61, s2, s8, v61
	v_add_co_ci_u32_e64 v62, s2, s9, v62, s2
	s_delay_alu instid0(VALU_DEP_3) | instskip(NEXT) | instid1(VALU_DEP_1)
	v_add_co_u32 v17, s2, s8, v17
	v_add_co_ci_u32_e64 v18, s2, s9, v18, s2
	global_load_b64 v[57:58], v[57:58], off
	s_clause 0x2
	global_load_b64 v[59:60], v[59:60], off
	global_load_b64 v[61:62], v[61:62], off
	global_load_b64 v[63:64], v[17:18], off
	v_add_nc_u32_e32 v18, -15, v16
	s_delay_alu instid0(VALU_DEP_1) | instskip(SKIP_1) | instid1(VALU_DEP_1)
	v_lshlrev_b64 v[65:66], 3, v[18:19]
	v_add_nc_u32_e32 v18, 4, v29
	v_lshlrev_b64 v[29:30], 3, v[18:19]
	v_add_nc_u32_e32 v18, -10, v16
	s_delay_alu instid0(VALU_DEP_4) | instskip(SKIP_1) | instid1(VALU_DEP_3)
	v_add_co_u32 v65, vcc_lo, s8, v65
	v_add_co_ci_u32_e32 v66, vcc_lo, s9, v66, vcc_lo
	v_lshlrev_b64 v[67:68], 3, v[18:19]
	v_add_nc_u32_e32 v18, -5, v16
	v_add_co_u32 v29, vcc_lo, s10, v29
	v_add_co_ci_u32_e32 v30, vcc_lo, s11, v30, vcc_lo
	s_delay_alu instid0(VALU_DEP_3) | instskip(SKIP_3) | instid1(VALU_DEP_4)
	v_lshlrev_b64 v[17:18], 3, v[18:19]
	v_add_co_u32 v67, vcc_lo, s8, v67
	v_add_co_ci_u32_e32 v68, vcc_lo, s9, v68, vcc_lo
	v_add_nc_u32_e32 v16, 0x500, v16
	v_add_co_u32 v17, vcc_lo, s8, v17
	v_add_co_ci_u32_e32 v18, vcc_lo, s9, v18, vcc_lo
	global_load_b64 v[65:66], v[65:66], off
	global_load_b64 v[29:30], v[29:30], off
	s_clause 0x2
	global_load_b64 v[67:68], v[67:68], off
	global_load_b64 v[17:18], v[17:18], off
	;; [unrolled: 1-line block ×3, first 2 shown]
	v_cmp_ge_i32_e32 vcc_lo, v14, v20
	s_or_b32 s4, vcc_lo, s4
	s_waitcnt vmcnt(17)
	v_fma_f64 v[6:7], v[25:26], v[37:38], v[6:7]
	v_fma_f64 v[12:13], v[31:32], v[37:38], v[12:13]
	;; [unrolled: 1-line block ×4, first 2 shown]
	s_waitcnt vmcnt(16)
	s_delay_alu instid0(VALU_DEP_4) | instskip(SKIP_1) | instid1(VALU_DEP_4)
	v_fma_f64 v[6:7], v[27:28], v[39:40], v[6:7]
	s_waitcnt vmcnt(15)
	v_fma_f64 v[12:13], v[41:42], v[39:40], v[12:13]
	s_waitcnt vmcnt(14)
	s_delay_alu instid0(VALU_DEP_4) | instskip(SKIP_1) | instid1(VALU_DEP_4)
	v_fma_f64 v[10:11], v[43:44], v[39:40], v[10:11]
	s_waitcnt vmcnt(13)
	v_fma_f64 v[8:9], v[45:46], v[39:40], v[8:9]
	s_waitcnt vmcnt(12)
	s_delay_alu instid0(VALU_DEP_4) | instskip(SKIP_1) | instid1(VALU_DEP_4)
	v_fma_f64 v[6:7], v[21:22], v[49:50], v[6:7]
	s_waitcnt vmcnt(11)
	v_fma_f64 v[12:13], v[51:52], v[49:50], v[12:13]
	s_waitcnt vmcnt(10)
	s_delay_alu instid0(VALU_DEP_4) | instskip(SKIP_1) | instid1(VALU_DEP_4)
	v_fma_f64 v[10:11], v[53:54], v[49:50], v[10:11]
	s_waitcnt vmcnt(9)
	v_fma_f64 v[8:9], v[55:56], v[49:50], v[8:9]
	s_waitcnt vmcnt(8)
	s_delay_alu instid0(VALU_DEP_4) | instskip(SKIP_1) | instid1(VALU_DEP_4)
	v_fma_f64 v[6:7], v[23:24], v[57:58], v[6:7]
	s_waitcnt vmcnt(7)
	v_fma_f64 v[12:13], v[59:60], v[57:58], v[12:13]
	s_waitcnt vmcnt(6)
	s_delay_alu instid0(VALU_DEP_4) | instskip(SKIP_1) | instid1(VALU_DEP_4)
	v_fma_f64 v[10:11], v[61:62], v[57:58], v[10:11]
	s_waitcnt vmcnt(5)
	v_fma_f64 v[8:9], v[63:64], v[57:58], v[8:9]
	s_waitcnt vmcnt(3)
	s_delay_alu instid0(VALU_DEP_4) | instskip(SKIP_1) | instid1(VALU_DEP_4)
	v_fma_f64 v[6:7], v[65:66], v[29:30], v[6:7]
	s_waitcnt vmcnt(2)
	v_fma_f64 v[12:13], v[67:68], v[29:30], v[12:13]
	s_waitcnt vmcnt(1)
	s_delay_alu instid0(VALU_DEP_4) | instskip(SKIP_1) | instid1(VALU_DEP_4)
	v_fma_f64 v[10:11], v[17:18], v[29:30], v[10:11]
	s_waitcnt vmcnt(0)
	v_fma_f64 v[8:9], v[47:48], v[29:30], v[8:9]
	s_and_not1_b32 exec_lo, exec_lo, s4
	s_cbranch_execnz .LBB56_15
; %bb.16:
	s_or_b32 exec_lo, exec_lo, s4
.LBB56_17:
	s_delay_alu instid0(SALU_CYCLE_1)
	s_or_b32 exec_lo, exec_lo, s3
.LBB56_18:
	v_mbcnt_lo_u32_b32 v24, -1, 0
	s_delay_alu instid0(VALU_DEP_1) | instskip(NEXT) | instid1(VALU_DEP_1)
	v_or_b32_e32 v14, 32, v24
	v_cmp_gt_i32_e32 vcc_lo, 32, v14
	v_cndmask_b32_e32 v14, v24, v14, vcc_lo
	s_delay_alu instid0(VALU_DEP_1)
	v_lshlrev_b32_e32 v21, 2, v14
	ds_bpermute_b32 v14, v21, v6
	ds_bpermute_b32 v15, v21, v7
	ds_bpermute_b32 v16, v21, v12
	ds_bpermute_b32 v17, v21, v13
	ds_bpermute_b32 v18, v21, v10
	ds_bpermute_b32 v19, v21, v11
	ds_bpermute_b32 v20, v21, v8
	ds_bpermute_b32 v21, v21, v9
	s_waitcnt lgkmcnt(6)
	v_add_f64 v[6:7], v[6:7], v[14:15]
	v_xor_b32_e32 v14, 16, v24
	s_waitcnt lgkmcnt(4)
	v_add_f64 v[12:13], v[12:13], v[16:17]
	s_waitcnt lgkmcnt(2)
	v_add_f64 v[10:11], v[10:11], v[18:19]
	s_waitcnt lgkmcnt(0)
	v_add_f64 v[8:9], v[8:9], v[20:21]
	v_cmp_gt_i32_e32 vcc_lo, 32, v14
	v_cndmask_b32_e32 v14, v24, v14, vcc_lo
	s_delay_alu instid0(VALU_DEP_1)
	v_lshlrev_b32_e32 v21, 2, v14
	ds_bpermute_b32 v14, v21, v6
	ds_bpermute_b32 v15, v21, v7
	ds_bpermute_b32 v16, v21, v12
	ds_bpermute_b32 v17, v21, v13
	ds_bpermute_b32 v18, v21, v10
	ds_bpermute_b32 v19, v21, v11
	ds_bpermute_b32 v20, v21, v8
	ds_bpermute_b32 v21, v21, v9
	s_waitcnt lgkmcnt(6)
	v_add_f64 v[6:7], v[6:7], v[14:15]
	v_xor_b32_e32 v14, 8, v24
	s_waitcnt lgkmcnt(4)
	v_add_f64 v[12:13], v[12:13], v[16:17]
	s_waitcnt lgkmcnt(2)
	v_add_f64 v[10:11], v[10:11], v[18:19]
	s_waitcnt lgkmcnt(0)
	v_add_f64 v[8:9], v[8:9], v[20:21]
	v_cmp_gt_i32_e32 vcc_lo, 32, v14
	v_cndmask_b32_e32 v14, v24, v14, vcc_lo
	s_delay_alu instid0(VALU_DEP_1)
	v_lshlrev_b32_e32 v21, 2, v14
	ds_bpermute_b32 v14, v21, v6
	ds_bpermute_b32 v15, v21, v7
	ds_bpermute_b32 v16, v21, v12
	ds_bpermute_b32 v17, v21, v13
	ds_bpermute_b32 v18, v21, v10
	ds_bpermute_b32 v19, v21, v11
	ds_bpermute_b32 v20, v21, v8
	ds_bpermute_b32 v21, v21, v9
	s_waitcnt lgkmcnt(6)
	v_add_f64 v[6:7], v[6:7], v[14:15]
	v_xor_b32_e32 v14, 4, v24
	s_waitcnt lgkmcnt(4)
	v_add_f64 v[12:13], v[12:13], v[16:17]
	s_waitcnt lgkmcnt(2)
	v_add_f64 v[10:11], v[10:11], v[18:19]
	s_waitcnt lgkmcnt(0)
	v_add_f64 v[8:9], v[8:9], v[20:21]
	v_cmp_gt_i32_e32 vcc_lo, 32, v14
	v_cndmask_b32_e32 v14, v24, v14, vcc_lo
	s_delay_alu instid0(VALU_DEP_1)
	v_lshlrev_b32_e32 v21, 2, v14
	ds_bpermute_b32 v14, v21, v6
	ds_bpermute_b32 v15, v21, v7
	ds_bpermute_b32 v16, v21, v12
	ds_bpermute_b32 v17, v21, v13
	ds_bpermute_b32 v18, v21, v10
	ds_bpermute_b32 v19, v21, v11
	ds_bpermute_b32 v20, v21, v8
	ds_bpermute_b32 v21, v21, v9
	s_waitcnt lgkmcnt(6)
	v_add_f64 v[6:7], v[6:7], v[14:15]
	s_waitcnt lgkmcnt(4)
	v_add_f64 v[12:13], v[12:13], v[16:17]
	;; [unrolled: 2-line block ×4, first 2 shown]
	v_xor_b32_e32 v8, 2, v24
	s_delay_alu instid0(VALU_DEP_1) | instskip(SKIP_1) | instid1(VALU_DEP_1)
	v_cmp_gt_i32_e32 vcc_lo, 32, v8
	v_cndmask_b32_e32 v8, v24, v8, vcc_lo
	v_lshlrev_b32_e32 v10, 2, v8
	ds_bpermute_b32 v8, v10, v6
	ds_bpermute_b32 v9, v10, v7
	;; [unrolled: 1-line block ×8, first 2 shown]
	s_waitcnt lgkmcnt(6)
	v_add_f64 v[10:11], v[6:7], v[8:9]
	s_waitcnt lgkmcnt(4)
	v_add_f64 v[8:9], v[12:13], v[18:19]
	v_xor_b32_e32 v12, 1, v24
	s_waitcnt lgkmcnt(2)
	v_add_f64 v[6:7], v[14:15], v[20:21]
	s_waitcnt lgkmcnt(0)
	v_add_f64 v[14:15], v[16:17], v[22:23]
	v_cmp_gt_i32_e32 vcc_lo, 32, v12
	v_cndmask_b32_e32 v12, v24, v12, vcc_lo
	v_cmp_eq_u32_e32 vcc_lo, 63, v0
	s_delay_alu instid0(VALU_DEP_2)
	v_lshlrev_b32_e32 v17, 2, v12
	ds_bpermute_b32 v12, v17, v10
	ds_bpermute_b32 v13, v17, v11
	;; [unrolled: 1-line block ×8, first 2 shown]
	s_and_b32 exec_lo, exec_lo, vcc_lo
	s_cbranch_execz .LBB56_23
; %bb.19:
	s_waitcnt lgkmcnt(6)
	v_add_f64 v[12:13], v[10:11], v[12:13]
	s_waitcnt lgkmcnt(4)
	v_add_f64 v[10:11], v[8:9], v[20:21]
	;; [unrolled: 2-line block ×4, first 2 shown]
	s_load_b64 s[0:1], s[0:1], 0x38
	s_mov_b32 s2, exec_lo
	v_cmpx_eq_f64_e32 0, v[3:4]
	s_xor_b32 s2, exec_lo, s2
	s_cbranch_execz .LBB56_21
; %bb.20:
	v_mul_f64 v[12:13], v[1:2], v[12:13]
	v_mul_f64 v[14:15], v[1:2], v[10:11]
	;; [unrolled: 1-line block ×4, first 2 shown]
	v_lshlrev_b32_e32 v0, 2, v5
                                        ; implicit-def: $vgpr5
                                        ; implicit-def: $vgpr3_vgpr4
                                        ; implicit-def: $vgpr6_vgpr7
	s_delay_alu instid0(VALU_DEP_1) | instskip(NEXT) | instid1(VALU_DEP_1)
	v_ashrrev_i32_e32 v1, 31, v0
	v_lshlrev_b64 v[0:1], 3, v[0:1]
	s_waitcnt lgkmcnt(0)
	s_delay_alu instid0(VALU_DEP_1) | instskip(NEXT) | instid1(VALU_DEP_2)
	v_add_co_u32 v0, vcc_lo, s0, v0
	v_add_co_ci_u32_e32 v1, vcc_lo, s1, v1, vcc_lo
	s_clause 0x1
	global_store_b128 v[0:1], v[12:15], off
	global_store_b128 v[0:1], v[8:11], off offset:16
                                        ; implicit-def: $vgpr1_vgpr2
                                        ; implicit-def: $vgpr12_vgpr13
                                        ; implicit-def: $vgpr10_vgpr11
                                        ; implicit-def: $vgpr8_vgpr9
.LBB56_21:
	s_and_not1_saveexec_b32 s2, s2
	s_cbranch_execz .LBB56_23
; %bb.22:
	v_lshlrev_b32_e32 v14, 2, v5
	v_mul_f64 v[12:13], v[1:2], v[12:13]
	v_mul_f64 v[10:11], v[1:2], v[10:11]
	;; [unrolled: 1-line block ×4, first 2 shown]
	v_ashrrev_i32_e32 v15, 31, v14
	s_delay_alu instid0(VALU_DEP_1) | instskip(SKIP_1) | instid1(VALU_DEP_1)
	v_lshlrev_b64 v[14:15], 3, v[14:15]
	s_waitcnt lgkmcnt(0)
	v_add_co_u32 v22, vcc_lo, s0, v14
	s_delay_alu instid0(VALU_DEP_2)
	v_add_co_ci_u32_e32 v23, vcc_lo, s1, v15, vcc_lo
	s_clause 0x1
	global_load_b128 v[14:17], v[22:23], off
	global_load_b128 v[18:21], v[22:23], off offset:16
	s_waitcnt vmcnt(1)
	v_fma_f64 v[5:6], v[3:4], v[14:15], v[12:13]
	v_fma_f64 v[7:8], v[3:4], v[16:17], v[10:11]
	s_waitcnt vmcnt(0)
	v_fma_f64 v[0:1], v[3:4], v[18:19], v[24:25]
	v_fma_f64 v[2:3], v[3:4], v[20:21], v[26:27]
	s_clause 0x1
	global_store_b128 v[22:23], v[5:8], off
	global_store_b128 v[22:23], v[0:3], off offset:16
.LBB56_23:
	s_nop 0
	s_sendmsg sendmsg(MSG_DEALLOC_VGPRS)
	s_endpgm
	.section	.rodata,"a",@progbits
	.p2align	6, 0x0
	.amdhsa_kernel _ZN9rocsparseL19gebsrmvn_4xn_kernelILj128ELj5ELj64EdEEvi20rocsparse_direction_NS_24const_host_device_scalarIT2_EEPKiS6_PKS3_S8_S4_PS3_21rocsparse_index_base_b
		.amdhsa_group_segment_fixed_size 0
		.amdhsa_private_segment_fixed_size 0
		.amdhsa_kernarg_size 72
		.amdhsa_user_sgpr_count 15
		.amdhsa_user_sgpr_dispatch_ptr 0
		.amdhsa_user_sgpr_queue_ptr 0
		.amdhsa_user_sgpr_kernarg_segment_ptr 1
		.amdhsa_user_sgpr_dispatch_id 0
		.amdhsa_user_sgpr_private_segment_size 0
		.amdhsa_wavefront_size32 1
		.amdhsa_uses_dynamic_stack 0
		.amdhsa_enable_private_segment 0
		.amdhsa_system_sgpr_workgroup_id_x 1
		.amdhsa_system_sgpr_workgroup_id_y 0
		.amdhsa_system_sgpr_workgroup_id_z 0
		.amdhsa_system_sgpr_workgroup_info 0
		.amdhsa_system_vgpr_workitem_id 0
		.amdhsa_next_free_vgpr 71
		.amdhsa_next_free_sgpr 16
		.amdhsa_reserve_vcc 1
		.amdhsa_float_round_mode_32 0
		.amdhsa_float_round_mode_16_64 0
		.amdhsa_float_denorm_mode_32 3
		.amdhsa_float_denorm_mode_16_64 3
		.amdhsa_dx10_clamp 1
		.amdhsa_ieee_mode 1
		.amdhsa_fp16_overflow 0
		.amdhsa_workgroup_processor_mode 1
		.amdhsa_memory_ordered 1
		.amdhsa_forward_progress 0
		.amdhsa_shared_vgpr_count 0
		.amdhsa_exception_fp_ieee_invalid_op 0
		.amdhsa_exception_fp_denorm_src 0
		.amdhsa_exception_fp_ieee_div_zero 0
		.amdhsa_exception_fp_ieee_overflow 0
		.amdhsa_exception_fp_ieee_underflow 0
		.amdhsa_exception_fp_ieee_inexact 0
		.amdhsa_exception_int_div_zero 0
	.end_amdhsa_kernel
	.section	.text._ZN9rocsparseL19gebsrmvn_4xn_kernelILj128ELj5ELj64EdEEvi20rocsparse_direction_NS_24const_host_device_scalarIT2_EEPKiS6_PKS3_S8_S4_PS3_21rocsparse_index_base_b,"axG",@progbits,_ZN9rocsparseL19gebsrmvn_4xn_kernelILj128ELj5ELj64EdEEvi20rocsparse_direction_NS_24const_host_device_scalarIT2_EEPKiS6_PKS3_S8_S4_PS3_21rocsparse_index_base_b,comdat
.Lfunc_end56:
	.size	_ZN9rocsparseL19gebsrmvn_4xn_kernelILj128ELj5ELj64EdEEvi20rocsparse_direction_NS_24const_host_device_scalarIT2_EEPKiS6_PKS3_S8_S4_PS3_21rocsparse_index_base_b, .Lfunc_end56-_ZN9rocsparseL19gebsrmvn_4xn_kernelILj128ELj5ELj64EdEEvi20rocsparse_direction_NS_24const_host_device_scalarIT2_EEPKiS6_PKS3_S8_S4_PS3_21rocsparse_index_base_b
                                        ; -- End function
	.section	.AMDGPU.csdata,"",@progbits
; Kernel info:
; codeLenInByte = 3500
; NumSgprs: 18
; NumVgprs: 71
; ScratchSize: 0
; MemoryBound: 1
; FloatMode: 240
; IeeeMode: 1
; LDSByteSize: 0 bytes/workgroup (compile time only)
; SGPRBlocks: 2
; VGPRBlocks: 8
; NumSGPRsForWavesPerEU: 18
; NumVGPRsForWavesPerEU: 71
; Occupancy: 16
; WaveLimiterHint : 1
; COMPUTE_PGM_RSRC2:SCRATCH_EN: 0
; COMPUTE_PGM_RSRC2:USER_SGPR: 15
; COMPUTE_PGM_RSRC2:TRAP_HANDLER: 0
; COMPUTE_PGM_RSRC2:TGID_X_EN: 1
; COMPUTE_PGM_RSRC2:TGID_Y_EN: 0
; COMPUTE_PGM_RSRC2:TGID_Z_EN: 0
; COMPUTE_PGM_RSRC2:TIDIG_COMP_CNT: 0
	.section	.text._ZN9rocsparseL19gebsrmvn_4xn_kernelILj128ELj6ELj4EdEEvi20rocsparse_direction_NS_24const_host_device_scalarIT2_EEPKiS6_PKS3_S8_S4_PS3_21rocsparse_index_base_b,"axG",@progbits,_ZN9rocsparseL19gebsrmvn_4xn_kernelILj128ELj6ELj4EdEEvi20rocsparse_direction_NS_24const_host_device_scalarIT2_EEPKiS6_PKS3_S8_S4_PS3_21rocsparse_index_base_b,comdat
	.globl	_ZN9rocsparseL19gebsrmvn_4xn_kernelILj128ELj6ELj4EdEEvi20rocsparse_direction_NS_24const_host_device_scalarIT2_EEPKiS6_PKS3_S8_S4_PS3_21rocsparse_index_base_b ; -- Begin function _ZN9rocsparseL19gebsrmvn_4xn_kernelILj128ELj6ELj4EdEEvi20rocsparse_direction_NS_24const_host_device_scalarIT2_EEPKiS6_PKS3_S8_S4_PS3_21rocsparse_index_base_b
	.p2align	8
	.type	_ZN9rocsparseL19gebsrmvn_4xn_kernelILj128ELj6ELj4EdEEvi20rocsparse_direction_NS_24const_host_device_scalarIT2_EEPKiS6_PKS3_S8_S4_PS3_21rocsparse_index_base_b,@function
_ZN9rocsparseL19gebsrmvn_4xn_kernelILj128ELj6ELj4EdEEvi20rocsparse_direction_NS_24const_host_device_scalarIT2_EEPKiS6_PKS3_S8_S4_PS3_21rocsparse_index_base_b: ; @_ZN9rocsparseL19gebsrmvn_4xn_kernelILj128ELj6ELj4EdEEvi20rocsparse_direction_NS_24const_host_device_scalarIT2_EEPKiS6_PKS3_S8_S4_PS3_21rocsparse_index_base_b
; %bb.0:
	s_clause 0x2
	s_load_b64 s[12:13], s[0:1], 0x40
	s_load_b64 s[4:5], s[0:1], 0x8
	s_load_b64 s[2:3], s[0:1], 0x30
	s_waitcnt lgkmcnt(0)
	s_bitcmp1_b32 s13, 0
	v_dual_mov_b32 v1, s4 :: v_dual_mov_b32 v2, s5
	s_cselect_b32 s6, -1, 0
	s_delay_alu instid0(SALU_CYCLE_1)
	s_and_b32 vcc_lo, exec_lo, s6
	s_xor_b32 s6, s6, -1
	s_cbranch_vccnz .LBB57_2
; %bb.1:
	v_dual_mov_b32 v1, s4 :: v_dual_mov_b32 v2, s5
	flat_load_b64 v[1:2], v[1:2]
.LBB57_2:
	v_dual_mov_b32 v4, s3 :: v_dual_mov_b32 v3, s2
	s_and_not1_b32 vcc_lo, exec_lo, s6
	s_cbranch_vccnz .LBB57_4
; %bb.3:
	v_dual_mov_b32 v4, s3 :: v_dual_mov_b32 v3, s2
	flat_load_b64 v[3:4], v[3:4]
.LBB57_4:
	s_waitcnt vmcnt(0) lgkmcnt(0)
	v_cmp_neq_f64_e32 vcc_lo, 0, v[1:2]
	v_cmp_neq_f64_e64 s2, 1.0, v[3:4]
	s_delay_alu instid0(VALU_DEP_1) | instskip(NEXT) | instid1(SALU_CYCLE_1)
	s_or_b32 s2, vcc_lo, s2
	s_and_saveexec_b32 s3, s2
	s_cbranch_execz .LBB57_23
; %bb.5:
	s_load_b64 s[2:3], s[0:1], 0x0
	v_lshrrev_b32_e32 v5, 2, v0
	s_delay_alu instid0(VALU_DEP_1) | instskip(SKIP_1) | instid1(VALU_DEP_1)
	v_lshl_or_b32 v5, s15, 5, v5
	s_waitcnt lgkmcnt(0)
	v_cmp_gt_i32_e32 vcc_lo, s2, v5
	s_and_b32 exec_lo, exec_lo, vcc_lo
	s_cbranch_execz .LBB57_23
; %bb.6:
	s_load_b256 s[4:11], s[0:1], 0x10
	v_ashrrev_i32_e32 v6, 31, v5
	v_and_b32_e32 v0, 3, v0
	s_cmp_lg_u32 s3, 0
	s_delay_alu instid0(VALU_DEP_2) | instskip(SKIP_1) | instid1(VALU_DEP_1)
	v_lshlrev_b64 v[6:7], 2, v[5:6]
	s_waitcnt lgkmcnt(0)
	v_add_co_u32 v6, vcc_lo, s4, v6
	s_delay_alu instid0(VALU_DEP_2) | instskip(SKIP_4) | instid1(VALU_DEP_2)
	v_add_co_ci_u32_e32 v7, vcc_lo, s5, v7, vcc_lo
	global_load_b64 v[6:7], v[6:7], off
	s_waitcnt vmcnt(0)
	v_subrev_nc_u32_e32 v6, s12, v6
	v_subrev_nc_u32_e32 v21, s12, v7
	v_add_nc_u32_e32 v6, v6, v0
	s_delay_alu instid0(VALU_DEP_1)
	v_cmp_lt_i32_e64 s2, v6, v21
	s_cbranch_scc0 .LBB57_12
; %bb.7:
	v_mov_b32_e32 v8, 0
	v_mov_b32_e32 v9, 0
	s_delay_alu instid0(VALU_DEP_1)
	v_dual_mov_b32 v11, v9 :: v_dual_mov_b32 v10, v8
	v_dual_mov_b32 v13, v9 :: v_dual_mov_b32 v12, v8
	;; [unrolled: 1-line block ×3, first 2 shown]
	s_and_saveexec_b32 s3, s2
	s_cbranch_execz .LBB57_11
; %bb.8:
	v_dual_mov_b32 v8, 0 :: v_dual_mov_b32 v19, v6
	v_dual_mov_b32 v9, 0 :: v_dual_mov_b32 v18, 0
	v_mad_u64_u32 v[16:17], null, v6, 24, 20
	s_mov_b32 s4, 0
	s_delay_alu instid0(VALU_DEP_2)
	v_dual_mov_b32 v11, v9 :: v_dual_mov_b32 v10, v8
	v_dual_mov_b32 v13, v9 :: v_dual_mov_b32 v12, v8
	;; [unrolled: 1-line block ×3, first 2 shown]
.LBB57_9:                               ; =>This Inner Loop Header: Depth=1
	v_ashrrev_i32_e32 v20, 31, v19
	v_subrev_nc_u32_e32 v17, 20, v16
	v_mov_b32_e32 v63, v18
	s_delay_alu instid0(VALU_DEP_3) | instskip(SKIP_1) | instid1(VALU_DEP_2)
	v_lshlrev_b64 v[22:23], 2, v[19:20]
	v_add_nc_u32_e32 v19, 4, v19
	v_add_co_u32 v22, vcc_lo, s6, v22
	s_delay_alu instid0(VALU_DEP_3) | instskip(SKIP_3) | instid1(VALU_DEP_1)
	v_add_co_ci_u32_e32 v23, vcc_lo, s7, v23, vcc_lo
	global_load_b32 v7, v[22:23], off
	v_lshlrev_b64 v[22:23], 3, v[17:18]
	v_add_nc_u32_e32 v17, -12, v16
	v_lshlrev_b64 v[42:43], 3, v[17:18]
	s_delay_alu instid0(VALU_DEP_3) | instskip(NEXT) | instid1(VALU_DEP_4)
	v_add_co_u32 v38, vcc_lo, s8, v22
	v_add_co_ci_u32_e32 v39, vcc_lo, s9, v23, vcc_lo
	global_load_b128 v[22:25], v[38:39], off offset:16
	s_waitcnt vmcnt(1)
	v_subrev_nc_u32_e32 v7, s12, v7
	s_delay_alu instid0(VALU_DEP_1) | instskip(NEXT) | instid1(VALU_DEP_1)
	v_mul_lo_u32 v62, v7, 6
	v_lshlrev_b64 v[26:27], 3, v[62:63]
	v_add_nc_u32_e32 v17, 2, v62
	s_delay_alu instid0(VALU_DEP_1) | instskip(NEXT) | instid1(VALU_DEP_3)
	v_lshlrev_b64 v[48:49], 3, v[17:18]
	v_add_co_u32 v30, vcc_lo, s10, v26
	s_delay_alu instid0(VALU_DEP_4)
	v_add_co_ci_u32_e32 v31, vcc_lo, s11, v27, vcc_lo
	v_add_co_u32 v46, vcc_lo, s8, v42
	global_load_b128 v[26:29], v[38:39], off
	global_load_b128 v[30:33], v[30:31], off
	s_clause 0x1
	global_load_b128 v[34:37], v[38:39], off offset:48
	global_load_b128 v[38:41], v[38:39], off offset:32
	v_add_co_ci_u32_e32 v47, vcc_lo, s9, v43, vcc_lo
	v_add_co_u32 v50, vcc_lo, s10, v48
	v_add_co_ci_u32_e32 v51, vcc_lo, s11, v49, vcc_lo
	s_clause 0x1
	global_load_b128 v[42:45], v[46:47], off offset:16
	global_load_b128 v[46:49], v[46:47], off
	global_load_b128 v[50:53], v[50:51], off
	v_add_nc_u32_e32 v17, -8, v16
	s_delay_alu instid0(VALU_DEP_1) | instskip(SKIP_1) | instid1(VALU_DEP_2)
	v_lshlrev_b64 v[54:55], 3, v[17:18]
	v_add_nc_u32_e32 v17, -4, v16
	v_add_co_u32 v58, vcc_lo, s8, v54
	s_delay_alu instid0(VALU_DEP_3)
	v_add_co_ci_u32_e32 v59, vcc_lo, s9, v55, vcc_lo
	s_clause 0x1
	global_load_b128 v[54:57], v[58:59], off
	global_load_b128 v[58:61], v[58:59], off offset:16
	v_lshlrev_b64 v[63:64], 3, v[17:18]
	v_add_nc_u32_e32 v17, 4, v62
	s_delay_alu instid0(VALU_DEP_1) | instskip(NEXT) | instid1(VALU_DEP_3)
	v_lshlrev_b64 v[65:66], 3, v[17:18]
	v_add_co_u32 v67, vcc_lo, s8, v63
	s_delay_alu instid0(VALU_DEP_4) | instskip(SKIP_1) | instid1(VALU_DEP_4)
	v_add_co_ci_u32_e32 v68, vcc_lo, s9, v64, vcc_lo
	v_mov_b32_e32 v17, v18
	v_add_co_u32 v70, vcc_lo, s10, v65
	v_add_co_ci_u32_e32 v71, vcc_lo, s11, v66, vcc_lo
	s_clause 0x1
	global_load_b128 v[62:65], v[67:68], off offset:16
	global_load_b128 v[66:69], v[67:68], off
	global_load_b128 v[70:73], v[70:71], off
	v_lshlrev_b64 v[74:75], 3, v[16:17]
	v_add_nc_u32_e32 v16, 0x60, v16
	s_delay_alu instid0(VALU_DEP_2) | instskip(NEXT) | instid1(VALU_DEP_3)
	v_add_co_u32 v78, vcc_lo, s8, v74
	v_add_co_ci_u32_e32 v79, vcc_lo, s9, v75, vcc_lo
	s_clause 0x1
	global_load_b128 v[74:77], v[78:79], off
	global_load_b128 v[78:81], v[78:79], off offset:16
	v_cmp_ge_i32_e32 vcc_lo, v19, v21
	s_or_b32 s4, vcc_lo, s4
	s_waitcnt vmcnt(12)
	v_fma_f64 v[7:8], v[26:27], v[30:31], v[8:9]
	v_fma_f64 v[14:15], v[28:29], v[30:31], v[14:15]
	;; [unrolled: 1-line block ×4, first 2 shown]
	s_waitcnt vmcnt(10)
	s_delay_alu instid0(VALU_DEP_4) | instskip(NEXT) | instid1(VALU_DEP_4)
	v_fma_f64 v[7:8], v[38:39], v[32:33], v[7:8]
	v_fma_f64 v[14:15], v[40:41], v[32:33], v[14:15]
	s_delay_alu instid0(VALU_DEP_4) | instskip(NEXT) | instid1(VALU_DEP_4)
	v_fma_f64 v[11:12], v[34:35], v[32:33], v[12:13]
	v_fma_f64 v[9:10], v[36:37], v[32:33], v[9:10]
	s_waitcnt vmcnt(7)
	s_delay_alu instid0(VALU_DEP_4) | instskip(NEXT) | instid1(VALU_DEP_4)
	v_fma_f64 v[7:8], v[46:47], v[50:51], v[7:8]
	v_fma_f64 v[13:14], v[48:49], v[50:51], v[14:15]
	s_delay_alu instid0(VALU_DEP_4) | instskip(NEXT) | instid1(VALU_DEP_4)
	v_fma_f64 v[11:12], v[42:43], v[50:51], v[11:12]
	v_fma_f64 v[9:10], v[44:45], v[50:51], v[9:10]
	s_waitcnt vmcnt(6)
	s_delay_alu instid0(VALU_DEP_4) | instskip(NEXT) | instid1(VALU_DEP_4)
	v_fma_f64 v[7:8], v[54:55], v[52:53], v[7:8]
	v_fma_f64 v[13:14], v[56:57], v[52:53], v[13:14]
	s_waitcnt vmcnt(5)
	;; [unrolled: 4-line block ×3, first 2 shown]
	s_delay_alu instid0(VALU_DEP_4) | instskip(NEXT) | instid1(VALU_DEP_4)
	v_fma_f64 v[7:8], v[66:67], v[70:71], v[7:8]
	v_fma_f64 v[13:14], v[68:69], v[70:71], v[13:14]
	s_delay_alu instid0(VALU_DEP_4) | instskip(NEXT) | instid1(VALU_DEP_4)
	v_fma_f64 v[11:12], v[62:63], v[70:71], v[11:12]
	v_fma_f64 v[22:23], v[64:65], v[70:71], v[9:10]
	s_waitcnt vmcnt(1)
	s_delay_alu instid0(VALU_DEP_4) | instskip(NEXT) | instid1(VALU_DEP_4)
	v_fma_f64 v[8:9], v[74:75], v[72:73], v[7:8]
	v_fma_f64 v[14:15], v[76:77], v[72:73], v[13:14]
	s_waitcnt vmcnt(0)
	s_delay_alu instid0(VALU_DEP_4) | instskip(NEXT) | instid1(VALU_DEP_4)
	v_fma_f64 v[12:13], v[78:79], v[72:73], v[11:12]
	v_fma_f64 v[10:11], v[80:81], v[72:73], v[22:23]
	s_and_not1_b32 exec_lo, exec_lo, s4
	s_cbranch_execnz .LBB57_9
; %bb.10:
	s_or_b32 exec_lo, exec_lo, s4
.LBB57_11:
	s_delay_alu instid0(SALU_CYCLE_1)
	s_or_b32 exec_lo, exec_lo, s3
	s_cbranch_execz .LBB57_13
	s_branch .LBB57_18
.LBB57_12:
                                        ; implicit-def: $vgpr8_vgpr9
                                        ; implicit-def: $vgpr10_vgpr11
                                        ; implicit-def: $vgpr12_vgpr13
                                        ; implicit-def: $vgpr14_vgpr15
.LBB57_13:
	v_mov_b32_e32 v8, 0
	v_mov_b32_e32 v9, 0
	s_delay_alu instid0(VALU_DEP_1)
	v_dual_mov_b32 v11, v9 :: v_dual_mov_b32 v10, v8
	v_dual_mov_b32 v13, v9 :: v_dual_mov_b32 v12, v8
	;; [unrolled: 1-line block ×3, first 2 shown]
	s_and_saveexec_b32 s3, s2
	s_cbranch_execz .LBB57_17
; %bb.14:
	v_mov_b32_e32 v8, 0
	v_dual_mov_b32 v9, 0 :: v_dual_mov_b32 v18, 0
	v_mad_u64_u32 v[16:17], null, v6, 24, 23
	s_mov_b32 s2, 0
	s_delay_alu instid0(VALU_DEP_2)
	v_dual_mov_b32 v11, v9 :: v_dual_mov_b32 v10, v8
	v_dual_mov_b32 v13, v9 :: v_dual_mov_b32 v12, v8
	;; [unrolled: 1-line block ×3, first 2 shown]
.LBB57_15:                              ; =>This Inner Loop Header: Depth=1
	v_ashrrev_i32_e32 v7, 31, v6
	v_subrev_nc_u32_e32 v17, 23, v16
	v_dual_mov_b32 v43, v18 :: v_dual_add_nc_u32 v22, -5, v16
	v_mov_b32_e32 v23, v18
	s_delay_alu instid0(VALU_DEP_4)
	v_lshlrev_b64 v[19:20], 2, v[6:7]
	v_add_nc_u32_e32 v6, 4, v6
	v_lshlrev_b64 v[24:25], 3, v[17:18]
	v_add_nc_u32_e32 v17, -10, v16
	v_lshlrev_b64 v[22:23], 3, v[22:23]
	v_add_co_u32 v19, vcc_lo, s6, v19
	v_add_co_ci_u32_e32 v20, vcc_lo, s7, v20, vcc_lo
	v_add_co_u32 v44, vcc_lo, s8, v24
	v_add_co_ci_u32_e32 v45, vcc_lo, s9, v25, vcc_lo
	global_load_b32 v7, v[19:20], off
	v_dual_mov_b32 v20, v18 :: v_dual_add_nc_u32 v19, -11, v16
	v_lshlrev_b64 v[38:39], 3, v[17:18]
	v_add_nc_u32_e32 v17, -4, v16
	s_delay_alu instid0(VALU_DEP_3) | instskip(NEXT) | instid1(VALU_DEP_2)
	v_lshlrev_b64 v[19:20], 3, v[19:20]
	v_lshlrev_b64 v[40:41], 3, v[17:18]
	s_delay_alu instid0(VALU_DEP_2) | instskip(NEXT) | instid1(VALU_DEP_3)
	v_add_co_u32 v19, vcc_lo, s8, v19
	v_add_co_ci_u32_e32 v20, vcc_lo, s9, v20, vcc_lo
	v_add_co_u32 v34, vcc_lo, s8, v22
	v_add_co_ci_u32_e32 v35, vcc_lo, s9, v23, vcc_lo
	s_clause 0x3
	global_load_b128 v[22:25], v[44:45], off offset:48
	global_load_b128 v[26:29], v[44:45], off offset:16
	global_load_b128 v[30:33], v[44:45], off
	global_load_b64 v[19:20], v[19:20], off
	s_waitcnt vmcnt(4)
	v_subrev_nc_u32_e32 v7, s12, v7
	s_delay_alu instid0(VALU_DEP_1) | instskip(NEXT) | instid1(VALU_DEP_1)
	v_mul_lo_u32 v42, v7, 6
	v_lshlrev_b64 v[36:37], 3, v[42:43]
	v_add_nc_u32_e32 v17, 2, v42
	s_delay_alu instid0(VALU_DEP_2) | instskip(NEXT) | instid1(VALU_DEP_3)
	v_add_co_u32 v36, vcc_lo, s10, v36
	v_add_co_ci_u32_e32 v37, vcc_lo, s11, v37, vcc_lo
	v_add_co_u32 v38, vcc_lo, s8, v38
	global_load_b64 v[50:51], v[34:35], off
	global_load_b128 v[34:37], v[36:37], off
	v_add_co_ci_u32_e32 v39, vcc_lo, s9, v39, vcc_lo
	v_add_co_u32 v40, vcc_lo, s8, v40
	v_add_co_ci_u32_e32 v41, vcc_lo, s9, v41, vcc_lo
	s_clause 0x1
	global_load_b64 v[52:53], v[38:39], off
	global_load_b64 v[54:55], v[40:41], off
	v_lshlrev_b64 v[38:39], 3, v[17:18]
	v_add_nc_u32_e32 v17, -15, v16
	s_delay_alu instid0(VALU_DEP_1) | instskip(SKIP_1) | instid1(VALU_DEP_4)
	v_lshlrev_b64 v[40:41], 3, v[17:18]
	v_add_nc_u32_e32 v17, -9, v16
	v_add_co_u32 v38, vcc_lo, s10, v38
	v_add_co_ci_u32_e32 v39, vcc_lo, s11, v39, vcc_lo
	s_delay_alu instid0(VALU_DEP_3) | instskip(SKIP_3) | instid1(VALU_DEP_3)
	v_lshlrev_b64 v[46:47], 3, v[17:18]
	v_add_nc_u32_e32 v17, -3, v16
	v_add_co_u32 v48, vcc_lo, s8, v40
	v_add_co_ci_u32_e32 v49, vcc_lo, s9, v41, vcc_lo
	v_lshlrev_b64 v[40:41], 3, v[17:18]
	v_add_co_u32 v46, vcc_lo, s8, v46
	v_add_co_ci_u32_e32 v47, vcc_lo, s9, v47, vcc_lo
	v_add_nc_u32_e32 v17, -14, v16
	s_delay_alu instid0(VALU_DEP_4)
	v_add_co_u32 v56, vcc_lo, s8, v40
	v_add_co_ci_u32_e32 v57, vcc_lo, s9, v41, vcc_lo
	global_load_b128 v[38:41], v[38:39], off
	s_clause 0x2
	global_load_b64 v[58:59], v[48:49], off
	global_load_b64 v[60:61], v[46:47], off
	global_load_b64 v[56:57], v[56:57], off
	v_lshlrev_b64 v[46:47], 3, v[17:18]
	v_add_nc_u32_e32 v17, -8, v16
	s_delay_alu instid0(VALU_DEP_1) | instskip(SKIP_1) | instid1(VALU_DEP_4)
	v_lshlrev_b64 v[48:49], 3, v[17:18]
	v_add_nc_u32_e32 v17, -2, v16
	v_add_co_u32 v46, vcc_lo, s8, v46
	v_add_co_ci_u32_e32 v47, vcc_lo, s9, v47, vcc_lo
	s_delay_alu instid0(VALU_DEP_3) | instskip(SKIP_3) | instid1(VALU_DEP_4)
	v_lshlrev_b64 v[62:63], 3, v[17:18]
	v_add_co_u32 v48, vcc_lo, s8, v48
	v_add_co_ci_u32_e32 v49, vcc_lo, s9, v49, vcc_lo
	v_add_nc_u32_e32 v17, 4, v42
	v_add_co_u32 v62, vcc_lo, s8, v62
	v_add_co_ci_u32_e32 v63, vcc_lo, s9, v63, vcc_lo
	s_clause 0x2
	global_load_b64 v[64:65], v[46:47], off
	global_load_b64 v[66:67], v[48:49], off
	;; [unrolled: 1-line block ×3, first 2 shown]
	v_lshlrev_b64 v[42:43], 3, v[17:18]
	v_add_nc_u32_e32 v17, -13, v16
	s_delay_alu instid0(VALU_DEP_1) | instskip(SKIP_1) | instid1(VALU_DEP_4)
	v_lshlrev_b64 v[46:47], 3, v[17:18]
	v_add_nc_u32_e32 v17, -7, v16
	v_add_co_u32 v48, vcc_lo, s10, v42
	v_add_co_ci_u32_e32 v49, vcc_lo, s11, v43, vcc_lo
	s_delay_alu instid0(VALU_DEP_3) | instskip(SKIP_3) | instid1(VALU_DEP_3)
	v_lshlrev_b64 v[42:43], 3, v[17:18]
	v_add_nc_u32_e32 v17, -1, v16
	v_add_co_u32 v68, vcc_lo, s8, v46
	v_add_co_ci_u32_e32 v69, vcc_lo, s9, v47, vcc_lo
	v_lshlrev_b64 v[46:47], 3, v[17:18]
	v_add_co_u32 v70, vcc_lo, s8, v42
	v_add_co_ci_u32_e32 v71, vcc_lo, s9, v43, vcc_lo
	v_mov_b32_e32 v17, v18
	s_delay_alu instid0(VALU_DEP_4)
	v_add_co_u32 v72, vcc_lo, s8, v46
	v_add_co_ci_u32_e32 v73, vcc_lo, s9, v47, vcc_lo
	global_load_b128 v[42:45], v[44:45], off offset:32
	global_load_b128 v[46:49], v[48:49], off
	s_clause 0x2
	global_load_b64 v[68:69], v[68:69], off
	global_load_b64 v[70:71], v[70:71], off
	;; [unrolled: 1-line block ×3, first 2 shown]
	v_lshlrev_b64 v[74:75], 3, v[16:17]
	v_add_nc_u32_e32 v17, -12, v16
	s_delay_alu instid0(VALU_DEP_1) | instskip(SKIP_4) | instid1(VALU_DEP_4)
	v_lshlrev_b64 v[76:77], 3, v[17:18]
	v_add_nc_u32_e32 v17, -6, v16
	v_add_nc_u32_e32 v16, 0x60, v16
	v_add_co_u32 v74, vcc_lo, s8, v74
	v_add_co_ci_u32_e32 v75, vcc_lo, s9, v75, vcc_lo
	v_lshlrev_b64 v[78:79], 3, v[17:18]
	v_add_co_u32 v76, vcc_lo, s8, v76
	v_add_co_ci_u32_e32 v77, vcc_lo, s9, v77, vcc_lo
	s_delay_alu instid0(VALU_DEP_3) | instskip(NEXT) | instid1(VALU_DEP_4)
	v_add_co_u32 v78, vcc_lo, s8, v78
	v_add_co_ci_u32_e32 v79, vcc_lo, s9, v79, vcc_lo
	s_clause 0x2
	global_load_b64 v[76:77], v[76:77], off
	global_load_b64 v[78:79], v[78:79], off
	;; [unrolled: 1-line block ×3, first 2 shown]
	v_cmp_ge_i32_e32 vcc_lo, v6, v21
	s_or_b32 s2, vcc_lo, s2
	s_waitcnt vmcnt(17)
	v_fma_f64 v[7:8], v[30:31], v[34:35], v[8:9]
	v_fma_f64 v[14:15], v[22:23], v[34:35], v[14:15]
	;; [unrolled: 1-line block ×4, first 2 shown]
	s_delay_alu instid0(VALU_DEP_4) | instskip(NEXT) | instid1(VALU_DEP_4)
	v_fma_f64 v[7:8], v[32:33], v[36:37], v[7:8]
	v_fma_f64 v[14:15], v[24:25], v[36:37], v[14:15]
	s_waitcnt vmcnt(16)
	s_delay_alu instid0(VALU_DEP_4) | instskip(SKIP_1) | instid1(VALU_DEP_4)
	v_fma_f64 v[11:12], v[52:53], v[36:37], v[12:13]
	s_waitcnt vmcnt(15)
	v_fma_f64 v[9:10], v[54:55], v[36:37], v[9:10]
	s_waitcnt vmcnt(14)
	s_delay_alu instid0(VALU_DEP_4) | instskip(SKIP_1) | instid1(VALU_DEP_4)
	v_fma_f64 v[7:8], v[26:27], v[38:39], v[7:8]
	s_waitcnt vmcnt(13)
	;; [unrolled: 5-line block ×3, first 2 shown]
	v_fma_f64 v[9:10], v[56:57], v[38:39], v[9:10]
	s_delay_alu instid0(VALU_DEP_4) | instskip(SKIP_1) | instid1(VALU_DEP_4)
	v_fma_f64 v[7:8], v[28:29], v[40:41], v[7:8]
	s_waitcnt vmcnt(10)
	v_fma_f64 v[13:14], v[64:65], v[40:41], v[13:14]
	s_waitcnt vmcnt(9)
	s_delay_alu instid0(VALU_DEP_4) | instskip(SKIP_1) | instid1(VALU_DEP_4)
	v_fma_f64 v[11:12], v[66:67], v[40:41], v[11:12]
	s_waitcnt vmcnt(8)
	v_fma_f64 v[9:10], v[62:63], v[40:41], v[9:10]
	s_waitcnt vmcnt(6)
	;; [unrolled: 5-line block ×3, first 2 shown]
	s_delay_alu instid0(VALU_DEP_4) | instskip(SKIP_1) | instid1(VALU_DEP_4)
	v_fma_f64 v[11:12], v[70:71], v[46:47], v[11:12]
	s_waitcnt vmcnt(3)
	v_fma_f64 v[19:20], v[72:73], v[46:47], v[9:10]
	s_delay_alu instid0(VALU_DEP_4) | instskip(SKIP_1) | instid1(VALU_DEP_4)
	v_fma_f64 v[8:9], v[44:45], v[48:49], v[7:8]
	s_waitcnt vmcnt(2)
	v_fma_f64 v[14:15], v[76:77], v[48:49], v[13:14]
	s_waitcnt vmcnt(1)
	s_delay_alu instid0(VALU_DEP_4) | instskip(SKIP_1) | instid1(VALU_DEP_4)
	v_fma_f64 v[12:13], v[78:79], v[48:49], v[11:12]
	s_waitcnt vmcnt(0)
	v_fma_f64 v[10:11], v[74:75], v[48:49], v[19:20]
	s_and_not1_b32 exec_lo, exec_lo, s2
	s_cbranch_execnz .LBB57_15
; %bb.16:
	s_or_b32 exec_lo, exec_lo, s2
.LBB57_17:
	s_delay_alu instid0(SALU_CYCLE_1)
	s_or_b32 exec_lo, exec_lo, s3
.LBB57_18:
	v_mbcnt_lo_u32_b32 v24, -1, 0
	s_delay_alu instid0(VALU_DEP_1) | instskip(NEXT) | instid1(VALU_DEP_1)
	v_xor_b32_e32 v6, 2, v24
	v_cmp_gt_i32_e32 vcc_lo, 32, v6
	v_cndmask_b32_e32 v6, v24, v6, vcc_lo
	s_delay_alu instid0(VALU_DEP_1)
	v_lshlrev_b32_e32 v16, 2, v6
	ds_bpermute_b32 v6, v16, v8
	ds_bpermute_b32 v7, v16, v9
	;; [unrolled: 1-line block ×8, first 2 shown]
	s_waitcnt lgkmcnt(6)
	v_add_f64 v[16:17], v[8:9], v[6:7]
	s_waitcnt lgkmcnt(4)
	v_add_f64 v[8:9], v[14:15], v[18:19]
	;; [unrolled: 2-line block ×4, first 2 shown]
	v_xor_b32_e32 v10, 1, v24
	s_delay_alu instid0(VALU_DEP_1) | instskip(SKIP_2) | instid1(VALU_DEP_2)
	v_cmp_gt_i32_e32 vcc_lo, 32, v10
	v_cndmask_b32_e32 v10, v24, v10, vcc_lo
	v_cmp_eq_u32_e32 vcc_lo, 3, v0
	v_lshlrev_b32_e32 v19, 2, v10
	ds_bpermute_b32 v12, v19, v16
	ds_bpermute_b32 v13, v19, v17
	;; [unrolled: 1-line block ×8, first 2 shown]
	s_and_b32 exec_lo, exec_lo, vcc_lo
	s_cbranch_execz .LBB57_23
; %bb.19:
	s_waitcnt lgkmcnt(6)
	v_add_f64 v[12:13], v[16:17], v[12:13]
	s_waitcnt lgkmcnt(4)
	v_add_f64 v[10:11], v[8:9], v[10:11]
	s_waitcnt lgkmcnt(2)
	v_add_f64 v[8:9], v[6:7], v[20:21]
	s_waitcnt lgkmcnt(0)
	v_add_f64 v[6:7], v[14:15], v[18:19]
	s_load_b64 s[0:1], s[0:1], 0x38
	s_mov_b32 s2, exec_lo
	v_cmpx_eq_f64_e32 0, v[3:4]
	s_xor_b32 s2, exec_lo, s2
	s_cbranch_execz .LBB57_21
; %bb.20:
	v_mul_f64 v[12:13], v[1:2], v[12:13]
	v_mul_f64 v[14:15], v[1:2], v[10:11]
	v_mul_f64 v[8:9], v[1:2], v[8:9]
	v_mul_f64 v[10:11], v[1:2], v[6:7]
	v_lshlrev_b32_e32 v0, 2, v5
                                        ; implicit-def: $vgpr5
                                        ; implicit-def: $vgpr3_vgpr4
                                        ; implicit-def: $vgpr6_vgpr7
	s_delay_alu instid0(VALU_DEP_1) | instskip(NEXT) | instid1(VALU_DEP_1)
	v_ashrrev_i32_e32 v1, 31, v0
	v_lshlrev_b64 v[0:1], 3, v[0:1]
	s_waitcnt lgkmcnt(0)
	s_delay_alu instid0(VALU_DEP_1) | instskip(NEXT) | instid1(VALU_DEP_2)
	v_add_co_u32 v0, vcc_lo, s0, v0
	v_add_co_ci_u32_e32 v1, vcc_lo, s1, v1, vcc_lo
	s_clause 0x1
	global_store_b128 v[0:1], v[12:15], off
	global_store_b128 v[0:1], v[8:11], off offset:16
                                        ; implicit-def: $vgpr1_vgpr2
                                        ; implicit-def: $vgpr12_vgpr13
                                        ; implicit-def: $vgpr10_vgpr11
                                        ; implicit-def: $vgpr8_vgpr9
.LBB57_21:
	s_and_not1_saveexec_b32 s2, s2
	s_cbranch_execz .LBB57_23
; %bb.22:
	v_lshlrev_b32_e32 v14, 2, v5
	v_mul_f64 v[12:13], v[1:2], v[12:13]
	v_mul_f64 v[10:11], v[1:2], v[10:11]
	;; [unrolled: 1-line block ×4, first 2 shown]
	v_ashrrev_i32_e32 v15, 31, v14
	s_delay_alu instid0(VALU_DEP_1) | instskip(SKIP_1) | instid1(VALU_DEP_1)
	v_lshlrev_b64 v[14:15], 3, v[14:15]
	s_waitcnt lgkmcnt(0)
	v_add_co_u32 v22, vcc_lo, s0, v14
	s_delay_alu instid0(VALU_DEP_2)
	v_add_co_ci_u32_e32 v23, vcc_lo, s1, v15, vcc_lo
	s_clause 0x1
	global_load_b128 v[14:17], v[22:23], off
	global_load_b128 v[18:21], v[22:23], off offset:16
	s_waitcnt vmcnt(1)
	v_fma_f64 v[5:6], v[3:4], v[14:15], v[12:13]
	v_fma_f64 v[7:8], v[3:4], v[16:17], v[10:11]
	s_waitcnt vmcnt(0)
	v_fma_f64 v[0:1], v[3:4], v[18:19], v[24:25]
	v_fma_f64 v[2:3], v[3:4], v[20:21], v[26:27]
	s_clause 0x1
	global_store_b128 v[22:23], v[5:8], off
	global_store_b128 v[22:23], v[0:3], off offset:16
.LBB57_23:
	s_nop 0
	s_sendmsg sendmsg(MSG_DEALLOC_VGPRS)
	s_endpgm
	.section	.rodata,"a",@progbits
	.p2align	6, 0x0
	.amdhsa_kernel _ZN9rocsparseL19gebsrmvn_4xn_kernelILj128ELj6ELj4EdEEvi20rocsparse_direction_NS_24const_host_device_scalarIT2_EEPKiS6_PKS3_S8_S4_PS3_21rocsparse_index_base_b
		.amdhsa_group_segment_fixed_size 0
		.amdhsa_private_segment_fixed_size 0
		.amdhsa_kernarg_size 72
		.amdhsa_user_sgpr_count 15
		.amdhsa_user_sgpr_dispatch_ptr 0
		.amdhsa_user_sgpr_queue_ptr 0
		.amdhsa_user_sgpr_kernarg_segment_ptr 1
		.amdhsa_user_sgpr_dispatch_id 0
		.amdhsa_user_sgpr_private_segment_size 0
		.amdhsa_wavefront_size32 1
		.amdhsa_uses_dynamic_stack 0
		.amdhsa_enable_private_segment 0
		.amdhsa_system_sgpr_workgroup_id_x 1
		.amdhsa_system_sgpr_workgroup_id_y 0
		.amdhsa_system_sgpr_workgroup_id_z 0
		.amdhsa_system_sgpr_workgroup_info 0
		.amdhsa_system_vgpr_workitem_id 0
		.amdhsa_next_free_vgpr 82
		.amdhsa_next_free_sgpr 16
		.amdhsa_reserve_vcc 1
		.amdhsa_float_round_mode_32 0
		.amdhsa_float_round_mode_16_64 0
		.amdhsa_float_denorm_mode_32 3
		.amdhsa_float_denorm_mode_16_64 3
		.amdhsa_dx10_clamp 1
		.amdhsa_ieee_mode 1
		.amdhsa_fp16_overflow 0
		.amdhsa_workgroup_processor_mode 1
		.amdhsa_memory_ordered 1
		.amdhsa_forward_progress 0
		.amdhsa_shared_vgpr_count 0
		.amdhsa_exception_fp_ieee_invalid_op 0
		.amdhsa_exception_fp_denorm_src 0
		.amdhsa_exception_fp_ieee_div_zero 0
		.amdhsa_exception_fp_ieee_overflow 0
		.amdhsa_exception_fp_ieee_underflow 0
		.amdhsa_exception_fp_ieee_inexact 0
		.amdhsa_exception_int_div_zero 0
	.end_amdhsa_kernel
	.section	.text._ZN9rocsparseL19gebsrmvn_4xn_kernelILj128ELj6ELj4EdEEvi20rocsparse_direction_NS_24const_host_device_scalarIT2_EEPKiS6_PKS3_S8_S4_PS3_21rocsparse_index_base_b,"axG",@progbits,_ZN9rocsparseL19gebsrmvn_4xn_kernelILj128ELj6ELj4EdEEvi20rocsparse_direction_NS_24const_host_device_scalarIT2_EEPKiS6_PKS3_S8_S4_PS3_21rocsparse_index_base_b,comdat
.Lfunc_end57:
	.size	_ZN9rocsparseL19gebsrmvn_4xn_kernelILj128ELj6ELj4EdEEvi20rocsparse_direction_NS_24const_host_device_scalarIT2_EEPKiS6_PKS3_S8_S4_PS3_21rocsparse_index_base_b, .Lfunc_end57-_ZN9rocsparseL19gebsrmvn_4xn_kernelILj128ELj6ELj4EdEEvi20rocsparse_direction_NS_24const_host_device_scalarIT2_EEPKiS6_PKS3_S8_S4_PS3_21rocsparse_index_base_b
                                        ; -- End function
	.section	.AMDGPU.csdata,"",@progbits
; Kernel info:
; codeLenInByte = 2928
; NumSgprs: 18
; NumVgprs: 82
; ScratchSize: 0
; MemoryBound: 1
; FloatMode: 240
; IeeeMode: 1
; LDSByteSize: 0 bytes/workgroup (compile time only)
; SGPRBlocks: 2
; VGPRBlocks: 10
; NumSGPRsForWavesPerEU: 18
; NumVGPRsForWavesPerEU: 82
; Occupancy: 16
; WaveLimiterHint : 1
; COMPUTE_PGM_RSRC2:SCRATCH_EN: 0
; COMPUTE_PGM_RSRC2:USER_SGPR: 15
; COMPUTE_PGM_RSRC2:TRAP_HANDLER: 0
; COMPUTE_PGM_RSRC2:TGID_X_EN: 1
; COMPUTE_PGM_RSRC2:TGID_Y_EN: 0
; COMPUTE_PGM_RSRC2:TGID_Z_EN: 0
; COMPUTE_PGM_RSRC2:TIDIG_COMP_CNT: 0
	.section	.text._ZN9rocsparseL19gebsrmvn_4xn_kernelILj128ELj6ELj8EdEEvi20rocsparse_direction_NS_24const_host_device_scalarIT2_EEPKiS6_PKS3_S8_S4_PS3_21rocsparse_index_base_b,"axG",@progbits,_ZN9rocsparseL19gebsrmvn_4xn_kernelILj128ELj6ELj8EdEEvi20rocsparse_direction_NS_24const_host_device_scalarIT2_EEPKiS6_PKS3_S8_S4_PS3_21rocsparse_index_base_b,comdat
	.globl	_ZN9rocsparseL19gebsrmvn_4xn_kernelILj128ELj6ELj8EdEEvi20rocsparse_direction_NS_24const_host_device_scalarIT2_EEPKiS6_PKS3_S8_S4_PS3_21rocsparse_index_base_b ; -- Begin function _ZN9rocsparseL19gebsrmvn_4xn_kernelILj128ELj6ELj8EdEEvi20rocsparse_direction_NS_24const_host_device_scalarIT2_EEPKiS6_PKS3_S8_S4_PS3_21rocsparse_index_base_b
	.p2align	8
	.type	_ZN9rocsparseL19gebsrmvn_4xn_kernelILj128ELj6ELj8EdEEvi20rocsparse_direction_NS_24const_host_device_scalarIT2_EEPKiS6_PKS3_S8_S4_PS3_21rocsparse_index_base_b,@function
_ZN9rocsparseL19gebsrmvn_4xn_kernelILj128ELj6ELj8EdEEvi20rocsparse_direction_NS_24const_host_device_scalarIT2_EEPKiS6_PKS3_S8_S4_PS3_21rocsparse_index_base_b: ; @_ZN9rocsparseL19gebsrmvn_4xn_kernelILj128ELj6ELj8EdEEvi20rocsparse_direction_NS_24const_host_device_scalarIT2_EEPKiS6_PKS3_S8_S4_PS3_21rocsparse_index_base_b
; %bb.0:
	s_clause 0x2
	s_load_b64 s[12:13], s[0:1], 0x40
	s_load_b64 s[4:5], s[0:1], 0x8
	;; [unrolled: 1-line block ×3, first 2 shown]
	s_waitcnt lgkmcnt(0)
	s_bitcmp1_b32 s13, 0
	v_dual_mov_b32 v1, s4 :: v_dual_mov_b32 v2, s5
	s_cselect_b32 s6, -1, 0
	s_delay_alu instid0(SALU_CYCLE_1)
	s_and_b32 vcc_lo, exec_lo, s6
	s_xor_b32 s6, s6, -1
	s_cbranch_vccnz .LBB58_2
; %bb.1:
	v_dual_mov_b32 v1, s4 :: v_dual_mov_b32 v2, s5
	flat_load_b64 v[1:2], v[1:2]
.LBB58_2:
	v_dual_mov_b32 v4, s3 :: v_dual_mov_b32 v3, s2
	s_and_not1_b32 vcc_lo, exec_lo, s6
	s_cbranch_vccnz .LBB58_4
; %bb.3:
	v_dual_mov_b32 v4, s3 :: v_dual_mov_b32 v3, s2
	flat_load_b64 v[3:4], v[3:4]
.LBB58_4:
	s_waitcnt vmcnt(0) lgkmcnt(0)
	v_cmp_neq_f64_e32 vcc_lo, 0, v[1:2]
	v_cmp_neq_f64_e64 s2, 1.0, v[3:4]
	s_delay_alu instid0(VALU_DEP_1) | instskip(NEXT) | instid1(SALU_CYCLE_1)
	s_or_b32 s2, vcc_lo, s2
	s_and_saveexec_b32 s3, s2
	s_cbranch_execz .LBB58_23
; %bb.5:
	s_load_b64 s[2:3], s[0:1], 0x0
	v_lshrrev_b32_e32 v5, 3, v0
	s_delay_alu instid0(VALU_DEP_1) | instskip(SKIP_1) | instid1(VALU_DEP_1)
	v_lshl_or_b32 v5, s15, 4, v5
	s_waitcnt lgkmcnt(0)
	v_cmp_gt_i32_e32 vcc_lo, s2, v5
	s_and_b32 exec_lo, exec_lo, vcc_lo
	s_cbranch_execz .LBB58_23
; %bb.6:
	s_load_b256 s[4:11], s[0:1], 0x10
	v_ashrrev_i32_e32 v6, 31, v5
	v_and_b32_e32 v0, 7, v0
	s_cmp_lg_u32 s3, 0
	s_delay_alu instid0(VALU_DEP_2) | instskip(SKIP_1) | instid1(VALU_DEP_1)
	v_lshlrev_b64 v[6:7], 2, v[5:6]
	s_waitcnt lgkmcnt(0)
	v_add_co_u32 v6, vcc_lo, s4, v6
	s_delay_alu instid0(VALU_DEP_2) | instskip(SKIP_4) | instid1(VALU_DEP_2)
	v_add_co_ci_u32_e32 v7, vcc_lo, s5, v7, vcc_lo
	global_load_b64 v[6:7], v[6:7], off
	s_waitcnt vmcnt(0)
	v_subrev_nc_u32_e32 v6, s12, v6
	v_subrev_nc_u32_e32 v21, s12, v7
	v_add_nc_u32_e32 v8, v6, v0
	s_delay_alu instid0(VALU_DEP_1)
	v_cmp_lt_i32_e64 s2, v8, v21
	s_cbranch_scc0 .LBB58_12
; %bb.7:
	v_mov_b32_e32 v6, 0
	v_mov_b32_e32 v7, 0
	s_delay_alu instid0(VALU_DEP_1)
	v_dual_mov_b32 v11, v7 :: v_dual_mov_b32 v10, v6
	v_dual_mov_b32 v13, v7 :: v_dual_mov_b32 v12, v6
	;; [unrolled: 1-line block ×3, first 2 shown]
	s_and_saveexec_b32 s3, s2
	s_cbranch_execz .LBB58_11
; %bb.8:
	v_dual_mov_b32 v6, 0 :: v_dual_mov_b32 v19, v8
	v_dual_mov_b32 v7, 0 :: v_dual_mov_b32 v18, 0
	v_mad_u64_u32 v[16:17], null, v8, 24, 20
	s_mov_b32 s4, 0
	s_delay_alu instid0(VALU_DEP_2)
	v_dual_mov_b32 v11, v7 :: v_dual_mov_b32 v10, v6
	v_dual_mov_b32 v13, v7 :: v_dual_mov_b32 v12, v6
	;; [unrolled: 1-line block ×3, first 2 shown]
.LBB58_9:                               ; =>This Inner Loop Header: Depth=1
	v_ashrrev_i32_e32 v20, 31, v19
	v_subrev_nc_u32_e32 v17, 20, v16
	v_mov_b32_e32 v63, v18
	s_delay_alu instid0(VALU_DEP_3) | instskip(SKIP_1) | instid1(VALU_DEP_2)
	v_lshlrev_b64 v[22:23], 2, v[19:20]
	v_add_nc_u32_e32 v19, 8, v19
	v_add_co_u32 v22, vcc_lo, s6, v22
	s_delay_alu instid0(VALU_DEP_3) | instskip(SKIP_3) | instid1(VALU_DEP_1)
	v_add_co_ci_u32_e32 v23, vcc_lo, s7, v23, vcc_lo
	global_load_b32 v9, v[22:23], off
	v_lshlrev_b64 v[22:23], 3, v[17:18]
	v_add_nc_u32_e32 v17, -12, v16
	v_lshlrev_b64 v[42:43], 3, v[17:18]
	s_delay_alu instid0(VALU_DEP_3) | instskip(NEXT) | instid1(VALU_DEP_4)
	v_add_co_u32 v38, vcc_lo, s8, v22
	v_add_co_ci_u32_e32 v39, vcc_lo, s9, v23, vcc_lo
	global_load_b128 v[22:25], v[38:39], off offset:16
	s_waitcnt vmcnt(1)
	v_subrev_nc_u32_e32 v9, s12, v9
	s_delay_alu instid0(VALU_DEP_1) | instskip(NEXT) | instid1(VALU_DEP_1)
	v_mul_lo_u32 v62, v9, 6
	v_lshlrev_b64 v[26:27], 3, v[62:63]
	v_add_nc_u32_e32 v17, 2, v62
	s_delay_alu instid0(VALU_DEP_1) | instskip(NEXT) | instid1(VALU_DEP_3)
	v_lshlrev_b64 v[48:49], 3, v[17:18]
	v_add_co_u32 v30, vcc_lo, s10, v26
	s_delay_alu instid0(VALU_DEP_4)
	v_add_co_ci_u32_e32 v31, vcc_lo, s11, v27, vcc_lo
	v_add_co_u32 v46, vcc_lo, s8, v42
	global_load_b128 v[26:29], v[38:39], off
	global_load_b128 v[30:33], v[30:31], off
	s_clause 0x1
	global_load_b128 v[34:37], v[38:39], off offset:48
	global_load_b128 v[38:41], v[38:39], off offset:32
	v_add_co_ci_u32_e32 v47, vcc_lo, s9, v43, vcc_lo
	v_add_co_u32 v50, vcc_lo, s10, v48
	v_add_co_ci_u32_e32 v51, vcc_lo, s11, v49, vcc_lo
	s_clause 0x1
	global_load_b128 v[42:45], v[46:47], off offset:16
	global_load_b128 v[46:49], v[46:47], off
	global_load_b128 v[50:53], v[50:51], off
	v_add_nc_u32_e32 v17, -8, v16
	s_delay_alu instid0(VALU_DEP_1) | instskip(SKIP_1) | instid1(VALU_DEP_2)
	v_lshlrev_b64 v[54:55], 3, v[17:18]
	v_add_nc_u32_e32 v17, -4, v16
	v_add_co_u32 v58, vcc_lo, s8, v54
	s_delay_alu instid0(VALU_DEP_3)
	v_add_co_ci_u32_e32 v59, vcc_lo, s9, v55, vcc_lo
	s_clause 0x1
	global_load_b128 v[54:57], v[58:59], off
	global_load_b128 v[58:61], v[58:59], off offset:16
	v_lshlrev_b64 v[63:64], 3, v[17:18]
	v_add_nc_u32_e32 v17, 4, v62
	s_delay_alu instid0(VALU_DEP_1) | instskip(NEXT) | instid1(VALU_DEP_3)
	v_lshlrev_b64 v[65:66], 3, v[17:18]
	v_add_co_u32 v67, vcc_lo, s8, v63
	s_delay_alu instid0(VALU_DEP_4) | instskip(SKIP_1) | instid1(VALU_DEP_4)
	v_add_co_ci_u32_e32 v68, vcc_lo, s9, v64, vcc_lo
	v_mov_b32_e32 v17, v18
	v_add_co_u32 v70, vcc_lo, s10, v65
	v_add_co_ci_u32_e32 v71, vcc_lo, s11, v66, vcc_lo
	s_clause 0x1
	global_load_b128 v[62:65], v[67:68], off offset:16
	global_load_b128 v[66:69], v[67:68], off
	global_load_b128 v[70:73], v[70:71], off
	v_lshlrev_b64 v[74:75], 3, v[16:17]
	v_add_nc_u32_e32 v16, 0xc0, v16
	s_delay_alu instid0(VALU_DEP_2) | instskip(NEXT) | instid1(VALU_DEP_3)
	v_add_co_u32 v78, vcc_lo, s8, v74
	v_add_co_ci_u32_e32 v79, vcc_lo, s9, v75, vcc_lo
	s_clause 0x1
	global_load_b128 v[74:77], v[78:79], off
	global_load_b128 v[78:81], v[78:79], off offset:16
	v_cmp_ge_i32_e32 vcc_lo, v19, v21
	s_or_b32 s4, vcc_lo, s4
	s_waitcnt vmcnt(12)
	v_fma_f64 v[6:7], v[26:27], v[30:31], v[6:7]
	v_fma_f64 v[14:15], v[28:29], v[30:31], v[14:15]
	;; [unrolled: 1-line block ×4, first 2 shown]
	s_waitcnt vmcnt(10)
	s_delay_alu instid0(VALU_DEP_4) | instskip(NEXT) | instid1(VALU_DEP_4)
	v_fma_f64 v[6:7], v[38:39], v[32:33], v[6:7]
	v_fma_f64 v[14:15], v[40:41], v[32:33], v[14:15]
	s_delay_alu instid0(VALU_DEP_4) | instskip(NEXT) | instid1(VALU_DEP_4)
	v_fma_f64 v[11:12], v[34:35], v[32:33], v[12:13]
	v_fma_f64 v[9:10], v[36:37], v[32:33], v[9:10]
	s_waitcnt vmcnt(7)
	s_delay_alu instid0(VALU_DEP_4) | instskip(NEXT) | instid1(VALU_DEP_4)
	v_fma_f64 v[6:7], v[46:47], v[50:51], v[6:7]
	v_fma_f64 v[13:14], v[48:49], v[50:51], v[14:15]
	s_delay_alu instid0(VALU_DEP_4) | instskip(NEXT) | instid1(VALU_DEP_4)
	v_fma_f64 v[11:12], v[42:43], v[50:51], v[11:12]
	v_fma_f64 v[9:10], v[44:45], v[50:51], v[9:10]
	s_waitcnt vmcnt(6)
	s_delay_alu instid0(VALU_DEP_4) | instskip(NEXT) | instid1(VALU_DEP_4)
	v_fma_f64 v[6:7], v[54:55], v[52:53], v[6:7]
	v_fma_f64 v[13:14], v[56:57], v[52:53], v[13:14]
	s_waitcnt vmcnt(5)
	;; [unrolled: 4-line block ×3, first 2 shown]
	s_delay_alu instid0(VALU_DEP_4) | instskip(NEXT) | instid1(VALU_DEP_4)
	v_fma_f64 v[6:7], v[66:67], v[70:71], v[6:7]
	v_fma_f64 v[13:14], v[68:69], v[70:71], v[13:14]
	s_delay_alu instid0(VALU_DEP_4) | instskip(NEXT) | instid1(VALU_DEP_4)
	v_fma_f64 v[11:12], v[62:63], v[70:71], v[11:12]
	v_fma_f64 v[9:10], v[64:65], v[70:71], v[9:10]
	s_waitcnt vmcnt(1)
	s_delay_alu instid0(VALU_DEP_4) | instskip(NEXT) | instid1(VALU_DEP_4)
	v_fma_f64 v[6:7], v[74:75], v[72:73], v[6:7]
	v_fma_f64 v[14:15], v[76:77], v[72:73], v[13:14]
	s_waitcnt vmcnt(0)
	s_delay_alu instid0(VALU_DEP_4) | instskip(NEXT) | instid1(VALU_DEP_4)
	v_fma_f64 v[12:13], v[78:79], v[72:73], v[11:12]
	v_fma_f64 v[10:11], v[80:81], v[72:73], v[9:10]
	s_and_not1_b32 exec_lo, exec_lo, s4
	s_cbranch_execnz .LBB58_9
; %bb.10:
	s_or_b32 exec_lo, exec_lo, s4
.LBB58_11:
	s_delay_alu instid0(SALU_CYCLE_1)
	s_or_b32 exec_lo, exec_lo, s3
	s_cbranch_execz .LBB58_13
	s_branch .LBB58_18
.LBB58_12:
                                        ; implicit-def: $vgpr6_vgpr7
                                        ; implicit-def: $vgpr10_vgpr11
                                        ; implicit-def: $vgpr12_vgpr13
                                        ; implicit-def: $vgpr14_vgpr15
.LBB58_13:
	v_mov_b32_e32 v6, 0
	v_mov_b32_e32 v7, 0
	s_delay_alu instid0(VALU_DEP_1)
	v_dual_mov_b32 v11, v7 :: v_dual_mov_b32 v10, v6
	v_dual_mov_b32 v13, v7 :: v_dual_mov_b32 v12, v6
	;; [unrolled: 1-line block ×3, first 2 shown]
	s_and_saveexec_b32 s3, s2
	s_cbranch_execz .LBB58_17
; %bb.14:
	v_mov_b32_e32 v6, 0
	v_dual_mov_b32 v7, 0 :: v_dual_mov_b32 v18, 0
	v_mad_u64_u32 v[16:17], null, v8, 24, 23
	s_mov_b32 s2, 0
	s_delay_alu instid0(VALU_DEP_2)
	v_dual_mov_b32 v11, v7 :: v_dual_mov_b32 v10, v6
	v_dual_mov_b32 v13, v7 :: v_dual_mov_b32 v12, v6
	;; [unrolled: 1-line block ×3, first 2 shown]
.LBB58_15:                              ; =>This Inner Loop Header: Depth=1
	v_ashrrev_i32_e32 v9, 31, v8
	v_subrev_nc_u32_e32 v17, 23, v16
	v_dual_mov_b32 v43, v18 :: v_dual_add_nc_u32 v22, -5, v16
	v_mov_b32_e32 v23, v18
	s_delay_alu instid0(VALU_DEP_4)
	v_lshlrev_b64 v[19:20], 2, v[8:9]
	v_add_nc_u32_e32 v8, 8, v8
	v_lshlrev_b64 v[24:25], 3, v[17:18]
	v_add_nc_u32_e32 v17, -10, v16
	v_lshlrev_b64 v[22:23], 3, v[22:23]
	v_add_co_u32 v19, vcc_lo, s6, v19
	v_add_co_ci_u32_e32 v20, vcc_lo, s7, v20, vcc_lo
	v_add_co_u32 v44, vcc_lo, s8, v24
	v_add_co_ci_u32_e32 v45, vcc_lo, s9, v25, vcc_lo
	global_load_b32 v9, v[19:20], off
	v_dual_mov_b32 v20, v18 :: v_dual_add_nc_u32 v19, -11, v16
	v_lshlrev_b64 v[38:39], 3, v[17:18]
	v_add_nc_u32_e32 v17, -4, v16
	s_delay_alu instid0(VALU_DEP_3) | instskip(NEXT) | instid1(VALU_DEP_2)
	v_lshlrev_b64 v[19:20], 3, v[19:20]
	v_lshlrev_b64 v[40:41], 3, v[17:18]
	s_delay_alu instid0(VALU_DEP_2) | instskip(NEXT) | instid1(VALU_DEP_3)
	v_add_co_u32 v19, vcc_lo, s8, v19
	v_add_co_ci_u32_e32 v20, vcc_lo, s9, v20, vcc_lo
	v_add_co_u32 v34, vcc_lo, s8, v22
	v_add_co_ci_u32_e32 v35, vcc_lo, s9, v23, vcc_lo
	s_clause 0x3
	global_load_b128 v[22:25], v[44:45], off offset:48
	global_load_b128 v[26:29], v[44:45], off offset:16
	global_load_b128 v[30:33], v[44:45], off
	global_load_b64 v[19:20], v[19:20], off
	s_waitcnt vmcnt(4)
	v_subrev_nc_u32_e32 v9, s12, v9
	s_delay_alu instid0(VALU_DEP_1) | instskip(NEXT) | instid1(VALU_DEP_1)
	v_mul_lo_u32 v42, v9, 6
	v_lshlrev_b64 v[36:37], 3, v[42:43]
	v_add_nc_u32_e32 v17, 2, v42
	s_delay_alu instid0(VALU_DEP_2) | instskip(NEXT) | instid1(VALU_DEP_3)
	v_add_co_u32 v36, vcc_lo, s10, v36
	v_add_co_ci_u32_e32 v37, vcc_lo, s11, v37, vcc_lo
	v_add_co_u32 v38, vcc_lo, s8, v38
	global_load_b64 v[50:51], v[34:35], off
	global_load_b128 v[34:37], v[36:37], off
	v_add_co_ci_u32_e32 v39, vcc_lo, s9, v39, vcc_lo
	v_add_co_u32 v40, vcc_lo, s8, v40
	v_add_co_ci_u32_e32 v41, vcc_lo, s9, v41, vcc_lo
	s_clause 0x1
	global_load_b64 v[52:53], v[38:39], off
	global_load_b64 v[54:55], v[40:41], off
	v_lshlrev_b64 v[38:39], 3, v[17:18]
	v_add_nc_u32_e32 v17, -15, v16
	s_delay_alu instid0(VALU_DEP_1) | instskip(SKIP_1) | instid1(VALU_DEP_4)
	v_lshlrev_b64 v[40:41], 3, v[17:18]
	v_add_nc_u32_e32 v17, -9, v16
	v_add_co_u32 v38, vcc_lo, s10, v38
	v_add_co_ci_u32_e32 v39, vcc_lo, s11, v39, vcc_lo
	s_delay_alu instid0(VALU_DEP_3) | instskip(SKIP_3) | instid1(VALU_DEP_3)
	v_lshlrev_b64 v[46:47], 3, v[17:18]
	v_add_nc_u32_e32 v17, -3, v16
	v_add_co_u32 v48, vcc_lo, s8, v40
	v_add_co_ci_u32_e32 v49, vcc_lo, s9, v41, vcc_lo
	v_lshlrev_b64 v[40:41], 3, v[17:18]
	v_add_co_u32 v46, vcc_lo, s8, v46
	v_add_co_ci_u32_e32 v47, vcc_lo, s9, v47, vcc_lo
	v_add_nc_u32_e32 v17, -14, v16
	s_delay_alu instid0(VALU_DEP_4)
	v_add_co_u32 v56, vcc_lo, s8, v40
	v_add_co_ci_u32_e32 v57, vcc_lo, s9, v41, vcc_lo
	global_load_b128 v[38:41], v[38:39], off
	s_clause 0x2
	global_load_b64 v[58:59], v[48:49], off
	global_load_b64 v[60:61], v[46:47], off
	;; [unrolled: 1-line block ×3, first 2 shown]
	v_lshlrev_b64 v[46:47], 3, v[17:18]
	v_add_nc_u32_e32 v17, -8, v16
	s_delay_alu instid0(VALU_DEP_1) | instskip(SKIP_1) | instid1(VALU_DEP_4)
	v_lshlrev_b64 v[48:49], 3, v[17:18]
	v_add_nc_u32_e32 v17, -2, v16
	v_add_co_u32 v46, vcc_lo, s8, v46
	v_add_co_ci_u32_e32 v47, vcc_lo, s9, v47, vcc_lo
	s_delay_alu instid0(VALU_DEP_3) | instskip(SKIP_3) | instid1(VALU_DEP_4)
	v_lshlrev_b64 v[62:63], 3, v[17:18]
	v_add_co_u32 v48, vcc_lo, s8, v48
	v_add_co_ci_u32_e32 v49, vcc_lo, s9, v49, vcc_lo
	v_add_nc_u32_e32 v17, 4, v42
	v_add_co_u32 v62, vcc_lo, s8, v62
	v_add_co_ci_u32_e32 v63, vcc_lo, s9, v63, vcc_lo
	s_clause 0x2
	global_load_b64 v[64:65], v[46:47], off
	global_load_b64 v[66:67], v[48:49], off
	;; [unrolled: 1-line block ×3, first 2 shown]
	v_lshlrev_b64 v[42:43], 3, v[17:18]
	v_add_nc_u32_e32 v17, -13, v16
	s_delay_alu instid0(VALU_DEP_1) | instskip(SKIP_1) | instid1(VALU_DEP_4)
	v_lshlrev_b64 v[46:47], 3, v[17:18]
	v_add_nc_u32_e32 v17, -7, v16
	v_add_co_u32 v48, vcc_lo, s10, v42
	v_add_co_ci_u32_e32 v49, vcc_lo, s11, v43, vcc_lo
	s_delay_alu instid0(VALU_DEP_3) | instskip(SKIP_3) | instid1(VALU_DEP_3)
	v_lshlrev_b64 v[42:43], 3, v[17:18]
	v_add_nc_u32_e32 v17, -1, v16
	v_add_co_u32 v68, vcc_lo, s8, v46
	v_add_co_ci_u32_e32 v69, vcc_lo, s9, v47, vcc_lo
	v_lshlrev_b64 v[46:47], 3, v[17:18]
	v_add_co_u32 v70, vcc_lo, s8, v42
	v_add_co_ci_u32_e32 v71, vcc_lo, s9, v43, vcc_lo
	v_mov_b32_e32 v17, v18
	s_delay_alu instid0(VALU_DEP_4)
	v_add_co_u32 v72, vcc_lo, s8, v46
	v_add_co_ci_u32_e32 v73, vcc_lo, s9, v47, vcc_lo
	global_load_b128 v[42:45], v[44:45], off offset:32
	global_load_b128 v[46:49], v[48:49], off
	s_clause 0x2
	global_load_b64 v[68:69], v[68:69], off
	global_load_b64 v[70:71], v[70:71], off
	;; [unrolled: 1-line block ×3, first 2 shown]
	v_lshlrev_b64 v[74:75], 3, v[16:17]
	v_add_nc_u32_e32 v17, -12, v16
	s_delay_alu instid0(VALU_DEP_1) | instskip(SKIP_4) | instid1(VALU_DEP_4)
	v_lshlrev_b64 v[76:77], 3, v[17:18]
	v_add_nc_u32_e32 v17, -6, v16
	v_add_nc_u32_e32 v16, 0xc0, v16
	v_add_co_u32 v74, vcc_lo, s8, v74
	v_add_co_ci_u32_e32 v75, vcc_lo, s9, v75, vcc_lo
	v_lshlrev_b64 v[78:79], 3, v[17:18]
	v_add_co_u32 v76, vcc_lo, s8, v76
	v_add_co_ci_u32_e32 v77, vcc_lo, s9, v77, vcc_lo
	s_delay_alu instid0(VALU_DEP_3) | instskip(NEXT) | instid1(VALU_DEP_4)
	v_add_co_u32 v78, vcc_lo, s8, v78
	v_add_co_ci_u32_e32 v79, vcc_lo, s9, v79, vcc_lo
	s_clause 0x2
	global_load_b64 v[76:77], v[76:77], off
	global_load_b64 v[78:79], v[78:79], off
	;; [unrolled: 1-line block ×3, first 2 shown]
	v_cmp_ge_i32_e32 vcc_lo, v8, v21
	s_or_b32 s2, vcc_lo, s2
	s_waitcnt vmcnt(17)
	v_fma_f64 v[6:7], v[30:31], v[34:35], v[6:7]
	v_fma_f64 v[14:15], v[22:23], v[34:35], v[14:15]
	v_fma_f64 v[12:13], v[19:20], v[34:35], v[12:13]
	v_fma_f64 v[9:10], v[50:51], v[34:35], v[10:11]
	s_delay_alu instid0(VALU_DEP_4) | instskip(NEXT) | instid1(VALU_DEP_4)
	v_fma_f64 v[6:7], v[32:33], v[36:37], v[6:7]
	v_fma_f64 v[14:15], v[24:25], v[36:37], v[14:15]
	s_waitcnt vmcnt(16)
	s_delay_alu instid0(VALU_DEP_4) | instskip(SKIP_1) | instid1(VALU_DEP_4)
	v_fma_f64 v[11:12], v[52:53], v[36:37], v[12:13]
	s_waitcnt vmcnt(15)
	v_fma_f64 v[9:10], v[54:55], v[36:37], v[9:10]
	s_waitcnt vmcnt(14)
	s_delay_alu instid0(VALU_DEP_4) | instskip(SKIP_1) | instid1(VALU_DEP_4)
	v_fma_f64 v[6:7], v[26:27], v[38:39], v[6:7]
	s_waitcnt vmcnt(13)
	;; [unrolled: 5-line block ×3, first 2 shown]
	v_fma_f64 v[9:10], v[56:57], v[38:39], v[9:10]
	s_delay_alu instid0(VALU_DEP_4) | instskip(SKIP_1) | instid1(VALU_DEP_4)
	v_fma_f64 v[6:7], v[28:29], v[40:41], v[6:7]
	s_waitcnt vmcnt(10)
	v_fma_f64 v[13:14], v[64:65], v[40:41], v[13:14]
	s_waitcnt vmcnt(9)
	s_delay_alu instid0(VALU_DEP_4) | instskip(SKIP_1) | instid1(VALU_DEP_4)
	v_fma_f64 v[11:12], v[66:67], v[40:41], v[11:12]
	s_waitcnt vmcnt(8)
	v_fma_f64 v[9:10], v[62:63], v[40:41], v[9:10]
	s_waitcnt vmcnt(6)
	;; [unrolled: 5-line block ×3, first 2 shown]
	s_delay_alu instid0(VALU_DEP_4) | instskip(SKIP_1) | instid1(VALU_DEP_4)
	v_fma_f64 v[11:12], v[70:71], v[46:47], v[11:12]
	s_waitcnt vmcnt(3)
	v_fma_f64 v[9:10], v[72:73], v[46:47], v[9:10]
	s_delay_alu instid0(VALU_DEP_4) | instskip(SKIP_1) | instid1(VALU_DEP_4)
	v_fma_f64 v[6:7], v[44:45], v[48:49], v[6:7]
	s_waitcnt vmcnt(2)
	v_fma_f64 v[14:15], v[76:77], v[48:49], v[13:14]
	s_waitcnt vmcnt(1)
	s_delay_alu instid0(VALU_DEP_4) | instskip(SKIP_1) | instid1(VALU_DEP_4)
	v_fma_f64 v[12:13], v[78:79], v[48:49], v[11:12]
	s_waitcnt vmcnt(0)
	v_fma_f64 v[10:11], v[74:75], v[48:49], v[9:10]
	s_and_not1_b32 exec_lo, exec_lo, s2
	s_cbranch_execnz .LBB58_15
; %bb.16:
	s_or_b32 exec_lo, exec_lo, s2
.LBB58_17:
	s_delay_alu instid0(SALU_CYCLE_1)
	s_or_b32 exec_lo, exec_lo, s3
.LBB58_18:
	v_mbcnt_lo_u32_b32 v22, -1, 0
	s_delay_alu instid0(VALU_DEP_1) | instskip(NEXT) | instid1(VALU_DEP_1)
	v_xor_b32_e32 v8, 4, v22
	v_cmp_gt_i32_e32 vcc_lo, 32, v8
	v_cndmask_b32_e32 v8, v22, v8, vcc_lo
	s_delay_alu instid0(VALU_DEP_1)
	v_lshlrev_b32_e32 v21, 2, v8
	ds_bpermute_b32 v8, v21, v6
	ds_bpermute_b32 v9, v21, v7
	ds_bpermute_b32 v16, v21, v14
	ds_bpermute_b32 v17, v21, v15
	ds_bpermute_b32 v18, v21, v12
	ds_bpermute_b32 v19, v21, v13
	ds_bpermute_b32 v20, v21, v10
	ds_bpermute_b32 v21, v21, v11
	s_waitcnt lgkmcnt(6)
	v_add_f64 v[6:7], v[6:7], v[8:9]
	s_waitcnt lgkmcnt(4)
	v_add_f64 v[8:9], v[14:15], v[16:17]
	;; [unrolled: 2-line block ×4, first 2 shown]
	v_xor_b32_e32 v10, 2, v22
	s_delay_alu instid0(VALU_DEP_1) | instskip(SKIP_1) | instid1(VALU_DEP_1)
	v_cmp_gt_i32_e32 vcc_lo, 32, v10
	v_cndmask_b32_e32 v10, v22, v10, vcc_lo
	v_lshlrev_b32_e32 v21, 2, v10
	ds_bpermute_b32 v10, v21, v6
	ds_bpermute_b32 v11, v21, v7
	;; [unrolled: 1-line block ×8, first 2 shown]
	s_waitcnt lgkmcnt(6)
	v_add_f64 v[10:11], v[6:7], v[10:11]
	s_waitcnt lgkmcnt(4)
	v_add_f64 v[8:9], v[8:9], v[16:17]
	;; [unrolled: 2-line block ×3, first 2 shown]
	v_xor_b32_e32 v12, 1, v22
	s_waitcnt lgkmcnt(0)
	v_add_f64 v[14:15], v[14:15], v[20:21]
	s_delay_alu instid0(VALU_DEP_2) | instskip(SKIP_2) | instid1(VALU_DEP_2)
	v_cmp_gt_i32_e32 vcc_lo, 32, v12
	v_cndmask_b32_e32 v12, v22, v12, vcc_lo
	v_cmp_eq_u32_e32 vcc_lo, 7, v0
	v_lshlrev_b32_e32 v17, 2, v12
	ds_bpermute_b32 v12, v17, v10
	ds_bpermute_b32 v13, v17, v11
	;; [unrolled: 1-line block ×8, first 2 shown]
	s_and_b32 exec_lo, exec_lo, vcc_lo
	s_cbranch_execz .LBB58_23
; %bb.19:
	s_waitcnt lgkmcnt(6)
	v_add_f64 v[12:13], v[10:11], v[12:13]
	s_waitcnt lgkmcnt(4)
	v_add_f64 v[10:11], v[8:9], v[20:21]
	;; [unrolled: 2-line block ×4, first 2 shown]
	s_load_b64 s[0:1], s[0:1], 0x38
	s_mov_b32 s2, exec_lo
	v_cmpx_eq_f64_e32 0, v[3:4]
	s_xor_b32 s2, exec_lo, s2
	s_cbranch_execz .LBB58_21
; %bb.20:
	v_mul_f64 v[12:13], v[1:2], v[12:13]
	v_mul_f64 v[14:15], v[1:2], v[10:11]
	;; [unrolled: 1-line block ×4, first 2 shown]
	v_lshlrev_b32_e32 v0, 2, v5
                                        ; implicit-def: $vgpr5
                                        ; implicit-def: $vgpr3_vgpr4
                                        ; implicit-def: $vgpr6_vgpr7
	s_delay_alu instid0(VALU_DEP_1) | instskip(NEXT) | instid1(VALU_DEP_1)
	v_ashrrev_i32_e32 v1, 31, v0
	v_lshlrev_b64 v[0:1], 3, v[0:1]
	s_waitcnt lgkmcnt(0)
	s_delay_alu instid0(VALU_DEP_1) | instskip(NEXT) | instid1(VALU_DEP_2)
	v_add_co_u32 v0, vcc_lo, s0, v0
	v_add_co_ci_u32_e32 v1, vcc_lo, s1, v1, vcc_lo
	s_clause 0x1
	global_store_b128 v[0:1], v[12:15], off
	global_store_b128 v[0:1], v[8:11], off offset:16
                                        ; implicit-def: $vgpr1_vgpr2
                                        ; implicit-def: $vgpr12_vgpr13
                                        ; implicit-def: $vgpr10_vgpr11
                                        ; implicit-def: $vgpr8_vgpr9
.LBB58_21:
	s_and_not1_saveexec_b32 s2, s2
	s_cbranch_execz .LBB58_23
; %bb.22:
	v_lshlrev_b32_e32 v14, 2, v5
	v_mul_f64 v[12:13], v[1:2], v[12:13]
	v_mul_f64 v[10:11], v[1:2], v[10:11]
	;; [unrolled: 1-line block ×4, first 2 shown]
	v_ashrrev_i32_e32 v15, 31, v14
	s_delay_alu instid0(VALU_DEP_1) | instskip(SKIP_1) | instid1(VALU_DEP_1)
	v_lshlrev_b64 v[14:15], 3, v[14:15]
	s_waitcnt lgkmcnt(0)
	v_add_co_u32 v22, vcc_lo, s0, v14
	s_delay_alu instid0(VALU_DEP_2)
	v_add_co_ci_u32_e32 v23, vcc_lo, s1, v15, vcc_lo
	s_clause 0x1
	global_load_b128 v[14:17], v[22:23], off
	global_load_b128 v[18:21], v[22:23], off offset:16
	s_waitcnt vmcnt(1)
	v_fma_f64 v[5:6], v[3:4], v[14:15], v[12:13]
	v_fma_f64 v[7:8], v[3:4], v[16:17], v[10:11]
	s_waitcnt vmcnt(0)
	v_fma_f64 v[0:1], v[3:4], v[18:19], v[24:25]
	v_fma_f64 v[2:3], v[3:4], v[20:21], v[26:27]
	s_clause 0x1
	global_store_b128 v[22:23], v[5:8], off
	global_store_b128 v[22:23], v[0:3], off offset:16
.LBB58_23:
	s_nop 0
	s_sendmsg sendmsg(MSG_DEALLOC_VGPRS)
	s_endpgm
	.section	.rodata,"a",@progbits
	.p2align	6, 0x0
	.amdhsa_kernel _ZN9rocsparseL19gebsrmvn_4xn_kernelILj128ELj6ELj8EdEEvi20rocsparse_direction_NS_24const_host_device_scalarIT2_EEPKiS6_PKS3_S8_S4_PS3_21rocsparse_index_base_b
		.amdhsa_group_segment_fixed_size 0
		.amdhsa_private_segment_fixed_size 0
		.amdhsa_kernarg_size 72
		.amdhsa_user_sgpr_count 15
		.amdhsa_user_sgpr_dispatch_ptr 0
		.amdhsa_user_sgpr_queue_ptr 0
		.amdhsa_user_sgpr_kernarg_segment_ptr 1
		.amdhsa_user_sgpr_dispatch_id 0
		.amdhsa_user_sgpr_private_segment_size 0
		.amdhsa_wavefront_size32 1
		.amdhsa_uses_dynamic_stack 0
		.amdhsa_enable_private_segment 0
		.amdhsa_system_sgpr_workgroup_id_x 1
		.amdhsa_system_sgpr_workgroup_id_y 0
		.amdhsa_system_sgpr_workgroup_id_z 0
		.amdhsa_system_sgpr_workgroup_info 0
		.amdhsa_system_vgpr_workitem_id 0
		.amdhsa_next_free_vgpr 82
		.amdhsa_next_free_sgpr 16
		.amdhsa_reserve_vcc 1
		.amdhsa_float_round_mode_32 0
		.amdhsa_float_round_mode_16_64 0
		.amdhsa_float_denorm_mode_32 3
		.amdhsa_float_denorm_mode_16_64 3
		.amdhsa_dx10_clamp 1
		.amdhsa_ieee_mode 1
		.amdhsa_fp16_overflow 0
		.amdhsa_workgroup_processor_mode 1
		.amdhsa_memory_ordered 1
		.amdhsa_forward_progress 0
		.amdhsa_shared_vgpr_count 0
		.amdhsa_exception_fp_ieee_invalid_op 0
		.amdhsa_exception_fp_denorm_src 0
		.amdhsa_exception_fp_ieee_div_zero 0
		.amdhsa_exception_fp_ieee_overflow 0
		.amdhsa_exception_fp_ieee_underflow 0
		.amdhsa_exception_fp_ieee_inexact 0
		.amdhsa_exception_int_div_zero 0
	.end_amdhsa_kernel
	.section	.text._ZN9rocsparseL19gebsrmvn_4xn_kernelILj128ELj6ELj8EdEEvi20rocsparse_direction_NS_24const_host_device_scalarIT2_EEPKiS6_PKS3_S8_S4_PS3_21rocsparse_index_base_b,"axG",@progbits,_ZN9rocsparseL19gebsrmvn_4xn_kernelILj128ELj6ELj8EdEEvi20rocsparse_direction_NS_24const_host_device_scalarIT2_EEPKiS6_PKS3_S8_S4_PS3_21rocsparse_index_base_b,comdat
.Lfunc_end58:
	.size	_ZN9rocsparseL19gebsrmvn_4xn_kernelILj128ELj6ELj8EdEEvi20rocsparse_direction_NS_24const_host_device_scalarIT2_EEPKiS6_PKS3_S8_S4_PS3_21rocsparse_index_base_b, .Lfunc_end58-_ZN9rocsparseL19gebsrmvn_4xn_kernelILj128ELj6ELj8EdEEvi20rocsparse_direction_NS_24const_host_device_scalarIT2_EEPKiS6_PKS3_S8_S4_PS3_21rocsparse_index_base_b
                                        ; -- End function
	.section	.AMDGPU.csdata,"",@progbits
; Kernel info:
; codeLenInByte = 3060
; NumSgprs: 18
; NumVgprs: 82
; ScratchSize: 0
; MemoryBound: 1
; FloatMode: 240
; IeeeMode: 1
; LDSByteSize: 0 bytes/workgroup (compile time only)
; SGPRBlocks: 2
; VGPRBlocks: 10
; NumSGPRsForWavesPerEU: 18
; NumVGPRsForWavesPerEU: 82
; Occupancy: 16
; WaveLimiterHint : 1
; COMPUTE_PGM_RSRC2:SCRATCH_EN: 0
; COMPUTE_PGM_RSRC2:USER_SGPR: 15
; COMPUTE_PGM_RSRC2:TRAP_HANDLER: 0
; COMPUTE_PGM_RSRC2:TGID_X_EN: 1
; COMPUTE_PGM_RSRC2:TGID_Y_EN: 0
; COMPUTE_PGM_RSRC2:TGID_Z_EN: 0
; COMPUTE_PGM_RSRC2:TIDIG_COMP_CNT: 0
	.section	.text._ZN9rocsparseL19gebsrmvn_4xn_kernelILj128ELj6ELj16EdEEvi20rocsparse_direction_NS_24const_host_device_scalarIT2_EEPKiS6_PKS3_S8_S4_PS3_21rocsparse_index_base_b,"axG",@progbits,_ZN9rocsparseL19gebsrmvn_4xn_kernelILj128ELj6ELj16EdEEvi20rocsparse_direction_NS_24const_host_device_scalarIT2_EEPKiS6_PKS3_S8_S4_PS3_21rocsparse_index_base_b,comdat
	.globl	_ZN9rocsparseL19gebsrmvn_4xn_kernelILj128ELj6ELj16EdEEvi20rocsparse_direction_NS_24const_host_device_scalarIT2_EEPKiS6_PKS3_S8_S4_PS3_21rocsparse_index_base_b ; -- Begin function _ZN9rocsparseL19gebsrmvn_4xn_kernelILj128ELj6ELj16EdEEvi20rocsparse_direction_NS_24const_host_device_scalarIT2_EEPKiS6_PKS3_S8_S4_PS3_21rocsparse_index_base_b
	.p2align	8
	.type	_ZN9rocsparseL19gebsrmvn_4xn_kernelILj128ELj6ELj16EdEEvi20rocsparse_direction_NS_24const_host_device_scalarIT2_EEPKiS6_PKS3_S8_S4_PS3_21rocsparse_index_base_b,@function
_ZN9rocsparseL19gebsrmvn_4xn_kernelILj128ELj6ELj16EdEEvi20rocsparse_direction_NS_24const_host_device_scalarIT2_EEPKiS6_PKS3_S8_S4_PS3_21rocsparse_index_base_b: ; @_ZN9rocsparseL19gebsrmvn_4xn_kernelILj128ELj6ELj16EdEEvi20rocsparse_direction_NS_24const_host_device_scalarIT2_EEPKiS6_PKS3_S8_S4_PS3_21rocsparse_index_base_b
; %bb.0:
	s_clause 0x2
	s_load_b64 s[12:13], s[0:1], 0x40
	s_load_b64 s[4:5], s[0:1], 0x8
	;; [unrolled: 1-line block ×3, first 2 shown]
	s_waitcnt lgkmcnt(0)
	s_bitcmp1_b32 s13, 0
	v_dual_mov_b32 v1, s4 :: v_dual_mov_b32 v2, s5
	s_cselect_b32 s6, -1, 0
	s_delay_alu instid0(SALU_CYCLE_1)
	s_and_b32 vcc_lo, exec_lo, s6
	s_xor_b32 s6, s6, -1
	s_cbranch_vccnz .LBB59_2
; %bb.1:
	v_dual_mov_b32 v1, s4 :: v_dual_mov_b32 v2, s5
	flat_load_b64 v[1:2], v[1:2]
.LBB59_2:
	v_dual_mov_b32 v4, s3 :: v_dual_mov_b32 v3, s2
	s_and_not1_b32 vcc_lo, exec_lo, s6
	s_cbranch_vccnz .LBB59_4
; %bb.3:
	v_dual_mov_b32 v4, s3 :: v_dual_mov_b32 v3, s2
	flat_load_b64 v[3:4], v[3:4]
.LBB59_4:
	s_waitcnt vmcnt(0) lgkmcnt(0)
	v_cmp_neq_f64_e32 vcc_lo, 0, v[1:2]
	v_cmp_neq_f64_e64 s2, 1.0, v[3:4]
	s_delay_alu instid0(VALU_DEP_1) | instskip(NEXT) | instid1(SALU_CYCLE_1)
	s_or_b32 s2, vcc_lo, s2
	s_and_saveexec_b32 s3, s2
	s_cbranch_execz .LBB59_23
; %bb.5:
	s_load_b64 s[2:3], s[0:1], 0x0
	v_lshrrev_b32_e32 v5, 4, v0
	s_delay_alu instid0(VALU_DEP_1) | instskip(SKIP_1) | instid1(VALU_DEP_1)
	v_lshl_or_b32 v5, s15, 3, v5
	s_waitcnt lgkmcnt(0)
	v_cmp_gt_i32_e32 vcc_lo, s2, v5
	s_and_b32 exec_lo, exec_lo, vcc_lo
	s_cbranch_execz .LBB59_23
; %bb.6:
	s_load_b256 s[4:11], s[0:1], 0x10
	v_ashrrev_i32_e32 v6, 31, v5
	v_and_b32_e32 v0, 15, v0
	s_cmp_lg_u32 s3, 0
	s_delay_alu instid0(VALU_DEP_2) | instskip(SKIP_1) | instid1(VALU_DEP_1)
	v_lshlrev_b64 v[6:7], 2, v[5:6]
	s_waitcnt lgkmcnt(0)
	v_add_co_u32 v6, vcc_lo, s4, v6
	s_delay_alu instid0(VALU_DEP_2) | instskip(SKIP_4) | instid1(VALU_DEP_2)
	v_add_co_ci_u32_e32 v7, vcc_lo, s5, v7, vcc_lo
	global_load_b64 v[6:7], v[6:7], off
	s_waitcnt vmcnt(0)
	v_subrev_nc_u32_e32 v6, s12, v6
	v_subrev_nc_u32_e32 v21, s12, v7
	v_add_nc_u32_e32 v12, v6, v0
	s_delay_alu instid0(VALU_DEP_1)
	v_cmp_lt_i32_e64 s2, v12, v21
	s_cbranch_scc0 .LBB59_12
; %bb.7:
	v_mov_b32_e32 v6, 0
	v_mov_b32_e32 v7, 0
	s_delay_alu instid0(VALU_DEP_1)
	v_dual_mov_b32 v9, v7 :: v_dual_mov_b32 v8, v6
	v_dual_mov_b32 v11, v7 :: v_dual_mov_b32 v10, v6
	v_dual_mov_b32 v15, v7 :: v_dual_mov_b32 v14, v6
	s_and_saveexec_b32 s3, s2
	s_cbranch_execz .LBB59_11
; %bb.8:
	v_dual_mov_b32 v6, 0 :: v_dual_mov_b32 v19, v12
	v_dual_mov_b32 v7, 0 :: v_dual_mov_b32 v18, 0
	v_mad_u64_u32 v[16:17], null, v12, 24, 20
	s_mov_b32 s4, 0
	s_delay_alu instid0(VALU_DEP_2)
	v_dual_mov_b32 v9, v7 :: v_dual_mov_b32 v8, v6
	v_dual_mov_b32 v11, v7 :: v_dual_mov_b32 v10, v6
	;; [unrolled: 1-line block ×3, first 2 shown]
.LBB59_9:                               ; =>This Inner Loop Header: Depth=1
	v_ashrrev_i32_e32 v20, 31, v19
	v_subrev_nc_u32_e32 v17, 20, v16
	v_mov_b32_e32 v63, v18
	s_delay_alu instid0(VALU_DEP_3) | instskip(SKIP_1) | instid1(VALU_DEP_2)
	v_lshlrev_b64 v[22:23], 2, v[19:20]
	v_add_nc_u32_e32 v19, 16, v19
	v_add_co_u32 v22, vcc_lo, s6, v22
	s_delay_alu instid0(VALU_DEP_3) | instskip(SKIP_3) | instid1(VALU_DEP_1)
	v_add_co_ci_u32_e32 v23, vcc_lo, s7, v23, vcc_lo
	global_load_b32 v13, v[22:23], off
	v_lshlrev_b64 v[22:23], 3, v[17:18]
	v_add_nc_u32_e32 v17, -12, v16
	v_lshlrev_b64 v[42:43], 3, v[17:18]
	s_delay_alu instid0(VALU_DEP_3) | instskip(NEXT) | instid1(VALU_DEP_4)
	v_add_co_u32 v38, vcc_lo, s8, v22
	v_add_co_ci_u32_e32 v39, vcc_lo, s9, v23, vcc_lo
	global_load_b128 v[22:25], v[38:39], off offset:16
	s_waitcnt vmcnt(1)
	v_subrev_nc_u32_e32 v13, s12, v13
	s_delay_alu instid0(VALU_DEP_1) | instskip(NEXT) | instid1(VALU_DEP_1)
	v_mul_lo_u32 v62, v13, 6
	v_lshlrev_b64 v[26:27], 3, v[62:63]
	v_add_nc_u32_e32 v17, 2, v62
	s_delay_alu instid0(VALU_DEP_1) | instskip(NEXT) | instid1(VALU_DEP_3)
	v_lshlrev_b64 v[48:49], 3, v[17:18]
	v_add_co_u32 v30, vcc_lo, s10, v26
	s_delay_alu instid0(VALU_DEP_4)
	v_add_co_ci_u32_e32 v31, vcc_lo, s11, v27, vcc_lo
	v_add_co_u32 v46, vcc_lo, s8, v42
	global_load_b128 v[26:29], v[38:39], off
	global_load_b128 v[30:33], v[30:31], off
	s_clause 0x1
	global_load_b128 v[34:37], v[38:39], off offset:48
	global_load_b128 v[38:41], v[38:39], off offset:32
	v_add_co_ci_u32_e32 v47, vcc_lo, s9, v43, vcc_lo
	v_add_co_u32 v50, vcc_lo, s10, v48
	v_add_co_ci_u32_e32 v51, vcc_lo, s11, v49, vcc_lo
	s_clause 0x1
	global_load_b128 v[42:45], v[46:47], off offset:16
	global_load_b128 v[46:49], v[46:47], off
	global_load_b128 v[50:53], v[50:51], off
	v_add_nc_u32_e32 v17, -8, v16
	s_delay_alu instid0(VALU_DEP_1) | instskip(SKIP_1) | instid1(VALU_DEP_2)
	v_lshlrev_b64 v[54:55], 3, v[17:18]
	v_add_nc_u32_e32 v17, -4, v16
	v_add_co_u32 v58, vcc_lo, s8, v54
	s_delay_alu instid0(VALU_DEP_3)
	v_add_co_ci_u32_e32 v59, vcc_lo, s9, v55, vcc_lo
	s_clause 0x1
	global_load_b128 v[54:57], v[58:59], off
	global_load_b128 v[58:61], v[58:59], off offset:16
	v_lshlrev_b64 v[63:64], 3, v[17:18]
	v_add_nc_u32_e32 v17, 4, v62
	s_delay_alu instid0(VALU_DEP_1) | instskip(NEXT) | instid1(VALU_DEP_3)
	v_lshlrev_b64 v[65:66], 3, v[17:18]
	v_add_co_u32 v67, vcc_lo, s8, v63
	s_delay_alu instid0(VALU_DEP_4) | instskip(SKIP_1) | instid1(VALU_DEP_4)
	v_add_co_ci_u32_e32 v68, vcc_lo, s9, v64, vcc_lo
	v_mov_b32_e32 v17, v18
	v_add_co_u32 v70, vcc_lo, s10, v65
	v_add_co_ci_u32_e32 v71, vcc_lo, s11, v66, vcc_lo
	s_clause 0x1
	global_load_b128 v[62:65], v[67:68], off offset:16
	global_load_b128 v[66:69], v[67:68], off
	global_load_b128 v[70:73], v[70:71], off
	v_lshlrev_b64 v[74:75], 3, v[16:17]
	v_add_nc_u32_e32 v16, 0x180, v16
	s_delay_alu instid0(VALU_DEP_2) | instskip(NEXT) | instid1(VALU_DEP_3)
	v_add_co_u32 v78, vcc_lo, s8, v74
	v_add_co_ci_u32_e32 v79, vcc_lo, s9, v75, vcc_lo
	s_clause 0x1
	global_load_b128 v[74:77], v[78:79], off
	global_load_b128 v[78:81], v[78:79], off offset:16
	v_cmp_ge_i32_e32 vcc_lo, v19, v21
	s_or_b32 s4, vcc_lo, s4
	s_waitcnt vmcnt(12)
	v_fma_f64 v[6:7], v[26:27], v[30:31], v[6:7]
	v_fma_f64 v[13:14], v[28:29], v[30:31], v[14:15]
	;; [unrolled: 1-line block ×4, first 2 shown]
	s_waitcnt vmcnt(10)
	s_delay_alu instid0(VALU_DEP_4) | instskip(NEXT) | instid1(VALU_DEP_4)
	v_fma_f64 v[6:7], v[38:39], v[32:33], v[6:7]
	v_fma_f64 v[13:14], v[40:41], v[32:33], v[13:14]
	s_delay_alu instid0(VALU_DEP_4) | instskip(NEXT) | instid1(VALU_DEP_4)
	v_fma_f64 v[10:11], v[34:35], v[32:33], v[10:11]
	v_fma_f64 v[8:9], v[36:37], v[32:33], v[8:9]
	s_waitcnt vmcnt(7)
	s_delay_alu instid0(VALU_DEP_4) | instskip(NEXT) | instid1(VALU_DEP_4)
	v_fma_f64 v[6:7], v[46:47], v[50:51], v[6:7]
	v_fma_f64 v[13:14], v[48:49], v[50:51], v[13:14]
	s_delay_alu instid0(VALU_DEP_4) | instskip(NEXT) | instid1(VALU_DEP_4)
	v_fma_f64 v[10:11], v[42:43], v[50:51], v[10:11]
	v_fma_f64 v[8:9], v[44:45], v[50:51], v[8:9]
	s_waitcnt vmcnt(6)
	s_delay_alu instid0(VALU_DEP_4) | instskip(NEXT) | instid1(VALU_DEP_4)
	v_fma_f64 v[6:7], v[54:55], v[52:53], v[6:7]
	v_fma_f64 v[13:14], v[56:57], v[52:53], v[13:14]
	s_waitcnt vmcnt(5)
	;; [unrolled: 4-line block ×3, first 2 shown]
	s_delay_alu instid0(VALU_DEP_4) | instskip(NEXT) | instid1(VALU_DEP_4)
	v_fma_f64 v[6:7], v[66:67], v[70:71], v[6:7]
	v_fma_f64 v[13:14], v[68:69], v[70:71], v[13:14]
	s_delay_alu instid0(VALU_DEP_4) | instskip(NEXT) | instid1(VALU_DEP_4)
	v_fma_f64 v[10:11], v[62:63], v[70:71], v[10:11]
	v_fma_f64 v[8:9], v[64:65], v[70:71], v[8:9]
	s_waitcnt vmcnt(1)
	s_delay_alu instid0(VALU_DEP_4) | instskip(NEXT) | instid1(VALU_DEP_4)
	v_fma_f64 v[6:7], v[74:75], v[72:73], v[6:7]
	v_fma_f64 v[14:15], v[76:77], v[72:73], v[13:14]
	s_waitcnt vmcnt(0)
	s_delay_alu instid0(VALU_DEP_4) | instskip(NEXT) | instid1(VALU_DEP_4)
	v_fma_f64 v[10:11], v[78:79], v[72:73], v[10:11]
	v_fma_f64 v[8:9], v[80:81], v[72:73], v[8:9]
	s_and_not1_b32 exec_lo, exec_lo, s4
	s_cbranch_execnz .LBB59_9
; %bb.10:
	s_or_b32 exec_lo, exec_lo, s4
.LBB59_11:
	s_delay_alu instid0(SALU_CYCLE_1)
	s_or_b32 exec_lo, exec_lo, s3
	s_cbranch_execz .LBB59_13
	s_branch .LBB59_18
.LBB59_12:
                                        ; implicit-def: $vgpr6_vgpr7
                                        ; implicit-def: $vgpr8_vgpr9
                                        ; implicit-def: $vgpr10_vgpr11
                                        ; implicit-def: $vgpr14_vgpr15
.LBB59_13:
	v_mov_b32_e32 v6, 0
	v_mov_b32_e32 v7, 0
	s_delay_alu instid0(VALU_DEP_1)
	v_dual_mov_b32 v9, v7 :: v_dual_mov_b32 v8, v6
	v_dual_mov_b32 v11, v7 :: v_dual_mov_b32 v10, v6
	;; [unrolled: 1-line block ×3, first 2 shown]
	s_and_saveexec_b32 s3, s2
	s_cbranch_execz .LBB59_17
; %bb.14:
	v_mov_b32_e32 v6, 0
	v_dual_mov_b32 v7, 0 :: v_dual_mov_b32 v18, 0
	v_mad_u64_u32 v[16:17], null, v12, 24, 23
	s_mov_b32 s2, 0
	s_delay_alu instid0(VALU_DEP_2)
	v_dual_mov_b32 v9, v7 :: v_dual_mov_b32 v8, v6
	v_dual_mov_b32 v11, v7 :: v_dual_mov_b32 v10, v6
	;; [unrolled: 1-line block ×3, first 2 shown]
.LBB59_15:                              ; =>This Inner Loop Header: Depth=1
	v_ashrrev_i32_e32 v13, 31, v12
	v_subrev_nc_u32_e32 v17, 23, v16
	v_dual_mov_b32 v43, v18 :: v_dual_add_nc_u32 v22, -5, v16
	v_mov_b32_e32 v23, v18
	s_delay_alu instid0(VALU_DEP_4)
	v_lshlrev_b64 v[19:20], 2, v[12:13]
	v_add_nc_u32_e32 v12, 16, v12
	v_lshlrev_b64 v[24:25], 3, v[17:18]
	v_add_nc_u32_e32 v17, -10, v16
	v_lshlrev_b64 v[22:23], 3, v[22:23]
	v_add_co_u32 v19, vcc_lo, s6, v19
	v_add_co_ci_u32_e32 v20, vcc_lo, s7, v20, vcc_lo
	v_add_co_u32 v44, vcc_lo, s8, v24
	v_add_co_ci_u32_e32 v45, vcc_lo, s9, v25, vcc_lo
	global_load_b32 v13, v[19:20], off
	v_dual_mov_b32 v20, v18 :: v_dual_add_nc_u32 v19, -11, v16
	v_lshlrev_b64 v[38:39], 3, v[17:18]
	v_add_nc_u32_e32 v17, -4, v16
	s_delay_alu instid0(VALU_DEP_3) | instskip(NEXT) | instid1(VALU_DEP_2)
	v_lshlrev_b64 v[19:20], 3, v[19:20]
	v_lshlrev_b64 v[40:41], 3, v[17:18]
	s_delay_alu instid0(VALU_DEP_2) | instskip(NEXT) | instid1(VALU_DEP_3)
	v_add_co_u32 v19, vcc_lo, s8, v19
	v_add_co_ci_u32_e32 v20, vcc_lo, s9, v20, vcc_lo
	v_add_co_u32 v34, vcc_lo, s8, v22
	v_add_co_ci_u32_e32 v35, vcc_lo, s9, v23, vcc_lo
	s_clause 0x3
	global_load_b128 v[22:25], v[44:45], off offset:48
	global_load_b128 v[26:29], v[44:45], off offset:16
	global_load_b128 v[30:33], v[44:45], off
	global_load_b64 v[19:20], v[19:20], off
	s_waitcnt vmcnt(4)
	v_subrev_nc_u32_e32 v13, s12, v13
	s_delay_alu instid0(VALU_DEP_1) | instskip(NEXT) | instid1(VALU_DEP_1)
	v_mul_lo_u32 v42, v13, 6
	v_lshlrev_b64 v[36:37], 3, v[42:43]
	v_add_nc_u32_e32 v17, 2, v42
	s_delay_alu instid0(VALU_DEP_2) | instskip(NEXT) | instid1(VALU_DEP_3)
	v_add_co_u32 v36, vcc_lo, s10, v36
	v_add_co_ci_u32_e32 v37, vcc_lo, s11, v37, vcc_lo
	v_add_co_u32 v38, vcc_lo, s8, v38
	global_load_b64 v[50:51], v[34:35], off
	global_load_b128 v[34:37], v[36:37], off
	v_add_co_ci_u32_e32 v39, vcc_lo, s9, v39, vcc_lo
	v_add_co_u32 v40, vcc_lo, s8, v40
	v_add_co_ci_u32_e32 v41, vcc_lo, s9, v41, vcc_lo
	s_clause 0x1
	global_load_b64 v[52:53], v[38:39], off
	global_load_b64 v[54:55], v[40:41], off
	v_lshlrev_b64 v[38:39], 3, v[17:18]
	v_add_nc_u32_e32 v17, -15, v16
	s_delay_alu instid0(VALU_DEP_1) | instskip(SKIP_1) | instid1(VALU_DEP_4)
	v_lshlrev_b64 v[40:41], 3, v[17:18]
	v_add_nc_u32_e32 v17, -9, v16
	v_add_co_u32 v38, vcc_lo, s10, v38
	v_add_co_ci_u32_e32 v39, vcc_lo, s11, v39, vcc_lo
	s_delay_alu instid0(VALU_DEP_3) | instskip(SKIP_3) | instid1(VALU_DEP_3)
	v_lshlrev_b64 v[46:47], 3, v[17:18]
	v_add_nc_u32_e32 v17, -3, v16
	v_add_co_u32 v48, vcc_lo, s8, v40
	v_add_co_ci_u32_e32 v49, vcc_lo, s9, v41, vcc_lo
	v_lshlrev_b64 v[40:41], 3, v[17:18]
	v_add_co_u32 v46, vcc_lo, s8, v46
	v_add_co_ci_u32_e32 v47, vcc_lo, s9, v47, vcc_lo
	v_add_nc_u32_e32 v17, -14, v16
	s_delay_alu instid0(VALU_DEP_4)
	v_add_co_u32 v56, vcc_lo, s8, v40
	v_add_co_ci_u32_e32 v57, vcc_lo, s9, v41, vcc_lo
	global_load_b128 v[38:41], v[38:39], off
	s_clause 0x2
	global_load_b64 v[58:59], v[48:49], off
	global_load_b64 v[60:61], v[46:47], off
	global_load_b64 v[56:57], v[56:57], off
	v_lshlrev_b64 v[46:47], 3, v[17:18]
	v_add_nc_u32_e32 v17, -8, v16
	s_delay_alu instid0(VALU_DEP_1) | instskip(SKIP_1) | instid1(VALU_DEP_4)
	v_lshlrev_b64 v[48:49], 3, v[17:18]
	v_add_nc_u32_e32 v17, -2, v16
	v_add_co_u32 v46, vcc_lo, s8, v46
	v_add_co_ci_u32_e32 v47, vcc_lo, s9, v47, vcc_lo
	s_delay_alu instid0(VALU_DEP_3) | instskip(SKIP_3) | instid1(VALU_DEP_4)
	v_lshlrev_b64 v[62:63], 3, v[17:18]
	v_add_co_u32 v48, vcc_lo, s8, v48
	v_add_co_ci_u32_e32 v49, vcc_lo, s9, v49, vcc_lo
	v_add_nc_u32_e32 v17, 4, v42
	v_add_co_u32 v62, vcc_lo, s8, v62
	v_add_co_ci_u32_e32 v63, vcc_lo, s9, v63, vcc_lo
	s_clause 0x2
	global_load_b64 v[64:65], v[46:47], off
	global_load_b64 v[66:67], v[48:49], off
	;; [unrolled: 1-line block ×3, first 2 shown]
	v_lshlrev_b64 v[42:43], 3, v[17:18]
	v_add_nc_u32_e32 v17, -13, v16
	s_delay_alu instid0(VALU_DEP_1) | instskip(SKIP_1) | instid1(VALU_DEP_4)
	v_lshlrev_b64 v[46:47], 3, v[17:18]
	v_add_nc_u32_e32 v17, -7, v16
	v_add_co_u32 v48, vcc_lo, s10, v42
	v_add_co_ci_u32_e32 v49, vcc_lo, s11, v43, vcc_lo
	s_delay_alu instid0(VALU_DEP_3) | instskip(SKIP_3) | instid1(VALU_DEP_3)
	v_lshlrev_b64 v[42:43], 3, v[17:18]
	v_add_nc_u32_e32 v17, -1, v16
	v_add_co_u32 v68, vcc_lo, s8, v46
	v_add_co_ci_u32_e32 v69, vcc_lo, s9, v47, vcc_lo
	v_lshlrev_b64 v[46:47], 3, v[17:18]
	v_add_co_u32 v70, vcc_lo, s8, v42
	v_add_co_ci_u32_e32 v71, vcc_lo, s9, v43, vcc_lo
	v_mov_b32_e32 v17, v18
	s_delay_alu instid0(VALU_DEP_4)
	v_add_co_u32 v72, vcc_lo, s8, v46
	v_add_co_ci_u32_e32 v73, vcc_lo, s9, v47, vcc_lo
	global_load_b128 v[42:45], v[44:45], off offset:32
	global_load_b128 v[46:49], v[48:49], off
	s_clause 0x2
	global_load_b64 v[68:69], v[68:69], off
	global_load_b64 v[70:71], v[70:71], off
	;; [unrolled: 1-line block ×3, first 2 shown]
	v_lshlrev_b64 v[74:75], 3, v[16:17]
	v_add_nc_u32_e32 v17, -12, v16
	s_delay_alu instid0(VALU_DEP_1) | instskip(SKIP_4) | instid1(VALU_DEP_4)
	v_lshlrev_b64 v[76:77], 3, v[17:18]
	v_add_nc_u32_e32 v17, -6, v16
	v_add_nc_u32_e32 v16, 0x180, v16
	v_add_co_u32 v74, vcc_lo, s8, v74
	v_add_co_ci_u32_e32 v75, vcc_lo, s9, v75, vcc_lo
	v_lshlrev_b64 v[78:79], 3, v[17:18]
	v_add_co_u32 v76, vcc_lo, s8, v76
	v_add_co_ci_u32_e32 v77, vcc_lo, s9, v77, vcc_lo
	s_delay_alu instid0(VALU_DEP_3) | instskip(NEXT) | instid1(VALU_DEP_4)
	v_add_co_u32 v78, vcc_lo, s8, v78
	v_add_co_ci_u32_e32 v79, vcc_lo, s9, v79, vcc_lo
	s_clause 0x2
	global_load_b64 v[76:77], v[76:77], off
	global_load_b64 v[78:79], v[78:79], off
	;; [unrolled: 1-line block ×3, first 2 shown]
	v_cmp_ge_i32_e32 vcc_lo, v12, v21
	s_or_b32 s2, vcc_lo, s2
	s_waitcnt vmcnt(17)
	v_fma_f64 v[6:7], v[30:31], v[34:35], v[6:7]
	v_fma_f64 v[13:14], v[22:23], v[34:35], v[14:15]
	;; [unrolled: 1-line block ×4, first 2 shown]
	s_delay_alu instid0(VALU_DEP_4) | instskip(NEXT) | instid1(VALU_DEP_4)
	v_fma_f64 v[6:7], v[32:33], v[36:37], v[6:7]
	v_fma_f64 v[13:14], v[24:25], v[36:37], v[13:14]
	s_waitcnt vmcnt(16)
	s_delay_alu instid0(VALU_DEP_4) | instskip(SKIP_1) | instid1(VALU_DEP_4)
	v_fma_f64 v[10:11], v[52:53], v[36:37], v[10:11]
	s_waitcnt vmcnt(15)
	v_fma_f64 v[8:9], v[54:55], v[36:37], v[8:9]
	s_waitcnt vmcnt(14)
	s_delay_alu instid0(VALU_DEP_4) | instskip(SKIP_1) | instid1(VALU_DEP_4)
	v_fma_f64 v[6:7], v[26:27], v[38:39], v[6:7]
	s_waitcnt vmcnt(13)
	;; [unrolled: 5-line block ×3, first 2 shown]
	v_fma_f64 v[8:9], v[56:57], v[38:39], v[8:9]
	s_delay_alu instid0(VALU_DEP_4) | instskip(SKIP_1) | instid1(VALU_DEP_4)
	v_fma_f64 v[6:7], v[28:29], v[40:41], v[6:7]
	s_waitcnt vmcnt(10)
	v_fma_f64 v[13:14], v[64:65], v[40:41], v[13:14]
	s_waitcnt vmcnt(9)
	s_delay_alu instid0(VALU_DEP_4) | instskip(SKIP_1) | instid1(VALU_DEP_4)
	v_fma_f64 v[10:11], v[66:67], v[40:41], v[10:11]
	s_waitcnt vmcnt(8)
	v_fma_f64 v[8:9], v[62:63], v[40:41], v[8:9]
	s_waitcnt vmcnt(6)
	;; [unrolled: 5-line block ×3, first 2 shown]
	s_delay_alu instid0(VALU_DEP_4) | instskip(SKIP_1) | instid1(VALU_DEP_4)
	v_fma_f64 v[10:11], v[70:71], v[46:47], v[10:11]
	s_waitcnt vmcnt(3)
	v_fma_f64 v[8:9], v[72:73], v[46:47], v[8:9]
	s_delay_alu instid0(VALU_DEP_4) | instskip(SKIP_1) | instid1(VALU_DEP_4)
	v_fma_f64 v[6:7], v[44:45], v[48:49], v[6:7]
	s_waitcnt vmcnt(2)
	v_fma_f64 v[14:15], v[76:77], v[48:49], v[13:14]
	s_waitcnt vmcnt(1)
	s_delay_alu instid0(VALU_DEP_4) | instskip(SKIP_1) | instid1(VALU_DEP_4)
	v_fma_f64 v[10:11], v[78:79], v[48:49], v[10:11]
	s_waitcnt vmcnt(0)
	v_fma_f64 v[8:9], v[74:75], v[48:49], v[8:9]
	s_and_not1_b32 exec_lo, exec_lo, s2
	s_cbranch_execnz .LBB59_15
; %bb.16:
	s_or_b32 exec_lo, exec_lo, s2
.LBB59_17:
	s_delay_alu instid0(SALU_CYCLE_1)
	s_or_b32 exec_lo, exec_lo, s3
.LBB59_18:
	v_mbcnt_lo_u32_b32 v24, -1, 0
	s_delay_alu instid0(VALU_DEP_1) | instskip(NEXT) | instid1(VALU_DEP_1)
	v_xor_b32_e32 v12, 8, v24
	v_cmp_gt_i32_e32 vcc_lo, 32, v12
	v_cndmask_b32_e32 v12, v24, v12, vcc_lo
	s_delay_alu instid0(VALU_DEP_1)
	v_lshlrev_b32_e32 v21, 2, v12
	ds_bpermute_b32 v12, v21, v6
	ds_bpermute_b32 v13, v21, v7
	;; [unrolled: 1-line block ×4, first 2 shown]
	s_waitcnt lgkmcnt(2)
	v_add_f64 v[6:7], v[6:7], v[12:13]
	s_waitcnt lgkmcnt(0)
	v_add_f64 v[12:13], v[14:15], v[16:17]
	v_xor_b32_e32 v14, 4, v24
	s_delay_alu instid0(VALU_DEP_1)
	v_cmp_gt_i32_e32 vcc_lo, 32, v14
	v_cndmask_b32_e32 v14, v24, v14, vcc_lo
	ds_bpermute_b32 v18, v21, v10
	ds_bpermute_b32 v19, v21, v11
	;; [unrolled: 1-line block ×4, first 2 shown]
	s_waitcnt lgkmcnt(2)
	v_add_f64 v[10:11], v[10:11], v[18:19]
	s_waitcnt lgkmcnt(0)
	v_add_f64 v[8:9], v[8:9], v[20:21]
	v_lshlrev_b32_e32 v21, 2, v14
	ds_bpermute_b32 v14, v21, v6
	ds_bpermute_b32 v15, v21, v7
	ds_bpermute_b32 v16, v21, v12
	ds_bpermute_b32 v17, v21, v13
	s_waitcnt lgkmcnt(2)
	v_add_f64 v[6:7], v[6:7], v[14:15]
	s_waitcnt lgkmcnt(0)
	v_add_f64 v[12:13], v[12:13], v[16:17]
	ds_bpermute_b32 v18, v21, v10
	ds_bpermute_b32 v19, v21, v11
	;; [unrolled: 1-line block ×4, first 2 shown]
	s_waitcnt lgkmcnt(2)
	v_add_f64 v[14:15], v[10:11], v[18:19]
	s_waitcnt lgkmcnt(0)
	v_add_f64 v[16:17], v[8:9], v[20:21]
	v_xor_b32_e32 v8, 2, v24
	s_delay_alu instid0(VALU_DEP_1) | instskip(SKIP_1) | instid1(VALU_DEP_1)
	v_cmp_gt_i32_e32 vcc_lo, 32, v8
	v_cndmask_b32_e32 v8, v24, v8, vcc_lo
	v_lshlrev_b32_e32 v10, 2, v8
	ds_bpermute_b32 v8, v10, v6
	ds_bpermute_b32 v9, v10, v7
	;; [unrolled: 1-line block ×8, first 2 shown]
	s_waitcnt lgkmcnt(6)
	v_add_f64 v[10:11], v[6:7], v[8:9]
	s_waitcnt lgkmcnt(4)
	v_add_f64 v[8:9], v[12:13], v[18:19]
	v_xor_b32_e32 v12, 1, v24
	s_delay_alu instid0(VALU_DEP_1)
	v_cmp_gt_i32_e32 vcc_lo, 32, v12
	v_cndmask_b32_e32 v12, v24, v12, vcc_lo
	v_cmp_eq_u32_e32 vcc_lo, 15, v0
	s_waitcnt lgkmcnt(2)
	v_add_f64 v[6:7], v[14:15], v[20:21]
	s_waitcnt lgkmcnt(0)
	v_add_f64 v[14:15], v[16:17], v[22:23]
	v_lshlrev_b32_e32 v17, 2, v12
	ds_bpermute_b32 v12, v17, v10
	ds_bpermute_b32 v13, v17, v11
	;; [unrolled: 1-line block ×8, first 2 shown]
	s_and_b32 exec_lo, exec_lo, vcc_lo
	s_cbranch_execz .LBB59_23
; %bb.19:
	s_waitcnt lgkmcnt(6)
	v_add_f64 v[12:13], v[10:11], v[12:13]
	s_waitcnt lgkmcnt(4)
	v_add_f64 v[10:11], v[8:9], v[20:21]
	;; [unrolled: 2-line block ×4, first 2 shown]
	s_load_b64 s[0:1], s[0:1], 0x38
	s_mov_b32 s2, exec_lo
	v_cmpx_eq_f64_e32 0, v[3:4]
	s_xor_b32 s2, exec_lo, s2
	s_cbranch_execz .LBB59_21
; %bb.20:
	v_mul_f64 v[12:13], v[1:2], v[12:13]
	v_mul_f64 v[14:15], v[1:2], v[10:11]
	;; [unrolled: 1-line block ×4, first 2 shown]
	v_lshlrev_b32_e32 v0, 2, v5
                                        ; implicit-def: $vgpr5
                                        ; implicit-def: $vgpr3_vgpr4
                                        ; implicit-def: $vgpr6_vgpr7
	s_delay_alu instid0(VALU_DEP_1) | instskip(NEXT) | instid1(VALU_DEP_1)
	v_ashrrev_i32_e32 v1, 31, v0
	v_lshlrev_b64 v[0:1], 3, v[0:1]
	s_waitcnt lgkmcnt(0)
	s_delay_alu instid0(VALU_DEP_1) | instskip(NEXT) | instid1(VALU_DEP_2)
	v_add_co_u32 v0, vcc_lo, s0, v0
	v_add_co_ci_u32_e32 v1, vcc_lo, s1, v1, vcc_lo
	s_clause 0x1
	global_store_b128 v[0:1], v[12:15], off
	global_store_b128 v[0:1], v[8:11], off offset:16
                                        ; implicit-def: $vgpr1_vgpr2
                                        ; implicit-def: $vgpr12_vgpr13
                                        ; implicit-def: $vgpr10_vgpr11
                                        ; implicit-def: $vgpr8_vgpr9
.LBB59_21:
	s_and_not1_saveexec_b32 s2, s2
	s_cbranch_execz .LBB59_23
; %bb.22:
	v_lshlrev_b32_e32 v14, 2, v5
	v_mul_f64 v[12:13], v[1:2], v[12:13]
	v_mul_f64 v[10:11], v[1:2], v[10:11]
	;; [unrolled: 1-line block ×4, first 2 shown]
	v_ashrrev_i32_e32 v15, 31, v14
	s_delay_alu instid0(VALU_DEP_1) | instskip(SKIP_1) | instid1(VALU_DEP_1)
	v_lshlrev_b64 v[14:15], 3, v[14:15]
	s_waitcnt lgkmcnt(0)
	v_add_co_u32 v22, vcc_lo, s0, v14
	s_delay_alu instid0(VALU_DEP_2)
	v_add_co_ci_u32_e32 v23, vcc_lo, s1, v15, vcc_lo
	s_clause 0x1
	global_load_b128 v[14:17], v[22:23], off
	global_load_b128 v[18:21], v[22:23], off offset:16
	s_waitcnt vmcnt(1)
	v_fma_f64 v[5:6], v[3:4], v[14:15], v[12:13]
	v_fma_f64 v[7:8], v[3:4], v[16:17], v[10:11]
	s_waitcnt vmcnt(0)
	v_fma_f64 v[0:1], v[3:4], v[18:19], v[24:25]
	v_fma_f64 v[2:3], v[3:4], v[20:21], v[26:27]
	s_clause 0x1
	global_store_b128 v[22:23], v[5:8], off
	global_store_b128 v[22:23], v[0:3], off offset:16
.LBB59_23:
	s_nop 0
	s_sendmsg sendmsg(MSG_DEALLOC_VGPRS)
	s_endpgm
	.section	.rodata,"a",@progbits
	.p2align	6, 0x0
	.amdhsa_kernel _ZN9rocsparseL19gebsrmvn_4xn_kernelILj128ELj6ELj16EdEEvi20rocsparse_direction_NS_24const_host_device_scalarIT2_EEPKiS6_PKS3_S8_S4_PS3_21rocsparse_index_base_b
		.amdhsa_group_segment_fixed_size 0
		.amdhsa_private_segment_fixed_size 0
		.amdhsa_kernarg_size 72
		.amdhsa_user_sgpr_count 15
		.amdhsa_user_sgpr_dispatch_ptr 0
		.amdhsa_user_sgpr_queue_ptr 0
		.amdhsa_user_sgpr_kernarg_segment_ptr 1
		.amdhsa_user_sgpr_dispatch_id 0
		.amdhsa_user_sgpr_private_segment_size 0
		.amdhsa_wavefront_size32 1
		.amdhsa_uses_dynamic_stack 0
		.amdhsa_enable_private_segment 0
		.amdhsa_system_sgpr_workgroup_id_x 1
		.amdhsa_system_sgpr_workgroup_id_y 0
		.amdhsa_system_sgpr_workgroup_id_z 0
		.amdhsa_system_sgpr_workgroup_info 0
		.amdhsa_system_vgpr_workitem_id 0
		.amdhsa_next_free_vgpr 82
		.amdhsa_next_free_sgpr 16
		.amdhsa_reserve_vcc 1
		.amdhsa_float_round_mode_32 0
		.amdhsa_float_round_mode_16_64 0
		.amdhsa_float_denorm_mode_32 3
		.amdhsa_float_denorm_mode_16_64 3
		.amdhsa_dx10_clamp 1
		.amdhsa_ieee_mode 1
		.amdhsa_fp16_overflow 0
		.amdhsa_workgroup_processor_mode 1
		.amdhsa_memory_ordered 1
		.amdhsa_forward_progress 0
		.amdhsa_shared_vgpr_count 0
		.amdhsa_exception_fp_ieee_invalid_op 0
		.amdhsa_exception_fp_denorm_src 0
		.amdhsa_exception_fp_ieee_div_zero 0
		.amdhsa_exception_fp_ieee_overflow 0
		.amdhsa_exception_fp_ieee_underflow 0
		.amdhsa_exception_fp_ieee_inexact 0
		.amdhsa_exception_int_div_zero 0
	.end_amdhsa_kernel
	.section	.text._ZN9rocsparseL19gebsrmvn_4xn_kernelILj128ELj6ELj16EdEEvi20rocsparse_direction_NS_24const_host_device_scalarIT2_EEPKiS6_PKS3_S8_S4_PS3_21rocsparse_index_base_b,"axG",@progbits,_ZN9rocsparseL19gebsrmvn_4xn_kernelILj128ELj6ELj16EdEEvi20rocsparse_direction_NS_24const_host_device_scalarIT2_EEPKiS6_PKS3_S8_S4_PS3_21rocsparse_index_base_b,comdat
.Lfunc_end59:
	.size	_ZN9rocsparseL19gebsrmvn_4xn_kernelILj128ELj6ELj16EdEEvi20rocsparse_direction_NS_24const_host_device_scalarIT2_EEPKiS6_PKS3_S8_S4_PS3_21rocsparse_index_base_b, .Lfunc_end59-_ZN9rocsparseL19gebsrmvn_4xn_kernelILj128ELj6ELj16EdEEvi20rocsparse_direction_NS_24const_host_device_scalarIT2_EEPKiS6_PKS3_S8_S4_PS3_21rocsparse_index_base_b
                                        ; -- End function
	.section	.AMDGPU.csdata,"",@progbits
; Kernel info:
; codeLenInByte = 3192
; NumSgprs: 18
; NumVgprs: 82
; ScratchSize: 0
; MemoryBound: 1
; FloatMode: 240
; IeeeMode: 1
; LDSByteSize: 0 bytes/workgroup (compile time only)
; SGPRBlocks: 2
; VGPRBlocks: 10
; NumSGPRsForWavesPerEU: 18
; NumVGPRsForWavesPerEU: 82
; Occupancy: 16
; WaveLimiterHint : 1
; COMPUTE_PGM_RSRC2:SCRATCH_EN: 0
; COMPUTE_PGM_RSRC2:USER_SGPR: 15
; COMPUTE_PGM_RSRC2:TRAP_HANDLER: 0
; COMPUTE_PGM_RSRC2:TGID_X_EN: 1
; COMPUTE_PGM_RSRC2:TGID_Y_EN: 0
; COMPUTE_PGM_RSRC2:TGID_Z_EN: 0
; COMPUTE_PGM_RSRC2:TIDIG_COMP_CNT: 0
	.section	.text._ZN9rocsparseL19gebsrmvn_4xn_kernelILj128ELj6ELj32EdEEvi20rocsparse_direction_NS_24const_host_device_scalarIT2_EEPKiS6_PKS3_S8_S4_PS3_21rocsparse_index_base_b,"axG",@progbits,_ZN9rocsparseL19gebsrmvn_4xn_kernelILj128ELj6ELj32EdEEvi20rocsparse_direction_NS_24const_host_device_scalarIT2_EEPKiS6_PKS3_S8_S4_PS3_21rocsparse_index_base_b,comdat
	.globl	_ZN9rocsparseL19gebsrmvn_4xn_kernelILj128ELj6ELj32EdEEvi20rocsparse_direction_NS_24const_host_device_scalarIT2_EEPKiS6_PKS3_S8_S4_PS3_21rocsparse_index_base_b ; -- Begin function _ZN9rocsparseL19gebsrmvn_4xn_kernelILj128ELj6ELj32EdEEvi20rocsparse_direction_NS_24const_host_device_scalarIT2_EEPKiS6_PKS3_S8_S4_PS3_21rocsparse_index_base_b
	.p2align	8
	.type	_ZN9rocsparseL19gebsrmvn_4xn_kernelILj128ELj6ELj32EdEEvi20rocsparse_direction_NS_24const_host_device_scalarIT2_EEPKiS6_PKS3_S8_S4_PS3_21rocsparse_index_base_b,@function
_ZN9rocsparseL19gebsrmvn_4xn_kernelILj128ELj6ELj32EdEEvi20rocsparse_direction_NS_24const_host_device_scalarIT2_EEPKiS6_PKS3_S8_S4_PS3_21rocsparse_index_base_b: ; @_ZN9rocsparseL19gebsrmvn_4xn_kernelILj128ELj6ELj32EdEEvi20rocsparse_direction_NS_24const_host_device_scalarIT2_EEPKiS6_PKS3_S8_S4_PS3_21rocsparse_index_base_b
; %bb.0:
	s_clause 0x2
	s_load_b64 s[12:13], s[0:1], 0x40
	s_load_b64 s[4:5], s[0:1], 0x8
	;; [unrolled: 1-line block ×3, first 2 shown]
	s_waitcnt lgkmcnt(0)
	s_bitcmp1_b32 s13, 0
	v_dual_mov_b32 v1, s4 :: v_dual_mov_b32 v2, s5
	s_cselect_b32 s6, -1, 0
	s_delay_alu instid0(SALU_CYCLE_1)
	s_and_b32 vcc_lo, exec_lo, s6
	s_xor_b32 s6, s6, -1
	s_cbranch_vccnz .LBB60_2
; %bb.1:
	v_dual_mov_b32 v1, s4 :: v_dual_mov_b32 v2, s5
	flat_load_b64 v[1:2], v[1:2]
.LBB60_2:
	v_dual_mov_b32 v4, s3 :: v_dual_mov_b32 v3, s2
	s_and_not1_b32 vcc_lo, exec_lo, s6
	s_cbranch_vccnz .LBB60_4
; %bb.3:
	v_dual_mov_b32 v4, s3 :: v_dual_mov_b32 v3, s2
	flat_load_b64 v[3:4], v[3:4]
.LBB60_4:
	s_waitcnt vmcnt(0) lgkmcnt(0)
	v_cmp_neq_f64_e32 vcc_lo, 0, v[1:2]
	v_cmp_neq_f64_e64 s2, 1.0, v[3:4]
	s_delay_alu instid0(VALU_DEP_1) | instskip(NEXT) | instid1(SALU_CYCLE_1)
	s_or_b32 s2, vcc_lo, s2
	s_and_saveexec_b32 s3, s2
	s_cbranch_execz .LBB60_23
; %bb.5:
	s_load_b64 s[2:3], s[0:1], 0x0
	v_lshrrev_b32_e32 v5, 5, v0
	s_delay_alu instid0(VALU_DEP_1) | instskip(SKIP_1) | instid1(VALU_DEP_1)
	v_lshl_or_b32 v5, s15, 2, v5
	s_waitcnt lgkmcnt(0)
	v_cmp_gt_i32_e32 vcc_lo, s2, v5
	s_and_b32 exec_lo, exec_lo, vcc_lo
	s_cbranch_execz .LBB60_23
; %bb.6:
	s_load_b256 s[4:11], s[0:1], 0x10
	v_ashrrev_i32_e32 v6, 31, v5
	v_and_b32_e32 v0, 31, v0
	s_cmp_lg_u32 s3, 0
	s_delay_alu instid0(VALU_DEP_2) | instskip(SKIP_1) | instid1(VALU_DEP_1)
	v_lshlrev_b64 v[6:7], 2, v[5:6]
	s_waitcnt lgkmcnt(0)
	v_add_co_u32 v6, vcc_lo, s4, v6
	s_delay_alu instid0(VALU_DEP_2) | instskip(SKIP_4) | instid1(VALU_DEP_2)
	v_add_co_ci_u32_e32 v7, vcc_lo, s5, v7, vcc_lo
	global_load_b64 v[6:7], v[6:7], off
	s_waitcnt vmcnt(0)
	v_subrev_nc_u32_e32 v6, s12, v6
	v_subrev_nc_u32_e32 v20, s12, v7
	v_add_nc_u32_e32 v14, v6, v0
	s_delay_alu instid0(VALU_DEP_1)
	v_cmp_lt_i32_e64 s2, v14, v20
	s_cbranch_scc0 .LBB60_12
; %bb.7:
	v_mov_b32_e32 v6, 0
	v_mov_b32_e32 v7, 0
	s_delay_alu instid0(VALU_DEP_1)
	v_dual_mov_b32 v9, v7 :: v_dual_mov_b32 v8, v6
	v_dual_mov_b32 v11, v7 :: v_dual_mov_b32 v10, v6
	;; [unrolled: 1-line block ×3, first 2 shown]
	s_and_saveexec_b32 s3, s2
	s_cbranch_execz .LBB60_11
; %bb.8:
	v_dual_mov_b32 v6, 0 :: v_dual_mov_b32 v17, 0
	v_dual_mov_b32 v7, 0 :: v_dual_mov_b32 v18, v14
	v_mad_u64_u32 v[15:16], null, v14, 24, 20
	s_mov_b32 s4, 0
	s_delay_alu instid0(VALU_DEP_2)
	v_dual_mov_b32 v9, v7 :: v_dual_mov_b32 v8, v6
	v_dual_mov_b32 v11, v7 :: v_dual_mov_b32 v10, v6
	;; [unrolled: 1-line block ×3, first 2 shown]
.LBB60_9:                               ; =>This Inner Loop Header: Depth=1
	v_ashrrev_i32_e32 v19, 31, v18
	v_subrev_nc_u32_e32 v16, 20, v15
	v_mov_b32_e32 v62, v17
	s_delay_alu instid0(VALU_DEP_3) | instskip(SKIP_1) | instid1(VALU_DEP_2)
	v_lshlrev_b64 v[21:22], 2, v[18:19]
	v_add_nc_u32_e32 v18, 32, v18
	v_add_co_u32 v21, vcc_lo, s6, v21
	s_delay_alu instid0(VALU_DEP_3) | instskip(SKIP_2) | instid1(VALU_DEP_1)
	v_add_co_ci_u32_e32 v22, vcc_lo, s7, v22, vcc_lo
	global_load_b32 v19, v[21:22], off
	v_lshlrev_b64 v[21:22], 3, v[16:17]
	v_add_co_u32 v37, vcc_lo, s8, v21
	s_delay_alu instid0(VALU_DEP_2) | instskip(SKIP_3) | instid1(VALU_DEP_1)
	v_add_co_ci_u32_e32 v38, vcc_lo, s9, v22, vcc_lo
	global_load_b128 v[21:24], v[37:38], off offset:16
	s_waitcnt vmcnt(1)
	v_subrev_nc_u32_e32 v16, s12, v19
	v_mul_lo_u32 v61, v16, 6
	v_add_nc_u32_e32 v16, -12, v15
	s_delay_alu instid0(VALU_DEP_1) | instskip(NEXT) | instid1(VALU_DEP_3)
	v_lshlrev_b64 v[41:42], 3, v[16:17]
	v_lshlrev_b64 v[25:26], 3, v[61:62]
	v_add_nc_u32_e32 v16, 2, v61
	s_delay_alu instid0(VALU_DEP_1) | instskip(NEXT) | instid1(VALU_DEP_3)
	v_lshlrev_b64 v[47:48], 3, v[16:17]
	v_add_co_u32 v29, vcc_lo, s10, v25
	s_delay_alu instid0(VALU_DEP_4)
	v_add_co_ci_u32_e32 v30, vcc_lo, s11, v26, vcc_lo
	v_add_co_u32 v45, vcc_lo, s8, v41
	global_load_b128 v[25:28], v[37:38], off
	global_load_b128 v[29:32], v[29:30], off
	s_clause 0x1
	global_load_b128 v[33:36], v[37:38], off offset:48
	global_load_b128 v[37:40], v[37:38], off offset:32
	v_add_co_ci_u32_e32 v46, vcc_lo, s9, v42, vcc_lo
	v_add_co_u32 v49, vcc_lo, s10, v47
	v_add_co_ci_u32_e32 v50, vcc_lo, s11, v48, vcc_lo
	s_clause 0x1
	global_load_b128 v[41:44], v[45:46], off offset:16
	global_load_b128 v[45:48], v[45:46], off
	global_load_b128 v[49:52], v[49:50], off
	v_add_nc_u32_e32 v16, -8, v15
	s_delay_alu instid0(VALU_DEP_1) | instskip(SKIP_1) | instid1(VALU_DEP_2)
	v_lshlrev_b64 v[53:54], 3, v[16:17]
	v_add_nc_u32_e32 v16, -4, v15
	v_add_co_u32 v57, vcc_lo, s8, v53
	s_delay_alu instid0(VALU_DEP_3)
	v_add_co_ci_u32_e32 v58, vcc_lo, s9, v54, vcc_lo
	s_clause 0x1
	global_load_b128 v[53:56], v[57:58], off
	global_load_b128 v[57:60], v[57:58], off offset:16
	v_lshlrev_b64 v[62:63], 3, v[16:17]
	v_add_nc_u32_e32 v16, 4, v61
	s_delay_alu instid0(VALU_DEP_1) | instskip(NEXT) | instid1(VALU_DEP_3)
	v_lshlrev_b64 v[64:65], 3, v[16:17]
	v_add_co_u32 v66, vcc_lo, s8, v62
	s_delay_alu instid0(VALU_DEP_4) | instskip(SKIP_1) | instid1(VALU_DEP_4)
	v_add_co_ci_u32_e32 v67, vcc_lo, s9, v63, vcc_lo
	v_mov_b32_e32 v16, v17
	v_add_co_u32 v69, vcc_lo, s10, v64
	v_add_co_ci_u32_e32 v70, vcc_lo, s11, v65, vcc_lo
	s_clause 0x1
	global_load_b128 v[61:64], v[66:67], off offset:16
	global_load_b128 v[65:68], v[66:67], off
	global_load_b128 v[69:72], v[69:70], off
	v_lshlrev_b64 v[73:74], 3, v[15:16]
	v_add_nc_u32_e32 v15, 0x300, v15
	s_delay_alu instid0(VALU_DEP_2) | instskip(NEXT) | instid1(VALU_DEP_3)
	v_add_co_u32 v77, vcc_lo, s8, v73
	v_add_co_ci_u32_e32 v78, vcc_lo, s9, v74, vcc_lo
	s_clause 0x1
	global_load_b128 v[73:76], v[77:78], off
	global_load_b128 v[77:80], v[77:78], off offset:16
	v_cmp_ge_i32_e32 vcc_lo, v18, v20
	s_or_b32 s4, vcc_lo, s4
	s_waitcnt vmcnt(12)
	v_fma_f64 v[6:7], v[25:26], v[29:30], v[6:7]
	v_fma_f64 v[12:13], v[27:28], v[29:30], v[12:13]
	;; [unrolled: 1-line block ×4, first 2 shown]
	s_waitcnt vmcnt(10)
	s_delay_alu instid0(VALU_DEP_4) | instskip(NEXT) | instid1(VALU_DEP_4)
	v_fma_f64 v[6:7], v[37:38], v[31:32], v[6:7]
	v_fma_f64 v[12:13], v[39:40], v[31:32], v[12:13]
	s_delay_alu instid0(VALU_DEP_4) | instskip(NEXT) | instid1(VALU_DEP_4)
	v_fma_f64 v[10:11], v[33:34], v[31:32], v[10:11]
	v_fma_f64 v[8:9], v[35:36], v[31:32], v[8:9]
	s_waitcnt vmcnt(7)
	s_delay_alu instid0(VALU_DEP_4) | instskip(NEXT) | instid1(VALU_DEP_4)
	v_fma_f64 v[6:7], v[45:46], v[49:50], v[6:7]
	v_fma_f64 v[12:13], v[47:48], v[49:50], v[12:13]
	s_delay_alu instid0(VALU_DEP_4) | instskip(NEXT) | instid1(VALU_DEP_4)
	v_fma_f64 v[10:11], v[41:42], v[49:50], v[10:11]
	v_fma_f64 v[8:9], v[43:44], v[49:50], v[8:9]
	s_waitcnt vmcnt(6)
	s_delay_alu instid0(VALU_DEP_4) | instskip(NEXT) | instid1(VALU_DEP_4)
	v_fma_f64 v[6:7], v[53:54], v[51:52], v[6:7]
	v_fma_f64 v[12:13], v[55:56], v[51:52], v[12:13]
	s_waitcnt vmcnt(5)
	;; [unrolled: 4-line block ×3, first 2 shown]
	s_delay_alu instid0(VALU_DEP_4) | instskip(NEXT) | instid1(VALU_DEP_4)
	v_fma_f64 v[6:7], v[65:66], v[69:70], v[6:7]
	v_fma_f64 v[12:13], v[67:68], v[69:70], v[12:13]
	s_delay_alu instid0(VALU_DEP_4) | instskip(NEXT) | instid1(VALU_DEP_4)
	v_fma_f64 v[10:11], v[61:62], v[69:70], v[10:11]
	v_fma_f64 v[8:9], v[63:64], v[69:70], v[8:9]
	s_waitcnt vmcnt(1)
	s_delay_alu instid0(VALU_DEP_4) | instskip(NEXT) | instid1(VALU_DEP_4)
	v_fma_f64 v[6:7], v[73:74], v[71:72], v[6:7]
	v_fma_f64 v[12:13], v[75:76], v[71:72], v[12:13]
	s_waitcnt vmcnt(0)
	s_delay_alu instid0(VALU_DEP_4) | instskip(NEXT) | instid1(VALU_DEP_4)
	v_fma_f64 v[10:11], v[77:78], v[71:72], v[10:11]
	v_fma_f64 v[8:9], v[79:80], v[71:72], v[8:9]
	s_and_not1_b32 exec_lo, exec_lo, s4
	s_cbranch_execnz .LBB60_9
; %bb.10:
	s_or_b32 exec_lo, exec_lo, s4
.LBB60_11:
	s_delay_alu instid0(SALU_CYCLE_1)
	s_or_b32 exec_lo, exec_lo, s3
	s_cbranch_execz .LBB60_13
	s_branch .LBB60_18
.LBB60_12:
                                        ; implicit-def: $vgpr6_vgpr7
                                        ; implicit-def: $vgpr8_vgpr9
                                        ; implicit-def: $vgpr10_vgpr11
                                        ; implicit-def: $vgpr12_vgpr13
.LBB60_13:
	v_mov_b32_e32 v6, 0
	v_mov_b32_e32 v7, 0
	s_delay_alu instid0(VALU_DEP_1)
	v_dual_mov_b32 v9, v7 :: v_dual_mov_b32 v8, v6
	v_dual_mov_b32 v11, v7 :: v_dual_mov_b32 v10, v6
	;; [unrolled: 1-line block ×3, first 2 shown]
	s_and_saveexec_b32 s3, s2
	s_cbranch_execz .LBB60_17
; %bb.14:
	v_mov_b32_e32 v6, 0
	v_dual_mov_b32 v7, 0 :: v_dual_mov_b32 v18, 0
	v_mad_u64_u32 v[16:17], null, v14, 24, 23
	s_mov_b32 s2, 0
	s_delay_alu instid0(VALU_DEP_2)
	v_dual_mov_b32 v9, v7 :: v_dual_mov_b32 v8, v6
	v_dual_mov_b32 v11, v7 :: v_dual_mov_b32 v10, v6
	;; [unrolled: 1-line block ×3, first 2 shown]
.LBB60_15:                              ; =>This Inner Loop Header: Depth=1
	v_ashrrev_i32_e32 v15, 31, v14
	v_subrev_nc_u32_e32 v17, 23, v16
	v_dual_mov_b32 v24, v18 :: v_dual_add_nc_u32 v23, -5, v16
	v_mov_b32_e32 v42, v18
	s_delay_alu instid0(VALU_DEP_4) | instskip(NEXT) | instid1(VALU_DEP_4)
	v_lshlrev_b64 v[21:22], 2, v[14:15]
	v_lshlrev_b64 v[25:26], 3, v[17:18]
	v_add_nc_u32_e32 v17, -10, v16
	v_add_nc_u32_e32 v14, 32, v14
	s_delay_alu instid0(VALU_DEP_4)
	v_add_co_u32 v21, vcc_lo, s6, v21
	v_add_co_ci_u32_e32 v22, vcc_lo, s7, v22, vcc_lo
	v_add_co_u32 v43, vcc_lo, s8, v25
	v_add_co_ci_u32_e32 v44, vcc_lo, s9, v26, vcc_lo
	global_load_b32 v15, v[21:22], off
	v_dual_mov_b32 v22, v18 :: v_dual_add_nc_u32 v21, -11, v16
	v_lshlrev_b64 v[23:24], 3, v[23:24]
	v_lshlrev_b64 v[37:38], 3, v[17:18]
	v_add_nc_u32_e32 v17, -4, v16
	s_delay_alu instid0(VALU_DEP_4) | instskip(NEXT) | instid1(VALU_DEP_2)
	v_lshlrev_b64 v[21:22], 3, v[21:22]
	v_lshlrev_b64 v[39:40], 3, v[17:18]
	s_delay_alu instid0(VALU_DEP_2) | instskip(NEXT) | instid1(VALU_DEP_3)
	v_add_co_u32 v33, vcc_lo, s8, v21
	v_add_co_ci_u32_e32 v34, vcc_lo, s9, v22, vcc_lo
	v_add_co_u32 v35, vcc_lo, s8, v23
	v_add_co_ci_u32_e32 v36, vcc_lo, s9, v24, vcc_lo
	s_clause 0x3
	global_load_b128 v[21:24], v[43:44], off offset:48
	global_load_b128 v[25:28], v[43:44], off offset:16
	global_load_b128 v[29:32], v[43:44], off
	global_load_b64 v[49:50], v[33:34], off
	s_waitcnt vmcnt(4)
	v_subrev_nc_u32_e32 v15, s12, v15
	s_delay_alu instid0(VALU_DEP_1) | instskip(NEXT) | instid1(VALU_DEP_1)
	v_mul_lo_u32 v41, v15, 6
	v_lshlrev_b64 v[33:34], 3, v[41:42]
	v_add_nc_u32_e32 v17, 2, v41
	s_delay_alu instid0(VALU_DEP_2) | instskip(NEXT) | instid1(VALU_DEP_3)
	v_add_co_u32 v33, vcc_lo, s10, v33
	v_add_co_ci_u32_e32 v34, vcc_lo, s11, v34, vcc_lo
	global_load_b64 v[51:52], v[35:36], off
	global_load_b128 v[33:36], v[33:34], off
	v_add_co_u32 v37, vcc_lo, s8, v37
	v_add_co_ci_u32_e32 v38, vcc_lo, s9, v38, vcc_lo
	v_add_co_u32 v39, vcc_lo, s8, v39
	v_add_co_ci_u32_e32 v40, vcc_lo, s9, v40, vcc_lo
	s_clause 0x1
	global_load_b64 v[53:54], v[37:38], off
	global_load_b64 v[55:56], v[39:40], off
	v_lshlrev_b64 v[37:38], 3, v[17:18]
	v_add_nc_u32_e32 v17, -15, v16
	s_delay_alu instid0(VALU_DEP_1) | instskip(SKIP_1) | instid1(VALU_DEP_4)
	v_lshlrev_b64 v[39:40], 3, v[17:18]
	v_add_nc_u32_e32 v17, -9, v16
	v_add_co_u32 v37, vcc_lo, s10, v37
	v_add_co_ci_u32_e32 v38, vcc_lo, s11, v38, vcc_lo
	s_delay_alu instid0(VALU_DEP_3) | instskip(SKIP_3) | instid1(VALU_DEP_3)
	v_lshlrev_b64 v[45:46], 3, v[17:18]
	v_add_nc_u32_e32 v17, -3, v16
	v_add_co_u32 v47, vcc_lo, s8, v39
	v_add_co_ci_u32_e32 v48, vcc_lo, s9, v40, vcc_lo
	v_lshlrev_b64 v[39:40], 3, v[17:18]
	v_add_co_u32 v45, vcc_lo, s8, v45
	v_add_co_ci_u32_e32 v46, vcc_lo, s9, v46, vcc_lo
	v_add_nc_u32_e32 v17, -14, v16
	s_delay_alu instid0(VALU_DEP_4)
	v_add_co_u32 v57, vcc_lo, s8, v39
	v_add_co_ci_u32_e32 v58, vcc_lo, s9, v40, vcc_lo
	global_load_b128 v[37:40], v[37:38], off
	s_clause 0x2
	global_load_b64 v[59:60], v[47:48], off
	global_load_b64 v[61:62], v[45:46], off
	;; [unrolled: 1-line block ×3, first 2 shown]
	v_lshlrev_b64 v[45:46], 3, v[17:18]
	v_add_nc_u32_e32 v17, -8, v16
	s_delay_alu instid0(VALU_DEP_1) | instskip(SKIP_1) | instid1(VALU_DEP_4)
	v_lshlrev_b64 v[47:48], 3, v[17:18]
	v_add_nc_u32_e32 v17, -2, v16
	v_add_co_u32 v45, vcc_lo, s8, v45
	v_add_co_ci_u32_e32 v46, vcc_lo, s9, v46, vcc_lo
	s_delay_alu instid0(VALU_DEP_3) | instskip(SKIP_3) | instid1(VALU_DEP_4)
	v_lshlrev_b64 v[63:64], 3, v[17:18]
	v_add_co_u32 v47, vcc_lo, s8, v47
	v_add_co_ci_u32_e32 v48, vcc_lo, s9, v48, vcc_lo
	v_add_nc_u32_e32 v17, 4, v41
	v_add_co_u32 v63, vcc_lo, s8, v63
	v_add_co_ci_u32_e32 v64, vcc_lo, s9, v64, vcc_lo
	s_clause 0x2
	global_load_b64 v[65:66], v[45:46], off
	global_load_b64 v[67:68], v[47:48], off
	;; [unrolled: 1-line block ×3, first 2 shown]
	v_lshlrev_b64 v[41:42], 3, v[17:18]
	v_add_nc_u32_e32 v17, -13, v16
	s_delay_alu instid0(VALU_DEP_1) | instskip(SKIP_1) | instid1(VALU_DEP_4)
	v_lshlrev_b64 v[45:46], 3, v[17:18]
	v_add_nc_u32_e32 v17, -7, v16
	v_add_co_u32 v47, vcc_lo, s10, v41
	v_add_co_ci_u32_e32 v48, vcc_lo, s11, v42, vcc_lo
	s_delay_alu instid0(VALU_DEP_3) | instskip(SKIP_3) | instid1(VALU_DEP_3)
	v_lshlrev_b64 v[41:42], 3, v[17:18]
	v_add_nc_u32_e32 v17, -1, v16
	v_add_co_u32 v69, vcc_lo, s8, v45
	v_add_co_ci_u32_e32 v70, vcc_lo, s9, v46, vcc_lo
	v_lshlrev_b64 v[45:46], 3, v[17:18]
	v_add_co_u32 v71, vcc_lo, s8, v41
	v_add_co_ci_u32_e32 v72, vcc_lo, s9, v42, vcc_lo
	v_mov_b32_e32 v17, v18
	s_delay_alu instid0(VALU_DEP_4)
	v_add_co_u32 v73, vcc_lo, s8, v45
	v_add_co_ci_u32_e32 v74, vcc_lo, s9, v46, vcc_lo
	global_load_b128 v[41:44], v[43:44], off offset:32
	global_load_b128 v[45:48], v[47:48], off
	s_clause 0x2
	global_load_b64 v[69:70], v[69:70], off
	global_load_b64 v[71:72], v[71:72], off
	;; [unrolled: 1-line block ×3, first 2 shown]
	v_lshlrev_b64 v[75:76], 3, v[16:17]
	v_add_nc_u32_e32 v17, -12, v16
	s_delay_alu instid0(VALU_DEP_1) | instskip(SKIP_1) | instid1(VALU_DEP_4)
	v_lshlrev_b64 v[77:78], 3, v[17:18]
	v_add_nc_u32_e32 v17, -6, v16
	v_add_co_u32 v75, vcc_lo, s8, v75
	v_add_co_ci_u32_e32 v76, vcc_lo, s9, v76, vcc_lo
	s_delay_alu instid0(VALU_DEP_3) | instskip(SKIP_3) | instid1(VALU_DEP_4)
	v_lshlrev_b64 v[79:80], 3, v[17:18]
	v_add_co_u32 v77, vcc_lo, s8, v77
	v_add_co_ci_u32_e32 v78, vcc_lo, s9, v78, vcc_lo
	v_add_nc_u32_e32 v16, 0x300, v16
	v_add_co_u32 v79, vcc_lo, s8, v79
	v_add_co_ci_u32_e32 v80, vcc_lo, s9, v80, vcc_lo
	s_clause 0x2
	global_load_b64 v[77:78], v[77:78], off
	global_load_b64 v[79:80], v[79:80], off
	;; [unrolled: 1-line block ×3, first 2 shown]
	v_cmp_ge_i32_e32 vcc_lo, v14, v20
	s_or_b32 s2, vcc_lo, s2
	s_waitcnt vmcnt(17)
	v_fma_f64 v[6:7], v[29:30], v[33:34], v[6:7]
	v_fma_f64 v[12:13], v[21:22], v[33:34], v[12:13]
	;; [unrolled: 1-line block ×4, first 2 shown]
	s_delay_alu instid0(VALU_DEP_4) | instskip(NEXT) | instid1(VALU_DEP_4)
	v_fma_f64 v[6:7], v[31:32], v[35:36], v[6:7]
	v_fma_f64 v[12:13], v[23:24], v[35:36], v[12:13]
	s_waitcnt vmcnt(16)
	s_delay_alu instid0(VALU_DEP_4) | instskip(SKIP_1) | instid1(VALU_DEP_4)
	v_fma_f64 v[10:11], v[53:54], v[35:36], v[10:11]
	s_waitcnt vmcnt(15)
	v_fma_f64 v[8:9], v[55:56], v[35:36], v[8:9]
	s_waitcnt vmcnt(14)
	s_delay_alu instid0(VALU_DEP_4) | instskip(SKIP_1) | instid1(VALU_DEP_4)
	v_fma_f64 v[6:7], v[25:26], v[37:38], v[6:7]
	s_waitcnt vmcnt(13)
	;; [unrolled: 5-line block ×3, first 2 shown]
	v_fma_f64 v[8:9], v[57:58], v[37:38], v[8:9]
	s_delay_alu instid0(VALU_DEP_4) | instskip(SKIP_1) | instid1(VALU_DEP_4)
	v_fma_f64 v[6:7], v[27:28], v[39:40], v[6:7]
	s_waitcnt vmcnt(10)
	v_fma_f64 v[12:13], v[65:66], v[39:40], v[12:13]
	s_waitcnt vmcnt(9)
	s_delay_alu instid0(VALU_DEP_4) | instskip(SKIP_1) | instid1(VALU_DEP_4)
	v_fma_f64 v[10:11], v[67:68], v[39:40], v[10:11]
	s_waitcnt vmcnt(8)
	v_fma_f64 v[8:9], v[63:64], v[39:40], v[8:9]
	s_waitcnt vmcnt(6)
	;; [unrolled: 5-line block ×3, first 2 shown]
	s_delay_alu instid0(VALU_DEP_4) | instskip(SKIP_1) | instid1(VALU_DEP_4)
	v_fma_f64 v[10:11], v[71:72], v[45:46], v[10:11]
	s_waitcnt vmcnt(3)
	v_fma_f64 v[8:9], v[73:74], v[45:46], v[8:9]
	s_delay_alu instid0(VALU_DEP_4) | instskip(SKIP_1) | instid1(VALU_DEP_4)
	v_fma_f64 v[6:7], v[43:44], v[47:48], v[6:7]
	s_waitcnt vmcnt(2)
	v_fma_f64 v[12:13], v[77:78], v[47:48], v[12:13]
	s_waitcnt vmcnt(1)
	s_delay_alu instid0(VALU_DEP_4) | instskip(SKIP_1) | instid1(VALU_DEP_4)
	v_fma_f64 v[10:11], v[79:80], v[47:48], v[10:11]
	s_waitcnt vmcnt(0)
	v_fma_f64 v[8:9], v[75:76], v[47:48], v[8:9]
	s_and_not1_b32 exec_lo, exec_lo, s2
	s_cbranch_execnz .LBB60_15
; %bb.16:
	s_or_b32 exec_lo, exec_lo, s2
.LBB60_17:
	s_delay_alu instid0(SALU_CYCLE_1)
	s_or_b32 exec_lo, exec_lo, s3
.LBB60_18:
	v_mbcnt_lo_u32_b32 v24, -1, 0
	s_delay_alu instid0(VALU_DEP_1) | instskip(NEXT) | instid1(VALU_DEP_1)
	v_xor_b32_e32 v14, 16, v24
	v_cmp_gt_i32_e32 vcc_lo, 32, v14
	v_cndmask_b32_e32 v14, v24, v14, vcc_lo
	s_delay_alu instid0(VALU_DEP_1)
	v_lshlrev_b32_e32 v21, 2, v14
	ds_bpermute_b32 v14, v21, v6
	ds_bpermute_b32 v15, v21, v7
	;; [unrolled: 1-line block ×8, first 2 shown]
	s_waitcnt lgkmcnt(6)
	v_add_f64 v[6:7], v[6:7], v[14:15]
	v_xor_b32_e32 v14, 8, v24
	s_waitcnt lgkmcnt(4)
	v_add_f64 v[12:13], v[12:13], v[16:17]
	s_waitcnt lgkmcnt(2)
	v_add_f64 v[10:11], v[10:11], v[18:19]
	;; [unrolled: 2-line block ×3, first 2 shown]
	v_cmp_gt_i32_e32 vcc_lo, 32, v14
	v_cndmask_b32_e32 v14, v24, v14, vcc_lo
	s_delay_alu instid0(VALU_DEP_1)
	v_lshlrev_b32_e32 v21, 2, v14
	ds_bpermute_b32 v14, v21, v6
	ds_bpermute_b32 v15, v21, v7
	;; [unrolled: 1-line block ×8, first 2 shown]
	s_waitcnt lgkmcnt(6)
	v_add_f64 v[6:7], v[6:7], v[14:15]
	v_xor_b32_e32 v14, 4, v24
	s_waitcnt lgkmcnt(4)
	v_add_f64 v[12:13], v[12:13], v[16:17]
	s_waitcnt lgkmcnt(2)
	v_add_f64 v[10:11], v[10:11], v[18:19]
	;; [unrolled: 2-line block ×3, first 2 shown]
	v_cmp_gt_i32_e32 vcc_lo, 32, v14
	v_cndmask_b32_e32 v14, v24, v14, vcc_lo
	s_delay_alu instid0(VALU_DEP_1)
	v_lshlrev_b32_e32 v21, 2, v14
	ds_bpermute_b32 v14, v21, v6
	ds_bpermute_b32 v15, v21, v7
	;; [unrolled: 1-line block ×8, first 2 shown]
	s_waitcnt lgkmcnt(6)
	v_add_f64 v[6:7], v[6:7], v[14:15]
	s_waitcnt lgkmcnt(4)
	v_add_f64 v[12:13], v[12:13], v[16:17]
	;; [unrolled: 2-line block ×4, first 2 shown]
	v_xor_b32_e32 v8, 2, v24
	s_delay_alu instid0(VALU_DEP_1) | instskip(SKIP_1) | instid1(VALU_DEP_1)
	v_cmp_gt_i32_e32 vcc_lo, 32, v8
	v_cndmask_b32_e32 v8, v24, v8, vcc_lo
	v_lshlrev_b32_e32 v10, 2, v8
	ds_bpermute_b32 v8, v10, v6
	ds_bpermute_b32 v9, v10, v7
	;; [unrolled: 1-line block ×8, first 2 shown]
	s_waitcnt lgkmcnt(6)
	v_add_f64 v[10:11], v[6:7], v[8:9]
	s_waitcnt lgkmcnt(4)
	v_add_f64 v[8:9], v[12:13], v[18:19]
	v_xor_b32_e32 v12, 1, v24
	s_waitcnt lgkmcnt(2)
	v_add_f64 v[6:7], v[14:15], v[20:21]
	s_waitcnt lgkmcnt(0)
	v_add_f64 v[14:15], v[16:17], v[22:23]
	v_cmp_gt_i32_e32 vcc_lo, 32, v12
	v_cndmask_b32_e32 v12, v24, v12, vcc_lo
	v_cmp_eq_u32_e32 vcc_lo, 31, v0
	s_delay_alu instid0(VALU_DEP_2)
	v_lshlrev_b32_e32 v17, 2, v12
	ds_bpermute_b32 v12, v17, v10
	ds_bpermute_b32 v13, v17, v11
	;; [unrolled: 1-line block ×8, first 2 shown]
	s_and_b32 exec_lo, exec_lo, vcc_lo
	s_cbranch_execz .LBB60_23
; %bb.19:
	s_waitcnt lgkmcnt(6)
	v_add_f64 v[12:13], v[10:11], v[12:13]
	s_waitcnt lgkmcnt(4)
	v_add_f64 v[10:11], v[8:9], v[20:21]
	;; [unrolled: 2-line block ×4, first 2 shown]
	s_load_b64 s[0:1], s[0:1], 0x38
	s_mov_b32 s2, exec_lo
	v_cmpx_eq_f64_e32 0, v[3:4]
	s_xor_b32 s2, exec_lo, s2
	s_cbranch_execz .LBB60_21
; %bb.20:
	v_mul_f64 v[12:13], v[1:2], v[12:13]
	v_mul_f64 v[14:15], v[1:2], v[10:11]
	;; [unrolled: 1-line block ×4, first 2 shown]
	v_lshlrev_b32_e32 v0, 2, v5
                                        ; implicit-def: $vgpr5
                                        ; implicit-def: $vgpr3_vgpr4
                                        ; implicit-def: $vgpr6_vgpr7
	s_delay_alu instid0(VALU_DEP_1) | instskip(NEXT) | instid1(VALU_DEP_1)
	v_ashrrev_i32_e32 v1, 31, v0
	v_lshlrev_b64 v[0:1], 3, v[0:1]
	s_waitcnt lgkmcnt(0)
	s_delay_alu instid0(VALU_DEP_1) | instskip(NEXT) | instid1(VALU_DEP_2)
	v_add_co_u32 v0, vcc_lo, s0, v0
	v_add_co_ci_u32_e32 v1, vcc_lo, s1, v1, vcc_lo
	s_clause 0x1
	global_store_b128 v[0:1], v[12:15], off
	global_store_b128 v[0:1], v[8:11], off offset:16
                                        ; implicit-def: $vgpr1_vgpr2
                                        ; implicit-def: $vgpr12_vgpr13
                                        ; implicit-def: $vgpr10_vgpr11
                                        ; implicit-def: $vgpr8_vgpr9
.LBB60_21:
	s_and_not1_saveexec_b32 s2, s2
	s_cbranch_execz .LBB60_23
; %bb.22:
	v_lshlrev_b32_e32 v14, 2, v5
	v_mul_f64 v[12:13], v[1:2], v[12:13]
	v_mul_f64 v[10:11], v[1:2], v[10:11]
	;; [unrolled: 1-line block ×4, first 2 shown]
	v_ashrrev_i32_e32 v15, 31, v14
	s_delay_alu instid0(VALU_DEP_1) | instskip(SKIP_1) | instid1(VALU_DEP_1)
	v_lshlrev_b64 v[14:15], 3, v[14:15]
	s_waitcnt lgkmcnt(0)
	v_add_co_u32 v22, vcc_lo, s0, v14
	s_delay_alu instid0(VALU_DEP_2)
	v_add_co_ci_u32_e32 v23, vcc_lo, s1, v15, vcc_lo
	s_clause 0x1
	global_load_b128 v[14:17], v[22:23], off
	global_load_b128 v[18:21], v[22:23], off offset:16
	s_waitcnt vmcnt(1)
	v_fma_f64 v[5:6], v[3:4], v[14:15], v[12:13]
	v_fma_f64 v[7:8], v[3:4], v[16:17], v[10:11]
	s_waitcnt vmcnt(0)
	v_fma_f64 v[0:1], v[3:4], v[18:19], v[24:25]
	v_fma_f64 v[2:3], v[3:4], v[20:21], v[26:27]
	s_clause 0x1
	global_store_b128 v[22:23], v[5:8], off
	global_store_b128 v[22:23], v[0:3], off offset:16
.LBB60_23:
	s_nop 0
	s_sendmsg sendmsg(MSG_DEALLOC_VGPRS)
	s_endpgm
	.section	.rodata,"a",@progbits
	.p2align	6, 0x0
	.amdhsa_kernel _ZN9rocsparseL19gebsrmvn_4xn_kernelILj128ELj6ELj32EdEEvi20rocsparse_direction_NS_24const_host_device_scalarIT2_EEPKiS6_PKS3_S8_S4_PS3_21rocsparse_index_base_b
		.amdhsa_group_segment_fixed_size 0
		.amdhsa_private_segment_fixed_size 0
		.amdhsa_kernarg_size 72
		.amdhsa_user_sgpr_count 15
		.amdhsa_user_sgpr_dispatch_ptr 0
		.amdhsa_user_sgpr_queue_ptr 0
		.amdhsa_user_sgpr_kernarg_segment_ptr 1
		.amdhsa_user_sgpr_dispatch_id 0
		.amdhsa_user_sgpr_private_segment_size 0
		.amdhsa_wavefront_size32 1
		.amdhsa_uses_dynamic_stack 0
		.amdhsa_enable_private_segment 0
		.amdhsa_system_sgpr_workgroup_id_x 1
		.amdhsa_system_sgpr_workgroup_id_y 0
		.amdhsa_system_sgpr_workgroup_id_z 0
		.amdhsa_system_sgpr_workgroup_info 0
		.amdhsa_system_vgpr_workitem_id 0
		.amdhsa_next_free_vgpr 81
		.amdhsa_next_free_sgpr 16
		.amdhsa_reserve_vcc 1
		.amdhsa_float_round_mode_32 0
		.amdhsa_float_round_mode_16_64 0
		.amdhsa_float_denorm_mode_32 3
		.amdhsa_float_denorm_mode_16_64 3
		.amdhsa_dx10_clamp 1
		.amdhsa_ieee_mode 1
		.amdhsa_fp16_overflow 0
		.amdhsa_workgroup_processor_mode 1
		.amdhsa_memory_ordered 1
		.amdhsa_forward_progress 0
		.amdhsa_shared_vgpr_count 0
		.amdhsa_exception_fp_ieee_invalid_op 0
		.amdhsa_exception_fp_denorm_src 0
		.amdhsa_exception_fp_ieee_div_zero 0
		.amdhsa_exception_fp_ieee_overflow 0
		.amdhsa_exception_fp_ieee_underflow 0
		.amdhsa_exception_fp_ieee_inexact 0
		.amdhsa_exception_int_div_zero 0
	.end_amdhsa_kernel
	.section	.text._ZN9rocsparseL19gebsrmvn_4xn_kernelILj128ELj6ELj32EdEEvi20rocsparse_direction_NS_24const_host_device_scalarIT2_EEPKiS6_PKS3_S8_S4_PS3_21rocsparse_index_base_b,"axG",@progbits,_ZN9rocsparseL19gebsrmvn_4xn_kernelILj128ELj6ELj32EdEEvi20rocsparse_direction_NS_24const_host_device_scalarIT2_EEPKiS6_PKS3_S8_S4_PS3_21rocsparse_index_base_b,comdat
.Lfunc_end60:
	.size	_ZN9rocsparseL19gebsrmvn_4xn_kernelILj128ELj6ELj32EdEEvi20rocsparse_direction_NS_24const_host_device_scalarIT2_EEPKiS6_PKS3_S8_S4_PS3_21rocsparse_index_base_b, .Lfunc_end60-_ZN9rocsparseL19gebsrmvn_4xn_kernelILj128ELj6ELj32EdEEvi20rocsparse_direction_NS_24const_host_device_scalarIT2_EEPKiS6_PKS3_S8_S4_PS3_21rocsparse_index_base_b
                                        ; -- End function
	.section	.AMDGPU.csdata,"",@progbits
; Kernel info:
; codeLenInByte = 3328
; NumSgprs: 18
; NumVgprs: 81
; ScratchSize: 0
; MemoryBound: 1
; FloatMode: 240
; IeeeMode: 1
; LDSByteSize: 0 bytes/workgroup (compile time only)
; SGPRBlocks: 2
; VGPRBlocks: 10
; NumSGPRsForWavesPerEU: 18
; NumVGPRsForWavesPerEU: 81
; Occupancy: 16
; WaveLimiterHint : 1
; COMPUTE_PGM_RSRC2:SCRATCH_EN: 0
; COMPUTE_PGM_RSRC2:USER_SGPR: 15
; COMPUTE_PGM_RSRC2:TRAP_HANDLER: 0
; COMPUTE_PGM_RSRC2:TGID_X_EN: 1
; COMPUTE_PGM_RSRC2:TGID_Y_EN: 0
; COMPUTE_PGM_RSRC2:TGID_Z_EN: 0
; COMPUTE_PGM_RSRC2:TIDIG_COMP_CNT: 0
	.section	.text._ZN9rocsparseL19gebsrmvn_4xn_kernelILj128ELj6ELj64EdEEvi20rocsparse_direction_NS_24const_host_device_scalarIT2_EEPKiS6_PKS3_S8_S4_PS3_21rocsparse_index_base_b,"axG",@progbits,_ZN9rocsparseL19gebsrmvn_4xn_kernelILj128ELj6ELj64EdEEvi20rocsparse_direction_NS_24const_host_device_scalarIT2_EEPKiS6_PKS3_S8_S4_PS3_21rocsparse_index_base_b,comdat
	.globl	_ZN9rocsparseL19gebsrmvn_4xn_kernelILj128ELj6ELj64EdEEvi20rocsparse_direction_NS_24const_host_device_scalarIT2_EEPKiS6_PKS3_S8_S4_PS3_21rocsparse_index_base_b ; -- Begin function _ZN9rocsparseL19gebsrmvn_4xn_kernelILj128ELj6ELj64EdEEvi20rocsparse_direction_NS_24const_host_device_scalarIT2_EEPKiS6_PKS3_S8_S4_PS3_21rocsparse_index_base_b
	.p2align	8
	.type	_ZN9rocsparseL19gebsrmvn_4xn_kernelILj128ELj6ELj64EdEEvi20rocsparse_direction_NS_24const_host_device_scalarIT2_EEPKiS6_PKS3_S8_S4_PS3_21rocsparse_index_base_b,@function
_ZN9rocsparseL19gebsrmvn_4xn_kernelILj128ELj6ELj64EdEEvi20rocsparse_direction_NS_24const_host_device_scalarIT2_EEPKiS6_PKS3_S8_S4_PS3_21rocsparse_index_base_b: ; @_ZN9rocsparseL19gebsrmvn_4xn_kernelILj128ELj6ELj64EdEEvi20rocsparse_direction_NS_24const_host_device_scalarIT2_EEPKiS6_PKS3_S8_S4_PS3_21rocsparse_index_base_b
; %bb.0:
	s_clause 0x2
	s_load_b64 s[12:13], s[0:1], 0x40
	s_load_b64 s[4:5], s[0:1], 0x8
	;; [unrolled: 1-line block ×3, first 2 shown]
	s_waitcnt lgkmcnt(0)
	s_bitcmp1_b32 s13, 0
	v_dual_mov_b32 v1, s4 :: v_dual_mov_b32 v2, s5
	s_cselect_b32 s6, -1, 0
	s_delay_alu instid0(SALU_CYCLE_1)
	s_and_b32 vcc_lo, exec_lo, s6
	s_xor_b32 s6, s6, -1
	s_cbranch_vccnz .LBB61_2
; %bb.1:
	v_dual_mov_b32 v1, s4 :: v_dual_mov_b32 v2, s5
	flat_load_b64 v[1:2], v[1:2]
.LBB61_2:
	v_dual_mov_b32 v4, s3 :: v_dual_mov_b32 v3, s2
	s_and_not1_b32 vcc_lo, exec_lo, s6
	s_cbranch_vccnz .LBB61_4
; %bb.3:
	v_dual_mov_b32 v4, s3 :: v_dual_mov_b32 v3, s2
	flat_load_b64 v[3:4], v[3:4]
.LBB61_4:
	s_waitcnt vmcnt(0) lgkmcnt(0)
	v_cmp_neq_f64_e32 vcc_lo, 0, v[1:2]
	v_cmp_neq_f64_e64 s2, 1.0, v[3:4]
	s_delay_alu instid0(VALU_DEP_1) | instskip(NEXT) | instid1(SALU_CYCLE_1)
	s_or_b32 s2, vcc_lo, s2
	s_and_saveexec_b32 s3, s2
	s_cbranch_execz .LBB61_23
; %bb.5:
	s_load_b64 s[2:3], s[0:1], 0x0
	v_lshrrev_b32_e32 v5, 6, v0
	s_delay_alu instid0(VALU_DEP_1) | instskip(SKIP_1) | instid1(VALU_DEP_1)
	v_lshl_or_b32 v5, s15, 1, v5
	s_waitcnt lgkmcnt(0)
	v_cmp_gt_i32_e32 vcc_lo, s2, v5
	s_and_b32 exec_lo, exec_lo, vcc_lo
	s_cbranch_execz .LBB61_23
; %bb.6:
	s_load_b256 s[4:11], s[0:1], 0x10
	v_ashrrev_i32_e32 v6, 31, v5
	v_and_b32_e32 v0, 63, v0
	s_cmp_lg_u32 s3, 0
	s_delay_alu instid0(VALU_DEP_2) | instskip(SKIP_1) | instid1(VALU_DEP_1)
	v_lshlrev_b64 v[6:7], 2, v[5:6]
	s_waitcnt lgkmcnt(0)
	v_add_co_u32 v6, vcc_lo, s4, v6
	s_delay_alu instid0(VALU_DEP_2) | instskip(SKIP_4) | instid1(VALU_DEP_2)
	v_add_co_ci_u32_e32 v7, vcc_lo, s5, v7, vcc_lo
	global_load_b64 v[6:7], v[6:7], off
	s_waitcnt vmcnt(0)
	v_subrev_nc_u32_e32 v6, s12, v6
	v_subrev_nc_u32_e32 v20, s12, v7
	v_add_nc_u32_e32 v14, v6, v0
	s_delay_alu instid0(VALU_DEP_1)
	v_cmp_lt_i32_e64 s2, v14, v20
	s_cbranch_scc0 .LBB61_12
; %bb.7:
	v_mov_b32_e32 v6, 0
	v_mov_b32_e32 v7, 0
	s_delay_alu instid0(VALU_DEP_1)
	v_dual_mov_b32 v9, v7 :: v_dual_mov_b32 v8, v6
	v_dual_mov_b32 v11, v7 :: v_dual_mov_b32 v10, v6
	;; [unrolled: 1-line block ×3, first 2 shown]
	s_and_saveexec_b32 s3, s2
	s_cbranch_execz .LBB61_11
; %bb.8:
	v_dual_mov_b32 v6, 0 :: v_dual_mov_b32 v17, 0
	v_dual_mov_b32 v7, 0 :: v_dual_mov_b32 v18, v14
	v_mad_u64_u32 v[15:16], null, v14, 24, 20
	s_mov_b32 s4, 0
	s_delay_alu instid0(VALU_DEP_2)
	v_dual_mov_b32 v9, v7 :: v_dual_mov_b32 v8, v6
	v_dual_mov_b32 v11, v7 :: v_dual_mov_b32 v10, v6
	;; [unrolled: 1-line block ×3, first 2 shown]
.LBB61_9:                               ; =>This Inner Loop Header: Depth=1
	v_ashrrev_i32_e32 v19, 31, v18
	v_subrev_nc_u32_e32 v16, 20, v15
	v_mov_b32_e32 v62, v17
	s_delay_alu instid0(VALU_DEP_3) | instskip(SKIP_1) | instid1(VALU_DEP_2)
	v_lshlrev_b64 v[21:22], 2, v[18:19]
	v_add_nc_u32_e32 v18, 64, v18
	v_add_co_u32 v21, vcc_lo, s6, v21
	s_delay_alu instid0(VALU_DEP_3) | instskip(SKIP_2) | instid1(VALU_DEP_1)
	v_add_co_ci_u32_e32 v22, vcc_lo, s7, v22, vcc_lo
	global_load_b32 v19, v[21:22], off
	v_lshlrev_b64 v[21:22], 3, v[16:17]
	v_add_co_u32 v37, vcc_lo, s8, v21
	s_delay_alu instid0(VALU_DEP_2) | instskip(SKIP_3) | instid1(VALU_DEP_1)
	v_add_co_ci_u32_e32 v38, vcc_lo, s9, v22, vcc_lo
	global_load_b128 v[21:24], v[37:38], off offset:16
	s_waitcnt vmcnt(1)
	v_subrev_nc_u32_e32 v16, s12, v19
	v_mul_lo_u32 v61, v16, 6
	v_add_nc_u32_e32 v16, -12, v15
	s_delay_alu instid0(VALU_DEP_1) | instskip(NEXT) | instid1(VALU_DEP_3)
	v_lshlrev_b64 v[41:42], 3, v[16:17]
	v_lshlrev_b64 v[25:26], 3, v[61:62]
	v_add_nc_u32_e32 v16, 2, v61
	s_delay_alu instid0(VALU_DEP_1) | instskip(NEXT) | instid1(VALU_DEP_3)
	v_lshlrev_b64 v[47:48], 3, v[16:17]
	v_add_co_u32 v29, vcc_lo, s10, v25
	s_delay_alu instid0(VALU_DEP_4)
	v_add_co_ci_u32_e32 v30, vcc_lo, s11, v26, vcc_lo
	v_add_co_u32 v45, vcc_lo, s8, v41
	global_load_b128 v[25:28], v[37:38], off
	global_load_b128 v[29:32], v[29:30], off
	s_clause 0x1
	global_load_b128 v[33:36], v[37:38], off offset:48
	global_load_b128 v[37:40], v[37:38], off offset:32
	v_add_co_ci_u32_e32 v46, vcc_lo, s9, v42, vcc_lo
	v_add_co_u32 v49, vcc_lo, s10, v47
	v_add_co_ci_u32_e32 v50, vcc_lo, s11, v48, vcc_lo
	s_clause 0x1
	global_load_b128 v[41:44], v[45:46], off offset:16
	global_load_b128 v[45:48], v[45:46], off
	global_load_b128 v[49:52], v[49:50], off
	v_add_nc_u32_e32 v16, -8, v15
	s_delay_alu instid0(VALU_DEP_1) | instskip(SKIP_1) | instid1(VALU_DEP_2)
	v_lshlrev_b64 v[53:54], 3, v[16:17]
	v_add_nc_u32_e32 v16, -4, v15
	v_add_co_u32 v57, vcc_lo, s8, v53
	s_delay_alu instid0(VALU_DEP_3)
	v_add_co_ci_u32_e32 v58, vcc_lo, s9, v54, vcc_lo
	s_clause 0x1
	global_load_b128 v[53:56], v[57:58], off
	global_load_b128 v[57:60], v[57:58], off offset:16
	v_lshlrev_b64 v[62:63], 3, v[16:17]
	v_add_nc_u32_e32 v16, 4, v61
	s_delay_alu instid0(VALU_DEP_1) | instskip(NEXT) | instid1(VALU_DEP_3)
	v_lshlrev_b64 v[64:65], 3, v[16:17]
	v_add_co_u32 v66, vcc_lo, s8, v62
	s_delay_alu instid0(VALU_DEP_4) | instskip(SKIP_1) | instid1(VALU_DEP_4)
	v_add_co_ci_u32_e32 v67, vcc_lo, s9, v63, vcc_lo
	v_mov_b32_e32 v16, v17
	v_add_co_u32 v69, vcc_lo, s10, v64
	v_add_co_ci_u32_e32 v70, vcc_lo, s11, v65, vcc_lo
	s_clause 0x1
	global_load_b128 v[61:64], v[66:67], off offset:16
	global_load_b128 v[65:68], v[66:67], off
	global_load_b128 v[69:72], v[69:70], off
	v_lshlrev_b64 v[73:74], 3, v[15:16]
	v_add_nc_u32_e32 v15, 0x600, v15
	s_delay_alu instid0(VALU_DEP_2) | instskip(NEXT) | instid1(VALU_DEP_3)
	v_add_co_u32 v77, vcc_lo, s8, v73
	v_add_co_ci_u32_e32 v78, vcc_lo, s9, v74, vcc_lo
	s_clause 0x1
	global_load_b128 v[73:76], v[77:78], off
	global_load_b128 v[77:80], v[77:78], off offset:16
	v_cmp_ge_i32_e32 vcc_lo, v18, v20
	s_or_b32 s4, vcc_lo, s4
	s_waitcnt vmcnt(12)
	v_fma_f64 v[6:7], v[25:26], v[29:30], v[6:7]
	v_fma_f64 v[12:13], v[27:28], v[29:30], v[12:13]
	;; [unrolled: 1-line block ×4, first 2 shown]
	s_waitcnt vmcnt(10)
	s_delay_alu instid0(VALU_DEP_4) | instskip(NEXT) | instid1(VALU_DEP_4)
	v_fma_f64 v[6:7], v[37:38], v[31:32], v[6:7]
	v_fma_f64 v[12:13], v[39:40], v[31:32], v[12:13]
	s_delay_alu instid0(VALU_DEP_4) | instskip(NEXT) | instid1(VALU_DEP_4)
	v_fma_f64 v[10:11], v[33:34], v[31:32], v[10:11]
	v_fma_f64 v[8:9], v[35:36], v[31:32], v[8:9]
	s_waitcnt vmcnt(7)
	s_delay_alu instid0(VALU_DEP_4) | instskip(NEXT) | instid1(VALU_DEP_4)
	v_fma_f64 v[6:7], v[45:46], v[49:50], v[6:7]
	v_fma_f64 v[12:13], v[47:48], v[49:50], v[12:13]
	s_delay_alu instid0(VALU_DEP_4) | instskip(NEXT) | instid1(VALU_DEP_4)
	v_fma_f64 v[10:11], v[41:42], v[49:50], v[10:11]
	v_fma_f64 v[8:9], v[43:44], v[49:50], v[8:9]
	s_waitcnt vmcnt(6)
	s_delay_alu instid0(VALU_DEP_4) | instskip(NEXT) | instid1(VALU_DEP_4)
	v_fma_f64 v[6:7], v[53:54], v[51:52], v[6:7]
	v_fma_f64 v[12:13], v[55:56], v[51:52], v[12:13]
	s_waitcnt vmcnt(5)
	;; [unrolled: 4-line block ×3, first 2 shown]
	s_delay_alu instid0(VALU_DEP_4) | instskip(NEXT) | instid1(VALU_DEP_4)
	v_fma_f64 v[6:7], v[65:66], v[69:70], v[6:7]
	v_fma_f64 v[12:13], v[67:68], v[69:70], v[12:13]
	s_delay_alu instid0(VALU_DEP_4) | instskip(NEXT) | instid1(VALU_DEP_4)
	v_fma_f64 v[10:11], v[61:62], v[69:70], v[10:11]
	v_fma_f64 v[8:9], v[63:64], v[69:70], v[8:9]
	s_waitcnt vmcnt(1)
	s_delay_alu instid0(VALU_DEP_4) | instskip(NEXT) | instid1(VALU_DEP_4)
	v_fma_f64 v[6:7], v[73:74], v[71:72], v[6:7]
	v_fma_f64 v[12:13], v[75:76], v[71:72], v[12:13]
	s_waitcnt vmcnt(0)
	s_delay_alu instid0(VALU_DEP_4) | instskip(NEXT) | instid1(VALU_DEP_4)
	v_fma_f64 v[10:11], v[77:78], v[71:72], v[10:11]
	v_fma_f64 v[8:9], v[79:80], v[71:72], v[8:9]
	s_and_not1_b32 exec_lo, exec_lo, s4
	s_cbranch_execnz .LBB61_9
; %bb.10:
	s_or_b32 exec_lo, exec_lo, s4
.LBB61_11:
	s_delay_alu instid0(SALU_CYCLE_1)
	s_or_b32 exec_lo, exec_lo, s3
	s_cbranch_execz .LBB61_13
	s_branch .LBB61_18
.LBB61_12:
                                        ; implicit-def: $vgpr6_vgpr7
                                        ; implicit-def: $vgpr8_vgpr9
                                        ; implicit-def: $vgpr10_vgpr11
                                        ; implicit-def: $vgpr12_vgpr13
.LBB61_13:
	v_mov_b32_e32 v6, 0
	v_mov_b32_e32 v7, 0
	s_delay_alu instid0(VALU_DEP_1)
	v_dual_mov_b32 v9, v7 :: v_dual_mov_b32 v8, v6
	v_dual_mov_b32 v11, v7 :: v_dual_mov_b32 v10, v6
	;; [unrolled: 1-line block ×3, first 2 shown]
	s_and_saveexec_b32 s3, s2
	s_cbranch_execz .LBB61_17
; %bb.14:
	v_mov_b32_e32 v6, 0
	v_dual_mov_b32 v7, 0 :: v_dual_mov_b32 v18, 0
	v_mad_u64_u32 v[16:17], null, v14, 24, 23
	s_mov_b32 s2, 0
	s_delay_alu instid0(VALU_DEP_2)
	v_dual_mov_b32 v9, v7 :: v_dual_mov_b32 v8, v6
	v_dual_mov_b32 v11, v7 :: v_dual_mov_b32 v10, v6
	;; [unrolled: 1-line block ×3, first 2 shown]
.LBB61_15:                              ; =>This Inner Loop Header: Depth=1
	v_ashrrev_i32_e32 v15, 31, v14
	v_subrev_nc_u32_e32 v17, 23, v16
	v_dual_mov_b32 v24, v18 :: v_dual_add_nc_u32 v23, -5, v16
	v_mov_b32_e32 v42, v18
	s_delay_alu instid0(VALU_DEP_4) | instskip(NEXT) | instid1(VALU_DEP_4)
	v_lshlrev_b64 v[21:22], 2, v[14:15]
	v_lshlrev_b64 v[25:26], 3, v[17:18]
	v_add_nc_u32_e32 v17, -10, v16
	v_add_nc_u32_e32 v14, 64, v14
	s_delay_alu instid0(VALU_DEP_4)
	v_add_co_u32 v21, vcc_lo, s6, v21
	v_add_co_ci_u32_e32 v22, vcc_lo, s7, v22, vcc_lo
	v_add_co_u32 v43, vcc_lo, s8, v25
	v_add_co_ci_u32_e32 v44, vcc_lo, s9, v26, vcc_lo
	global_load_b32 v15, v[21:22], off
	v_dual_mov_b32 v22, v18 :: v_dual_add_nc_u32 v21, -11, v16
	v_lshlrev_b64 v[23:24], 3, v[23:24]
	v_lshlrev_b64 v[37:38], 3, v[17:18]
	v_add_nc_u32_e32 v17, -4, v16
	s_delay_alu instid0(VALU_DEP_4) | instskip(NEXT) | instid1(VALU_DEP_2)
	v_lshlrev_b64 v[21:22], 3, v[21:22]
	v_lshlrev_b64 v[39:40], 3, v[17:18]
	s_delay_alu instid0(VALU_DEP_2) | instskip(NEXT) | instid1(VALU_DEP_3)
	v_add_co_u32 v33, vcc_lo, s8, v21
	v_add_co_ci_u32_e32 v34, vcc_lo, s9, v22, vcc_lo
	v_add_co_u32 v35, vcc_lo, s8, v23
	v_add_co_ci_u32_e32 v36, vcc_lo, s9, v24, vcc_lo
	s_clause 0x3
	global_load_b128 v[21:24], v[43:44], off offset:48
	global_load_b128 v[25:28], v[43:44], off offset:16
	global_load_b128 v[29:32], v[43:44], off
	global_load_b64 v[49:50], v[33:34], off
	s_waitcnt vmcnt(4)
	v_subrev_nc_u32_e32 v15, s12, v15
	s_delay_alu instid0(VALU_DEP_1) | instskip(NEXT) | instid1(VALU_DEP_1)
	v_mul_lo_u32 v41, v15, 6
	v_lshlrev_b64 v[33:34], 3, v[41:42]
	v_add_nc_u32_e32 v17, 2, v41
	s_delay_alu instid0(VALU_DEP_2) | instskip(NEXT) | instid1(VALU_DEP_3)
	v_add_co_u32 v33, vcc_lo, s10, v33
	v_add_co_ci_u32_e32 v34, vcc_lo, s11, v34, vcc_lo
	global_load_b64 v[51:52], v[35:36], off
	global_load_b128 v[33:36], v[33:34], off
	v_add_co_u32 v37, vcc_lo, s8, v37
	v_add_co_ci_u32_e32 v38, vcc_lo, s9, v38, vcc_lo
	v_add_co_u32 v39, vcc_lo, s8, v39
	v_add_co_ci_u32_e32 v40, vcc_lo, s9, v40, vcc_lo
	s_clause 0x1
	global_load_b64 v[53:54], v[37:38], off
	global_load_b64 v[55:56], v[39:40], off
	v_lshlrev_b64 v[37:38], 3, v[17:18]
	v_add_nc_u32_e32 v17, -15, v16
	s_delay_alu instid0(VALU_DEP_1) | instskip(SKIP_1) | instid1(VALU_DEP_4)
	v_lshlrev_b64 v[39:40], 3, v[17:18]
	v_add_nc_u32_e32 v17, -9, v16
	v_add_co_u32 v37, vcc_lo, s10, v37
	v_add_co_ci_u32_e32 v38, vcc_lo, s11, v38, vcc_lo
	s_delay_alu instid0(VALU_DEP_3) | instskip(SKIP_3) | instid1(VALU_DEP_3)
	v_lshlrev_b64 v[45:46], 3, v[17:18]
	v_add_nc_u32_e32 v17, -3, v16
	v_add_co_u32 v47, vcc_lo, s8, v39
	v_add_co_ci_u32_e32 v48, vcc_lo, s9, v40, vcc_lo
	v_lshlrev_b64 v[39:40], 3, v[17:18]
	v_add_co_u32 v45, vcc_lo, s8, v45
	v_add_co_ci_u32_e32 v46, vcc_lo, s9, v46, vcc_lo
	v_add_nc_u32_e32 v17, -14, v16
	s_delay_alu instid0(VALU_DEP_4)
	v_add_co_u32 v57, vcc_lo, s8, v39
	v_add_co_ci_u32_e32 v58, vcc_lo, s9, v40, vcc_lo
	global_load_b128 v[37:40], v[37:38], off
	s_clause 0x2
	global_load_b64 v[59:60], v[47:48], off
	global_load_b64 v[61:62], v[45:46], off
	;; [unrolled: 1-line block ×3, first 2 shown]
	v_lshlrev_b64 v[45:46], 3, v[17:18]
	v_add_nc_u32_e32 v17, -8, v16
	s_delay_alu instid0(VALU_DEP_1) | instskip(SKIP_1) | instid1(VALU_DEP_4)
	v_lshlrev_b64 v[47:48], 3, v[17:18]
	v_add_nc_u32_e32 v17, -2, v16
	v_add_co_u32 v45, vcc_lo, s8, v45
	v_add_co_ci_u32_e32 v46, vcc_lo, s9, v46, vcc_lo
	s_delay_alu instid0(VALU_DEP_3) | instskip(SKIP_3) | instid1(VALU_DEP_4)
	v_lshlrev_b64 v[63:64], 3, v[17:18]
	v_add_co_u32 v47, vcc_lo, s8, v47
	v_add_co_ci_u32_e32 v48, vcc_lo, s9, v48, vcc_lo
	v_add_nc_u32_e32 v17, 4, v41
	v_add_co_u32 v63, vcc_lo, s8, v63
	v_add_co_ci_u32_e32 v64, vcc_lo, s9, v64, vcc_lo
	s_clause 0x2
	global_load_b64 v[65:66], v[45:46], off
	global_load_b64 v[67:68], v[47:48], off
	;; [unrolled: 1-line block ×3, first 2 shown]
	v_lshlrev_b64 v[41:42], 3, v[17:18]
	v_add_nc_u32_e32 v17, -13, v16
	s_delay_alu instid0(VALU_DEP_1) | instskip(SKIP_1) | instid1(VALU_DEP_4)
	v_lshlrev_b64 v[45:46], 3, v[17:18]
	v_add_nc_u32_e32 v17, -7, v16
	v_add_co_u32 v47, vcc_lo, s10, v41
	v_add_co_ci_u32_e32 v48, vcc_lo, s11, v42, vcc_lo
	s_delay_alu instid0(VALU_DEP_3) | instskip(SKIP_3) | instid1(VALU_DEP_3)
	v_lshlrev_b64 v[41:42], 3, v[17:18]
	v_add_nc_u32_e32 v17, -1, v16
	v_add_co_u32 v69, vcc_lo, s8, v45
	v_add_co_ci_u32_e32 v70, vcc_lo, s9, v46, vcc_lo
	v_lshlrev_b64 v[45:46], 3, v[17:18]
	v_add_co_u32 v71, vcc_lo, s8, v41
	v_add_co_ci_u32_e32 v72, vcc_lo, s9, v42, vcc_lo
	v_mov_b32_e32 v17, v18
	s_delay_alu instid0(VALU_DEP_4)
	v_add_co_u32 v73, vcc_lo, s8, v45
	v_add_co_ci_u32_e32 v74, vcc_lo, s9, v46, vcc_lo
	global_load_b128 v[41:44], v[43:44], off offset:32
	global_load_b128 v[45:48], v[47:48], off
	s_clause 0x2
	global_load_b64 v[69:70], v[69:70], off
	global_load_b64 v[71:72], v[71:72], off
	;; [unrolled: 1-line block ×3, first 2 shown]
	v_lshlrev_b64 v[75:76], 3, v[16:17]
	v_add_nc_u32_e32 v17, -12, v16
	s_delay_alu instid0(VALU_DEP_1) | instskip(SKIP_1) | instid1(VALU_DEP_4)
	v_lshlrev_b64 v[77:78], 3, v[17:18]
	v_add_nc_u32_e32 v17, -6, v16
	v_add_co_u32 v75, vcc_lo, s8, v75
	v_add_co_ci_u32_e32 v76, vcc_lo, s9, v76, vcc_lo
	s_delay_alu instid0(VALU_DEP_3) | instskip(SKIP_3) | instid1(VALU_DEP_4)
	v_lshlrev_b64 v[79:80], 3, v[17:18]
	v_add_co_u32 v77, vcc_lo, s8, v77
	v_add_co_ci_u32_e32 v78, vcc_lo, s9, v78, vcc_lo
	v_add_nc_u32_e32 v16, 0x600, v16
	v_add_co_u32 v79, vcc_lo, s8, v79
	v_add_co_ci_u32_e32 v80, vcc_lo, s9, v80, vcc_lo
	s_clause 0x2
	global_load_b64 v[77:78], v[77:78], off
	global_load_b64 v[79:80], v[79:80], off
	;; [unrolled: 1-line block ×3, first 2 shown]
	v_cmp_ge_i32_e32 vcc_lo, v14, v20
	s_or_b32 s2, vcc_lo, s2
	s_waitcnt vmcnt(17)
	v_fma_f64 v[6:7], v[29:30], v[33:34], v[6:7]
	v_fma_f64 v[12:13], v[21:22], v[33:34], v[12:13]
	;; [unrolled: 1-line block ×4, first 2 shown]
	s_delay_alu instid0(VALU_DEP_4) | instskip(NEXT) | instid1(VALU_DEP_4)
	v_fma_f64 v[6:7], v[31:32], v[35:36], v[6:7]
	v_fma_f64 v[12:13], v[23:24], v[35:36], v[12:13]
	s_waitcnt vmcnt(16)
	s_delay_alu instid0(VALU_DEP_4) | instskip(SKIP_1) | instid1(VALU_DEP_4)
	v_fma_f64 v[10:11], v[53:54], v[35:36], v[10:11]
	s_waitcnt vmcnt(15)
	v_fma_f64 v[8:9], v[55:56], v[35:36], v[8:9]
	s_waitcnt vmcnt(14)
	s_delay_alu instid0(VALU_DEP_4) | instskip(SKIP_1) | instid1(VALU_DEP_4)
	v_fma_f64 v[6:7], v[25:26], v[37:38], v[6:7]
	s_waitcnt vmcnt(13)
	;; [unrolled: 5-line block ×3, first 2 shown]
	v_fma_f64 v[8:9], v[57:58], v[37:38], v[8:9]
	s_delay_alu instid0(VALU_DEP_4) | instskip(SKIP_1) | instid1(VALU_DEP_4)
	v_fma_f64 v[6:7], v[27:28], v[39:40], v[6:7]
	s_waitcnt vmcnt(10)
	v_fma_f64 v[12:13], v[65:66], v[39:40], v[12:13]
	s_waitcnt vmcnt(9)
	s_delay_alu instid0(VALU_DEP_4) | instskip(SKIP_1) | instid1(VALU_DEP_4)
	v_fma_f64 v[10:11], v[67:68], v[39:40], v[10:11]
	s_waitcnt vmcnt(8)
	v_fma_f64 v[8:9], v[63:64], v[39:40], v[8:9]
	s_waitcnt vmcnt(6)
	;; [unrolled: 5-line block ×3, first 2 shown]
	s_delay_alu instid0(VALU_DEP_4) | instskip(SKIP_1) | instid1(VALU_DEP_4)
	v_fma_f64 v[10:11], v[71:72], v[45:46], v[10:11]
	s_waitcnt vmcnt(3)
	v_fma_f64 v[8:9], v[73:74], v[45:46], v[8:9]
	s_delay_alu instid0(VALU_DEP_4) | instskip(SKIP_1) | instid1(VALU_DEP_4)
	v_fma_f64 v[6:7], v[43:44], v[47:48], v[6:7]
	s_waitcnt vmcnt(2)
	v_fma_f64 v[12:13], v[77:78], v[47:48], v[12:13]
	s_waitcnt vmcnt(1)
	s_delay_alu instid0(VALU_DEP_4) | instskip(SKIP_1) | instid1(VALU_DEP_4)
	v_fma_f64 v[10:11], v[79:80], v[47:48], v[10:11]
	s_waitcnt vmcnt(0)
	v_fma_f64 v[8:9], v[75:76], v[47:48], v[8:9]
	s_and_not1_b32 exec_lo, exec_lo, s2
	s_cbranch_execnz .LBB61_15
; %bb.16:
	s_or_b32 exec_lo, exec_lo, s2
.LBB61_17:
	s_delay_alu instid0(SALU_CYCLE_1)
	s_or_b32 exec_lo, exec_lo, s3
.LBB61_18:
	v_mbcnt_lo_u32_b32 v24, -1, 0
	s_delay_alu instid0(VALU_DEP_1) | instskip(NEXT) | instid1(VALU_DEP_1)
	v_or_b32_e32 v14, 32, v24
	v_cmp_gt_i32_e32 vcc_lo, 32, v14
	v_cndmask_b32_e32 v14, v24, v14, vcc_lo
	s_delay_alu instid0(VALU_DEP_1)
	v_lshlrev_b32_e32 v21, 2, v14
	ds_bpermute_b32 v14, v21, v6
	ds_bpermute_b32 v15, v21, v7
	ds_bpermute_b32 v16, v21, v12
	ds_bpermute_b32 v17, v21, v13
	ds_bpermute_b32 v18, v21, v10
	ds_bpermute_b32 v19, v21, v11
	ds_bpermute_b32 v20, v21, v8
	ds_bpermute_b32 v21, v21, v9
	s_waitcnt lgkmcnt(6)
	v_add_f64 v[6:7], v[6:7], v[14:15]
	v_xor_b32_e32 v14, 16, v24
	s_waitcnt lgkmcnt(4)
	v_add_f64 v[12:13], v[12:13], v[16:17]
	s_waitcnt lgkmcnt(2)
	v_add_f64 v[10:11], v[10:11], v[18:19]
	s_waitcnt lgkmcnt(0)
	v_add_f64 v[8:9], v[8:9], v[20:21]
	v_cmp_gt_i32_e32 vcc_lo, 32, v14
	v_cndmask_b32_e32 v14, v24, v14, vcc_lo
	s_delay_alu instid0(VALU_DEP_1)
	v_lshlrev_b32_e32 v21, 2, v14
	ds_bpermute_b32 v14, v21, v6
	ds_bpermute_b32 v15, v21, v7
	ds_bpermute_b32 v16, v21, v12
	ds_bpermute_b32 v17, v21, v13
	ds_bpermute_b32 v18, v21, v10
	ds_bpermute_b32 v19, v21, v11
	ds_bpermute_b32 v20, v21, v8
	ds_bpermute_b32 v21, v21, v9
	s_waitcnt lgkmcnt(6)
	v_add_f64 v[6:7], v[6:7], v[14:15]
	v_xor_b32_e32 v14, 8, v24
	s_waitcnt lgkmcnt(4)
	v_add_f64 v[12:13], v[12:13], v[16:17]
	s_waitcnt lgkmcnt(2)
	v_add_f64 v[10:11], v[10:11], v[18:19]
	s_waitcnt lgkmcnt(0)
	v_add_f64 v[8:9], v[8:9], v[20:21]
	;; [unrolled: 21-line block ×3, first 2 shown]
	v_cmp_gt_i32_e32 vcc_lo, 32, v14
	v_cndmask_b32_e32 v14, v24, v14, vcc_lo
	s_delay_alu instid0(VALU_DEP_1)
	v_lshlrev_b32_e32 v21, 2, v14
	ds_bpermute_b32 v14, v21, v6
	ds_bpermute_b32 v15, v21, v7
	;; [unrolled: 1-line block ×8, first 2 shown]
	s_waitcnt lgkmcnt(6)
	v_add_f64 v[6:7], v[6:7], v[14:15]
	s_waitcnt lgkmcnt(4)
	v_add_f64 v[12:13], v[12:13], v[16:17]
	;; [unrolled: 2-line block ×4, first 2 shown]
	v_xor_b32_e32 v8, 2, v24
	s_delay_alu instid0(VALU_DEP_1) | instskip(SKIP_1) | instid1(VALU_DEP_1)
	v_cmp_gt_i32_e32 vcc_lo, 32, v8
	v_cndmask_b32_e32 v8, v24, v8, vcc_lo
	v_lshlrev_b32_e32 v10, 2, v8
	ds_bpermute_b32 v8, v10, v6
	ds_bpermute_b32 v9, v10, v7
	;; [unrolled: 1-line block ×8, first 2 shown]
	s_waitcnt lgkmcnt(6)
	v_add_f64 v[10:11], v[6:7], v[8:9]
	s_waitcnt lgkmcnt(4)
	v_add_f64 v[8:9], v[12:13], v[18:19]
	v_xor_b32_e32 v12, 1, v24
	s_waitcnt lgkmcnt(2)
	v_add_f64 v[6:7], v[14:15], v[20:21]
	s_waitcnt lgkmcnt(0)
	v_add_f64 v[14:15], v[16:17], v[22:23]
	v_cmp_gt_i32_e32 vcc_lo, 32, v12
	v_cndmask_b32_e32 v12, v24, v12, vcc_lo
	v_cmp_eq_u32_e32 vcc_lo, 63, v0
	s_delay_alu instid0(VALU_DEP_2)
	v_lshlrev_b32_e32 v17, 2, v12
	ds_bpermute_b32 v12, v17, v10
	ds_bpermute_b32 v13, v17, v11
	;; [unrolled: 1-line block ×8, first 2 shown]
	s_and_b32 exec_lo, exec_lo, vcc_lo
	s_cbranch_execz .LBB61_23
; %bb.19:
	s_waitcnt lgkmcnt(6)
	v_add_f64 v[12:13], v[10:11], v[12:13]
	s_waitcnt lgkmcnt(4)
	v_add_f64 v[10:11], v[8:9], v[20:21]
	;; [unrolled: 2-line block ×4, first 2 shown]
	s_load_b64 s[0:1], s[0:1], 0x38
	s_mov_b32 s2, exec_lo
	v_cmpx_eq_f64_e32 0, v[3:4]
	s_xor_b32 s2, exec_lo, s2
	s_cbranch_execz .LBB61_21
; %bb.20:
	v_mul_f64 v[12:13], v[1:2], v[12:13]
	v_mul_f64 v[14:15], v[1:2], v[10:11]
	;; [unrolled: 1-line block ×4, first 2 shown]
	v_lshlrev_b32_e32 v0, 2, v5
                                        ; implicit-def: $vgpr5
                                        ; implicit-def: $vgpr3_vgpr4
                                        ; implicit-def: $vgpr6_vgpr7
	s_delay_alu instid0(VALU_DEP_1) | instskip(NEXT) | instid1(VALU_DEP_1)
	v_ashrrev_i32_e32 v1, 31, v0
	v_lshlrev_b64 v[0:1], 3, v[0:1]
	s_waitcnt lgkmcnt(0)
	s_delay_alu instid0(VALU_DEP_1) | instskip(NEXT) | instid1(VALU_DEP_2)
	v_add_co_u32 v0, vcc_lo, s0, v0
	v_add_co_ci_u32_e32 v1, vcc_lo, s1, v1, vcc_lo
	s_clause 0x1
	global_store_b128 v[0:1], v[12:15], off
	global_store_b128 v[0:1], v[8:11], off offset:16
                                        ; implicit-def: $vgpr1_vgpr2
                                        ; implicit-def: $vgpr12_vgpr13
                                        ; implicit-def: $vgpr10_vgpr11
                                        ; implicit-def: $vgpr8_vgpr9
.LBB61_21:
	s_and_not1_saveexec_b32 s2, s2
	s_cbranch_execz .LBB61_23
; %bb.22:
	v_lshlrev_b32_e32 v14, 2, v5
	v_mul_f64 v[12:13], v[1:2], v[12:13]
	v_mul_f64 v[10:11], v[1:2], v[10:11]
	;; [unrolled: 1-line block ×4, first 2 shown]
	v_ashrrev_i32_e32 v15, 31, v14
	s_delay_alu instid0(VALU_DEP_1) | instskip(SKIP_1) | instid1(VALU_DEP_1)
	v_lshlrev_b64 v[14:15], 3, v[14:15]
	s_waitcnt lgkmcnt(0)
	v_add_co_u32 v22, vcc_lo, s0, v14
	s_delay_alu instid0(VALU_DEP_2)
	v_add_co_ci_u32_e32 v23, vcc_lo, s1, v15, vcc_lo
	s_clause 0x1
	global_load_b128 v[14:17], v[22:23], off
	global_load_b128 v[18:21], v[22:23], off offset:16
	s_waitcnt vmcnt(1)
	v_fma_f64 v[5:6], v[3:4], v[14:15], v[12:13]
	v_fma_f64 v[7:8], v[3:4], v[16:17], v[10:11]
	s_waitcnt vmcnt(0)
	v_fma_f64 v[0:1], v[3:4], v[18:19], v[24:25]
	v_fma_f64 v[2:3], v[3:4], v[20:21], v[26:27]
	s_clause 0x1
	global_store_b128 v[22:23], v[5:8], off
	global_store_b128 v[22:23], v[0:3], off offset:16
.LBB61_23:
	s_nop 0
	s_sendmsg sendmsg(MSG_DEALLOC_VGPRS)
	s_endpgm
	.section	.rodata,"a",@progbits
	.p2align	6, 0x0
	.amdhsa_kernel _ZN9rocsparseL19gebsrmvn_4xn_kernelILj128ELj6ELj64EdEEvi20rocsparse_direction_NS_24const_host_device_scalarIT2_EEPKiS6_PKS3_S8_S4_PS3_21rocsparse_index_base_b
		.amdhsa_group_segment_fixed_size 0
		.amdhsa_private_segment_fixed_size 0
		.amdhsa_kernarg_size 72
		.amdhsa_user_sgpr_count 15
		.amdhsa_user_sgpr_dispatch_ptr 0
		.amdhsa_user_sgpr_queue_ptr 0
		.amdhsa_user_sgpr_kernarg_segment_ptr 1
		.amdhsa_user_sgpr_dispatch_id 0
		.amdhsa_user_sgpr_private_segment_size 0
		.amdhsa_wavefront_size32 1
		.amdhsa_uses_dynamic_stack 0
		.amdhsa_enable_private_segment 0
		.amdhsa_system_sgpr_workgroup_id_x 1
		.amdhsa_system_sgpr_workgroup_id_y 0
		.amdhsa_system_sgpr_workgroup_id_z 0
		.amdhsa_system_sgpr_workgroup_info 0
		.amdhsa_system_vgpr_workitem_id 0
		.amdhsa_next_free_vgpr 81
		.amdhsa_next_free_sgpr 16
		.amdhsa_reserve_vcc 1
		.amdhsa_float_round_mode_32 0
		.amdhsa_float_round_mode_16_64 0
		.amdhsa_float_denorm_mode_32 3
		.amdhsa_float_denorm_mode_16_64 3
		.amdhsa_dx10_clamp 1
		.amdhsa_ieee_mode 1
		.amdhsa_fp16_overflow 0
		.amdhsa_workgroup_processor_mode 1
		.amdhsa_memory_ordered 1
		.amdhsa_forward_progress 0
		.amdhsa_shared_vgpr_count 0
		.amdhsa_exception_fp_ieee_invalid_op 0
		.amdhsa_exception_fp_denorm_src 0
		.amdhsa_exception_fp_ieee_div_zero 0
		.amdhsa_exception_fp_ieee_overflow 0
		.amdhsa_exception_fp_ieee_underflow 0
		.amdhsa_exception_fp_ieee_inexact 0
		.amdhsa_exception_int_div_zero 0
	.end_amdhsa_kernel
	.section	.text._ZN9rocsparseL19gebsrmvn_4xn_kernelILj128ELj6ELj64EdEEvi20rocsparse_direction_NS_24const_host_device_scalarIT2_EEPKiS6_PKS3_S8_S4_PS3_21rocsparse_index_base_b,"axG",@progbits,_ZN9rocsparseL19gebsrmvn_4xn_kernelILj128ELj6ELj64EdEEvi20rocsparse_direction_NS_24const_host_device_scalarIT2_EEPKiS6_PKS3_S8_S4_PS3_21rocsparse_index_base_b,comdat
.Lfunc_end61:
	.size	_ZN9rocsparseL19gebsrmvn_4xn_kernelILj128ELj6ELj64EdEEvi20rocsparse_direction_NS_24const_host_device_scalarIT2_EEPKiS6_PKS3_S8_S4_PS3_21rocsparse_index_base_b, .Lfunc_end61-_ZN9rocsparseL19gebsrmvn_4xn_kernelILj128ELj6ELj64EdEEvi20rocsparse_direction_NS_24const_host_device_scalarIT2_EEPKiS6_PKS3_S8_S4_PS3_21rocsparse_index_base_b
                                        ; -- End function
	.section	.AMDGPU.csdata,"",@progbits
; Kernel info:
; codeLenInByte = 3460
; NumSgprs: 18
; NumVgprs: 81
; ScratchSize: 0
; MemoryBound: 1
; FloatMode: 240
; IeeeMode: 1
; LDSByteSize: 0 bytes/workgroup (compile time only)
; SGPRBlocks: 2
; VGPRBlocks: 10
; NumSGPRsForWavesPerEU: 18
; NumVGPRsForWavesPerEU: 81
; Occupancy: 16
; WaveLimiterHint : 1
; COMPUTE_PGM_RSRC2:SCRATCH_EN: 0
; COMPUTE_PGM_RSRC2:USER_SGPR: 15
; COMPUTE_PGM_RSRC2:TRAP_HANDLER: 0
; COMPUTE_PGM_RSRC2:TGID_X_EN: 1
; COMPUTE_PGM_RSRC2:TGID_Y_EN: 0
; COMPUTE_PGM_RSRC2:TGID_Z_EN: 0
; COMPUTE_PGM_RSRC2:TIDIG_COMP_CNT: 0
	.section	.text._ZN9rocsparseL19gebsrmvn_4xn_kernelILj128ELj7ELj4EdEEvi20rocsparse_direction_NS_24const_host_device_scalarIT2_EEPKiS6_PKS3_S8_S4_PS3_21rocsparse_index_base_b,"axG",@progbits,_ZN9rocsparseL19gebsrmvn_4xn_kernelILj128ELj7ELj4EdEEvi20rocsparse_direction_NS_24const_host_device_scalarIT2_EEPKiS6_PKS3_S8_S4_PS3_21rocsparse_index_base_b,comdat
	.globl	_ZN9rocsparseL19gebsrmvn_4xn_kernelILj128ELj7ELj4EdEEvi20rocsparse_direction_NS_24const_host_device_scalarIT2_EEPKiS6_PKS3_S8_S4_PS3_21rocsparse_index_base_b ; -- Begin function _ZN9rocsparseL19gebsrmvn_4xn_kernelILj128ELj7ELj4EdEEvi20rocsparse_direction_NS_24const_host_device_scalarIT2_EEPKiS6_PKS3_S8_S4_PS3_21rocsparse_index_base_b
	.p2align	8
	.type	_ZN9rocsparseL19gebsrmvn_4xn_kernelILj128ELj7ELj4EdEEvi20rocsparse_direction_NS_24const_host_device_scalarIT2_EEPKiS6_PKS3_S8_S4_PS3_21rocsparse_index_base_b,@function
_ZN9rocsparseL19gebsrmvn_4xn_kernelILj128ELj7ELj4EdEEvi20rocsparse_direction_NS_24const_host_device_scalarIT2_EEPKiS6_PKS3_S8_S4_PS3_21rocsparse_index_base_b: ; @_ZN9rocsparseL19gebsrmvn_4xn_kernelILj128ELj7ELj4EdEEvi20rocsparse_direction_NS_24const_host_device_scalarIT2_EEPKiS6_PKS3_S8_S4_PS3_21rocsparse_index_base_b
; %bb.0:
	s_clause 0x2
	s_load_b64 s[12:13], s[0:1], 0x40
	s_load_b64 s[4:5], s[0:1], 0x8
	;; [unrolled: 1-line block ×3, first 2 shown]
	s_waitcnt lgkmcnt(0)
	s_bitcmp1_b32 s13, 0
	v_dual_mov_b32 v1, s4 :: v_dual_mov_b32 v2, s5
	s_cselect_b32 s6, -1, 0
	s_delay_alu instid0(SALU_CYCLE_1)
	s_and_b32 vcc_lo, exec_lo, s6
	s_xor_b32 s6, s6, -1
	s_cbranch_vccnz .LBB62_2
; %bb.1:
	v_dual_mov_b32 v1, s4 :: v_dual_mov_b32 v2, s5
	flat_load_b64 v[1:2], v[1:2]
.LBB62_2:
	v_dual_mov_b32 v4, s3 :: v_dual_mov_b32 v3, s2
	s_and_not1_b32 vcc_lo, exec_lo, s6
	s_cbranch_vccnz .LBB62_4
; %bb.3:
	v_dual_mov_b32 v4, s3 :: v_dual_mov_b32 v3, s2
	flat_load_b64 v[3:4], v[3:4]
.LBB62_4:
	s_waitcnt vmcnt(0) lgkmcnt(0)
	v_cmp_neq_f64_e32 vcc_lo, 0, v[1:2]
	v_cmp_neq_f64_e64 s2, 1.0, v[3:4]
	s_delay_alu instid0(VALU_DEP_1) | instskip(NEXT) | instid1(SALU_CYCLE_1)
	s_or_b32 s2, vcc_lo, s2
	s_and_saveexec_b32 s3, s2
	s_cbranch_execz .LBB62_23
; %bb.5:
	s_load_b64 s[2:3], s[0:1], 0x0
	v_lshrrev_b32_e32 v5, 2, v0
	s_delay_alu instid0(VALU_DEP_1) | instskip(SKIP_1) | instid1(VALU_DEP_1)
	v_lshl_or_b32 v5, s15, 5, v5
	s_waitcnt lgkmcnt(0)
	v_cmp_gt_i32_e32 vcc_lo, s2, v5
	s_and_b32 exec_lo, exec_lo, vcc_lo
	s_cbranch_execz .LBB62_23
; %bb.6:
	s_load_b256 s[4:11], s[0:1], 0x10
	v_ashrrev_i32_e32 v6, 31, v5
	v_and_b32_e32 v0, 3, v0
	s_cmp_lg_u32 s3, 0
	s_delay_alu instid0(VALU_DEP_2) | instskip(SKIP_1) | instid1(VALU_DEP_1)
	v_lshlrev_b64 v[6:7], 2, v[5:6]
	s_waitcnt lgkmcnt(0)
	v_add_co_u32 v6, vcc_lo, s4, v6
	s_delay_alu instid0(VALU_DEP_2) | instskip(SKIP_4) | instid1(VALU_DEP_2)
	v_add_co_ci_u32_e32 v7, vcc_lo, s5, v7, vcc_lo
	global_load_b64 v[6:7], v[6:7], off
	s_waitcnt vmcnt(0)
	v_subrev_nc_u32_e32 v6, s12, v6
	v_subrev_nc_u32_e32 v21, s12, v7
	v_add_nc_u32_e32 v6, v6, v0
	s_delay_alu instid0(VALU_DEP_1)
	v_cmp_lt_i32_e64 s2, v6, v21
	s_cbranch_scc0 .LBB62_12
; %bb.7:
	v_mov_b32_e32 v8, 0
	v_mov_b32_e32 v9, 0
	s_delay_alu instid0(VALU_DEP_1)
	v_dual_mov_b32 v11, v9 :: v_dual_mov_b32 v10, v8
	v_dual_mov_b32 v13, v9 :: v_dual_mov_b32 v12, v8
	;; [unrolled: 1-line block ×3, first 2 shown]
	s_and_saveexec_b32 s3, s2
	s_cbranch_execz .LBB62_11
; %bb.8:
	v_dual_mov_b32 v8, 0 :: v_dual_mov_b32 v19, v6
	v_dual_mov_b32 v9, 0 :: v_dual_mov_b32 v18, 0
	v_mad_u64_u32 v[16:17], null, v6, 28, 24
	s_mov_b32 s4, 0
	s_delay_alu instid0(VALU_DEP_2)
	v_dual_mov_b32 v11, v9 :: v_dual_mov_b32 v10, v8
	v_dual_mov_b32 v13, v9 :: v_dual_mov_b32 v12, v8
	;; [unrolled: 1-line block ×3, first 2 shown]
.LBB62_9:                               ; =>This Inner Loop Header: Depth=1
	v_ashrrev_i32_e32 v20, 31, v19
	v_subrev_nc_u32_e32 v17, 24, v16
	v_mov_b32_e32 v75, v18
	s_delay_alu instid0(VALU_DEP_3) | instskip(SKIP_1) | instid1(VALU_DEP_2)
	v_lshlrev_b64 v[22:23], 2, v[19:20]
	v_add_nc_u32_e32 v19, 4, v19
	v_add_co_u32 v22, vcc_lo, s6, v22
	s_delay_alu instid0(VALU_DEP_3) | instskip(SKIP_3) | instid1(VALU_DEP_2)
	v_add_co_ci_u32_e32 v23, vcc_lo, s7, v23, vcc_lo
	global_load_b32 v7, v[22:23], off
	v_lshlrev_b64 v[22:23], 3, v[17:18]
	v_subrev_nc_u32_e32 v17, 20, v16
	v_add_co_u32 v26, vcc_lo, s8, v22
	s_delay_alu instid0(VALU_DEP_3) | instskip(SKIP_3) | instid1(VALU_DEP_1)
	v_add_co_ci_u32_e32 v27, vcc_lo, s9, v23, vcc_lo
	global_load_b128 v[22:25], v[26:27], off offset:16
	s_waitcnt vmcnt(1)
	v_subrev_nc_u32_e32 v7, s12, v7
	v_mul_lo_u32 v74, v7, 7
	s_delay_alu instid0(VALU_DEP_1) | instskip(NEXT) | instid1(VALU_DEP_1)
	v_lshlrev_b64 v[28:29], 3, v[74:75]
	v_add_co_u32 v30, vcc_lo, s10, v28
	s_delay_alu instid0(VALU_DEP_2) | instskip(SKIP_4) | instid1(VALU_DEP_1)
	v_add_co_ci_u32_e32 v31, vcc_lo, s11, v29, vcc_lo
	global_load_b128 v[26:29], v[26:27], off
	global_load_b64 v[78:79], v[30:31], off
	v_lshlrev_b64 v[30:31], 3, v[17:18]
	v_add_nc_u32_e32 v17, 1, v74
	v_lshlrev_b64 v[36:37], 3, v[17:18]
	s_delay_alu instid0(VALU_DEP_3) | instskip(NEXT) | instid1(VALU_DEP_4)
	v_add_co_u32 v34, vcc_lo, s8, v30
	v_add_co_ci_u32_e32 v35, vcc_lo, s9, v31, vcc_lo
	v_add_nc_u32_e32 v17, -16, v16
	s_delay_alu instid0(VALU_DEP_4)
	v_add_co_u32 v38, vcc_lo, s10, v36
	v_add_co_ci_u32_e32 v39, vcc_lo, s11, v37, vcc_lo
	s_clause 0x1
	global_load_b128 v[30:33], v[34:35], off offset:16
	global_load_b128 v[34:37], v[34:35], off
	global_load_b64 v[80:81], v[38:39], off
	v_lshlrev_b64 v[38:39], 3, v[17:18]
	v_add_nc_u32_e32 v17, 2, v74
	s_delay_alu instid0(VALU_DEP_1) | instskip(NEXT) | instid1(VALU_DEP_3)
	v_lshlrev_b64 v[40:41], 3, v[17:18]
	v_add_co_u32 v42, vcc_lo, s8, v38
	s_delay_alu instid0(VALU_DEP_4) | instskip(SKIP_1) | instid1(VALU_DEP_4)
	v_add_co_ci_u32_e32 v43, vcc_lo, s9, v39, vcc_lo
	v_add_nc_u32_e32 v17, -12, v16
	v_add_co_u32 v46, vcc_lo, s10, v40
	v_add_co_ci_u32_e32 v47, vcc_lo, s11, v41, vcc_lo
	s_clause 0x1
	global_load_b128 v[38:41], v[42:43], off offset:16
	global_load_b128 v[42:45], v[42:43], off
	global_load_b64 v[82:83], v[46:47], off
	v_lshlrev_b64 v[46:47], 3, v[17:18]
	v_add_nc_u32_e32 v17, 3, v74
	s_delay_alu instid0(VALU_DEP_1) | instskip(NEXT) | instid1(VALU_DEP_3)
	v_lshlrev_b64 v[48:49], 3, v[17:18]
	v_add_co_u32 v50, vcc_lo, s8, v46
	s_delay_alu instid0(VALU_DEP_4) | instskip(SKIP_1) | instid1(VALU_DEP_4)
	v_add_co_ci_u32_e32 v51, vcc_lo, s9, v47, vcc_lo
	v_add_nc_u32_e32 v17, -8, v16
	;; [unrolled: 14-line block ×3, first 2 shown]
	v_add_co_u32 v62, vcc_lo, s10, v56
	v_add_co_ci_u32_e32 v63, vcc_lo, s11, v57, vcc_lo
	s_clause 0x1
	global_load_b128 v[54:57], v[58:59], off offset:16
	global_load_b128 v[58:61], v[58:59], off
	global_load_b64 v[86:87], v[62:63], off
	v_lshlrev_b64 v[62:63], 3, v[17:18]
	v_add_nc_u32_e32 v17, 5, v74
	s_delay_alu instid0(VALU_DEP_1) | instskip(NEXT) | instid1(VALU_DEP_3)
	v_lshlrev_b64 v[64:65], 3, v[17:18]
	v_add_co_u32 v66, vcc_lo, s8, v62
	s_delay_alu instid0(VALU_DEP_4) | instskip(SKIP_1) | instid1(VALU_DEP_4)
	v_add_co_ci_u32_e32 v67, vcc_lo, s9, v63, vcc_lo
	v_mov_b32_e32 v17, v18
	v_add_co_u32 v70, vcc_lo, s10, v64
	v_add_co_ci_u32_e32 v71, vcc_lo, s11, v65, vcc_lo
	s_clause 0x1
	global_load_b128 v[62:65], v[66:67], off offset:16
	global_load_b128 v[66:69], v[66:67], off
	global_load_b64 v[88:89], v[70:71], off
	v_lshlrev_b64 v[70:71], 3, v[16:17]
	v_add_nc_u32_e32 v16, 0x70, v16
	v_add_nc_u32_e32 v17, 6, v74
	s_delay_alu instid0(VALU_DEP_3) | instskip(NEXT) | instid1(VALU_DEP_2)
	v_add_co_u32 v75, vcc_lo, s8, v70
	v_lshlrev_b64 v[90:91], 3, v[17:18]
	v_add_co_ci_u32_e32 v76, vcc_lo, s9, v71, vcc_lo
	s_delay_alu instid0(VALU_DEP_2) | instskip(NEXT) | instid1(VALU_DEP_3)
	v_add_co_u32 v90, vcc_lo, s10, v90
	v_add_co_ci_u32_e32 v91, vcc_lo, s11, v91, vcc_lo
	s_clause 0x1
	global_load_b128 v[70:73], v[75:76], off offset:16
	global_load_b128 v[74:77], v[75:76], off
	global_load_b64 v[90:91], v[90:91], off
	v_cmp_ge_i32_e32 vcc_lo, v19, v21
	s_or_b32 s4, vcc_lo, s4
	s_waitcnt vmcnt(18)
	v_fma_f64 v[7:8], v[26:27], v[78:79], v[8:9]
	v_fma_f64 v[14:15], v[28:29], v[78:79], v[14:15]
	;; [unrolled: 1-line block ×4, first 2 shown]
	s_waitcnt vmcnt(15)
	s_delay_alu instid0(VALU_DEP_4) | instskip(NEXT) | instid1(VALU_DEP_4)
	v_fma_f64 v[7:8], v[34:35], v[80:81], v[7:8]
	v_fma_f64 v[14:15], v[36:37], v[80:81], v[14:15]
	s_delay_alu instid0(VALU_DEP_4) | instskip(NEXT) | instid1(VALU_DEP_4)
	v_fma_f64 v[11:12], v[30:31], v[80:81], v[12:13]
	v_fma_f64 v[9:10], v[32:33], v[80:81], v[9:10]
	s_waitcnt vmcnt(12)
	s_delay_alu instid0(VALU_DEP_4) | instskip(NEXT) | instid1(VALU_DEP_4)
	v_fma_f64 v[7:8], v[42:43], v[82:83], v[7:8]
	v_fma_f64 v[13:14], v[44:45], v[82:83], v[14:15]
	s_delay_alu instid0(VALU_DEP_4) | instskip(NEXT) | instid1(VALU_DEP_4)
	v_fma_f64 v[11:12], v[38:39], v[82:83], v[11:12]
	v_fma_f64 v[9:10], v[40:41], v[82:83], v[9:10]
	;; [unrolled: 7-line block ×6, first 2 shown]
	s_and_not1_b32 exec_lo, exec_lo, s4
	s_cbranch_execnz .LBB62_9
; %bb.10:
	s_or_b32 exec_lo, exec_lo, s4
.LBB62_11:
	s_delay_alu instid0(SALU_CYCLE_1)
	s_or_b32 exec_lo, exec_lo, s3
	s_cbranch_execz .LBB62_13
	s_branch .LBB62_18
.LBB62_12:
                                        ; implicit-def: $vgpr8_vgpr9
                                        ; implicit-def: $vgpr10_vgpr11
                                        ; implicit-def: $vgpr12_vgpr13
                                        ; implicit-def: $vgpr14_vgpr15
.LBB62_13:
	v_mov_b32_e32 v8, 0
	v_mov_b32_e32 v9, 0
	s_delay_alu instid0(VALU_DEP_1)
	v_dual_mov_b32 v11, v9 :: v_dual_mov_b32 v10, v8
	v_dual_mov_b32 v13, v9 :: v_dual_mov_b32 v12, v8
	;; [unrolled: 1-line block ×3, first 2 shown]
	s_and_saveexec_b32 s3, s2
	s_cbranch_execz .LBB62_17
; %bb.14:
	v_dual_mov_b32 v8, 0 :: v_dual_mov_b32 v19, 0
	v_mov_b32_e32 v9, 0
	v_mad_u64_u32 v[16:17], null, v6, 28, 27
	s_mov_b32 s2, 0
	s_delay_alu instid0(VALU_DEP_2)
	v_dual_mov_b32 v11, v9 :: v_dual_mov_b32 v10, v8
	v_dual_mov_b32 v13, v9 :: v_dual_mov_b32 v12, v8
	;; [unrolled: 1-line block ×3, first 2 shown]
.LBB62_15:                              ; =>This Inner Loop Header: Depth=1
	v_ashrrev_i32_e32 v7, 31, v6
	v_subrev_nc_u32_e32 v22, 20, v16
	v_dual_mov_b32 v23, v19 :: v_dual_add_nc_u32 v26, -6, v16
	v_dual_mov_b32 v31, v19 :: v_dual_add_nc_u32 v24, -13, v16
	s_delay_alu instid0(VALU_DEP_4) | instskip(SKIP_1) | instid1(VALU_DEP_4)
	v_lshlrev_b64 v[17:18], 2, v[6:7]
	v_mov_b32_e32 v27, v19
	v_lshlrev_b64 v[22:23], 3, v[22:23]
	v_add_nc_u32_e32 v6, 4, v6
	s_delay_alu instid0(VALU_DEP_3)
	v_lshlrev_b64 v[26:27], 3, v[26:27]
	v_add_co_u32 v17, vcc_lo, s6, v17
	v_add_co_ci_u32_e32 v18, vcc_lo, s7, v18, vcc_lo
	global_load_b32 v7, v[17:18], off
	v_subrev_nc_u32_e32 v18, 27, v16
	v_mov_b32_e32 v17, v19
	s_delay_alu instid0(VALU_DEP_2) | instskip(NEXT) | instid1(VALU_DEP_2)
	v_lshlrev_b64 v[28:29], 3, v[18:19]
	v_lshlrev_b64 v[17:18], 3, v[16:17]
	s_delay_alu instid0(VALU_DEP_2) | instskip(NEXT) | instid1(VALU_DEP_3)
	v_add_co_u32 v28, vcc_lo, s8, v28
	v_add_co_ci_u32_e32 v29, vcc_lo, s9, v29, vcc_lo
	v_add_co_u32 v32, vcc_lo, s8, v22
	v_add_co_ci_u32_e32 v33, vcc_lo, s9, v23, vcc_lo
	s_waitcnt vmcnt(0)
	v_subrev_nc_u32_e32 v7, s12, v7
	s_delay_alu instid0(VALU_DEP_1) | instskip(SKIP_1) | instid1(VALU_DEP_1)
	v_mul_lo_u32 v30, v7, 7
	v_mov_b32_e32 v25, v19
	v_lshlrev_b64 v[24:25], 3, v[24:25]
	s_delay_alu instid0(VALU_DEP_1) | instskip(NEXT) | instid1(VALU_DEP_2)
	v_add_co_u32 v34, vcc_lo, s8, v24
	v_add_co_ci_u32_e32 v35, vcc_lo, s9, v25, vcc_lo
	v_add_co_u32 v36, vcc_lo, s8, v26
	v_add_co_ci_u32_e32 v37, vcc_lo, s9, v27, vcc_lo
	;; [unrolled: 2-line block ×3, first 2 shown]
	v_lshlrev_b64 v[17:18], 3, v[30:31]
	s_clause 0x4
	global_load_b128 v[22:25], v[28:29], off offset:16
	global_load_b128 v[26:29], v[28:29], off
	global_load_b64 v[32:33], v[32:33], off
	global_load_b64 v[34:35], v[34:35], off
	;; [unrolled: 1-line block ×3, first 2 shown]
	v_add_co_u32 v17, vcc_lo, s10, v17
	v_add_co_ci_u32_e32 v18, vcc_lo, s11, v18, vcc_lo
	global_load_b64 v[40:41], v[17:18], off
	v_add_nc_u32_e32 v18, 1, v30
	s_delay_alu instid0(VALU_DEP_1) | instskip(SKIP_1) | instid1(VALU_DEP_1)
	v_lshlrev_b64 v[42:43], 3, v[18:19]
	v_subrev_nc_u32_e32 v18, 19, v16
	v_lshlrev_b64 v[44:45], 3, v[18:19]
	v_add_nc_u32_e32 v18, -12, v16
	s_delay_alu instid0(VALU_DEP_4) | instskip(SKIP_1) | instid1(VALU_DEP_3)
	v_add_co_u32 v42, vcc_lo, s10, v42
	v_add_co_ci_u32_e32 v43, vcc_lo, s11, v43, vcc_lo
	v_lshlrev_b64 v[46:47], 3, v[18:19]
	v_add_nc_u32_e32 v18, -5, v16
	v_add_co_u32 v44, vcc_lo, s8, v44
	v_add_co_ci_u32_e32 v45, vcc_lo, s9, v45, vcc_lo
	s_delay_alu instid0(VALU_DEP_3)
	v_lshlrev_b64 v[17:18], 3, v[18:19]
	v_add_co_u32 v46, vcc_lo, s8, v46
	v_add_co_ci_u32_e32 v47, vcc_lo, s9, v47, vcc_lo
	global_load_b64 v[42:43], v[42:43], off
	v_add_co_u32 v17, vcc_lo, s8, v17
	v_add_co_ci_u32_e32 v18, vcc_lo, s9, v18, vcc_lo
	s_clause 0x2
	global_load_b64 v[44:45], v[44:45], off
	global_load_b64 v[46:47], v[46:47], off
	global_load_b64 v[48:49], v[17:18], off
	v_add_nc_u32_e32 v18, 2, v30
	s_delay_alu instid0(VALU_DEP_1) | instskip(SKIP_1) | instid1(VALU_DEP_1)
	v_lshlrev_b64 v[50:51], 3, v[18:19]
	v_subrev_nc_u32_e32 v18, 18, v16
	v_lshlrev_b64 v[52:53], 3, v[18:19]
	v_add_nc_u32_e32 v18, -11, v16
	s_delay_alu instid0(VALU_DEP_4) | instskip(SKIP_1) | instid1(VALU_DEP_3)
	v_add_co_u32 v50, vcc_lo, s10, v50
	v_add_co_ci_u32_e32 v51, vcc_lo, s11, v51, vcc_lo
	v_lshlrev_b64 v[54:55], 3, v[18:19]
	v_add_nc_u32_e32 v18, -4, v16
	v_add_co_u32 v52, vcc_lo, s8, v52
	v_add_co_ci_u32_e32 v53, vcc_lo, s9, v53, vcc_lo
	s_delay_alu instid0(VALU_DEP_3)
	v_lshlrev_b64 v[17:18], 3, v[18:19]
	v_add_co_u32 v54, vcc_lo, s8, v54
	v_add_co_ci_u32_e32 v55, vcc_lo, s9, v55, vcc_lo
	global_load_b64 v[50:51], v[50:51], off
	v_add_co_u32 v56, vcc_lo, s8, v17
	v_add_co_ci_u32_e32 v57, vcc_lo, s9, v18, vcc_lo
	s_clause 0x2
	global_load_b64 v[52:53], v[52:53], off
	global_load_b64 v[54:55], v[54:55], off
	;; [unrolled: 24-line block ×3, first 2 shown]
	global_load_b64 v[64:65], v[64:65], off
	v_subrev_nc_u32_e32 v18, 23, v16
	s_delay_alu instid0(VALU_DEP_1) | instskip(SKIP_1) | instid1(VALU_DEP_1)
	v_lshlrev_b64 v[66:67], 3, v[18:19]
	v_add_nc_u32_e32 v18, 4, v30
	v_lshlrev_b64 v[68:69], 3, v[18:19]
	v_add_nc_u32_e32 v18, -16, v16
	s_delay_alu instid0(VALU_DEP_4) | instskip(SKIP_1) | instid1(VALU_DEP_3)
	v_add_co_u32 v66, vcc_lo, s8, v66
	v_add_co_ci_u32_e32 v67, vcc_lo, s9, v67, vcc_lo
	v_lshlrev_b64 v[70:71], 3, v[18:19]
	v_add_nc_u32_e32 v18, -9, v16
	v_add_co_u32 v68, vcc_lo, s10, v68
	v_add_co_ci_u32_e32 v69, vcc_lo, s11, v69, vcc_lo
	s_delay_alu instid0(VALU_DEP_3) | instskip(SKIP_3) | instid1(VALU_DEP_3)
	v_lshlrev_b64 v[72:73], 3, v[18:19]
	v_add_nc_u32_e32 v18, -2, v16
	v_add_co_u32 v70, vcc_lo, s8, v70
	v_add_co_ci_u32_e32 v71, vcc_lo, s9, v71, vcc_lo
	v_lshlrev_b64 v[17:18], 3, v[18:19]
	v_add_co_u32 v72, vcc_lo, s8, v72
	v_add_co_ci_u32_e32 v73, vcc_lo, s9, v73, vcc_lo
	global_load_b64 v[66:67], v[66:67], off
	v_add_co_u32 v74, vcc_lo, s8, v17
	v_add_co_ci_u32_e32 v75, vcc_lo, s9, v18, vcc_lo
	global_load_b64 v[68:69], v[68:69], off
	s_clause 0x2
	global_load_b64 v[70:71], v[70:71], off
	global_load_b64 v[72:73], v[72:73], off
	;; [unrolled: 1-line block ×3, first 2 shown]
	v_subrev_nc_u32_e32 v18, 22, v16
	s_delay_alu instid0(VALU_DEP_1) | instskip(SKIP_1) | instid1(VALU_DEP_1)
	v_lshlrev_b64 v[76:77], 3, v[18:19]
	v_add_nc_u32_e32 v18, 5, v30
	v_lshlrev_b64 v[78:79], 3, v[18:19]
	v_add_nc_u32_e32 v18, -15, v16
	s_delay_alu instid0(VALU_DEP_4) | instskip(SKIP_1) | instid1(VALU_DEP_3)
	v_add_co_u32 v76, vcc_lo, s8, v76
	v_add_co_ci_u32_e32 v77, vcc_lo, s9, v77, vcc_lo
	v_lshlrev_b64 v[80:81], 3, v[18:19]
	v_add_nc_u32_e32 v18, -8, v16
	v_add_co_u32 v78, vcc_lo, s10, v78
	v_add_co_ci_u32_e32 v79, vcc_lo, s11, v79, vcc_lo
	s_delay_alu instid0(VALU_DEP_3) | instskip(SKIP_3) | instid1(VALU_DEP_3)
	v_lshlrev_b64 v[82:83], 3, v[18:19]
	v_add_nc_u32_e32 v18, -1, v16
	v_add_co_u32 v80, vcc_lo, s8, v80
	v_add_co_ci_u32_e32 v81, vcc_lo, s9, v81, vcc_lo
	v_lshlrev_b64 v[17:18], 3, v[18:19]
	v_add_co_u32 v82, vcc_lo, s8, v82
	v_add_co_ci_u32_e32 v83, vcc_lo, s9, v83, vcc_lo
	s_delay_alu instid0(VALU_DEP_3) | instskip(NEXT) | instid1(VALU_DEP_4)
	v_add_co_u32 v17, vcc_lo, s8, v17
	v_add_co_ci_u32_e32 v18, vcc_lo, s9, v18, vcc_lo
	global_load_b64 v[76:77], v[76:77], off
	global_load_b64 v[78:79], v[78:79], off
	s_clause 0x2
	global_load_b64 v[80:81], v[80:81], off
	global_load_b64 v[82:83], v[82:83], off
	;; [unrolled: 1-line block ×3, first 2 shown]
	v_subrev_nc_u32_e32 v18, 21, v16
	s_delay_alu instid0(VALU_DEP_1) | instskip(SKIP_1) | instid1(VALU_DEP_1)
	v_lshlrev_b64 v[86:87], 3, v[18:19]
	v_add_nc_u32_e32 v18, 6, v30
	v_lshlrev_b64 v[30:31], 3, v[18:19]
	v_add_nc_u32_e32 v18, -14, v16
	s_delay_alu instid0(VALU_DEP_4) | instskip(SKIP_1) | instid1(VALU_DEP_3)
	v_add_co_u32 v86, vcc_lo, s8, v86
	v_add_co_ci_u32_e32 v87, vcc_lo, s9, v87, vcc_lo
	v_lshlrev_b64 v[88:89], 3, v[18:19]
	v_add_nc_u32_e32 v18, -7, v16
	v_add_co_u32 v30, vcc_lo, s10, v30
	v_add_co_ci_u32_e32 v31, vcc_lo, s11, v31, vcc_lo
	s_delay_alu instid0(VALU_DEP_3) | instskip(SKIP_3) | instid1(VALU_DEP_4)
	v_lshlrev_b64 v[17:18], 3, v[18:19]
	v_add_co_u32 v88, vcc_lo, s8, v88
	v_add_co_ci_u32_e32 v89, vcc_lo, s9, v89, vcc_lo
	v_add_nc_u32_e32 v16, 0x70, v16
	v_add_co_u32 v17, vcc_lo, s8, v17
	v_add_co_ci_u32_e32 v18, vcc_lo, s9, v18, vcc_lo
	global_load_b64 v[86:87], v[86:87], off
	global_load_b64 v[30:31], v[30:31], off
	s_clause 0x2
	global_load_b64 v[88:89], v[88:89], off
	global_load_b64 v[17:18], v[17:18], off
	;; [unrolled: 1-line block ×3, first 2 shown]
	v_cmp_ge_i32_e32 vcc_lo, v6, v21
	s_or_b32 s2, vcc_lo, s2
	s_waitcnt vmcnt(27)
	v_fma_f64 v[7:8], v[26:27], v[40:41], v[8:9]
	v_fma_f64 v[14:15], v[32:33], v[40:41], v[14:15]
	;; [unrolled: 1-line block ×4, first 2 shown]
	s_waitcnt vmcnt(26)
	s_delay_alu instid0(VALU_DEP_4) | instskip(SKIP_1) | instid1(VALU_DEP_4)
	v_fma_f64 v[7:8], v[28:29], v[42:43], v[7:8]
	s_waitcnt vmcnt(25)
	v_fma_f64 v[14:15], v[44:45], v[42:43], v[14:15]
	s_waitcnt vmcnt(24)
	s_delay_alu instid0(VALU_DEP_4) | instskip(SKIP_1) | instid1(VALU_DEP_4)
	v_fma_f64 v[11:12], v[46:47], v[42:43], v[12:13]
	s_waitcnt vmcnt(23)
	v_fma_f64 v[9:10], v[48:49], v[42:43], v[9:10]
	;; [unrolled: 5-line block ×12, first 2 shown]
	s_and_not1_b32 exec_lo, exec_lo, s2
	s_cbranch_execnz .LBB62_15
; %bb.16:
	s_or_b32 exec_lo, exec_lo, s2
.LBB62_17:
	s_delay_alu instid0(SALU_CYCLE_1)
	s_or_b32 exec_lo, exec_lo, s3
.LBB62_18:
	v_mbcnt_lo_u32_b32 v24, -1, 0
	s_delay_alu instid0(VALU_DEP_1) | instskip(NEXT) | instid1(VALU_DEP_1)
	v_xor_b32_e32 v6, 2, v24
	v_cmp_gt_i32_e32 vcc_lo, 32, v6
	v_cndmask_b32_e32 v6, v24, v6, vcc_lo
	s_delay_alu instid0(VALU_DEP_1)
	v_lshlrev_b32_e32 v16, 2, v6
	ds_bpermute_b32 v6, v16, v8
	ds_bpermute_b32 v7, v16, v9
	;; [unrolled: 1-line block ×8, first 2 shown]
	s_waitcnt lgkmcnt(6)
	v_add_f64 v[16:17], v[8:9], v[6:7]
	s_waitcnt lgkmcnt(4)
	v_add_f64 v[8:9], v[14:15], v[18:19]
	;; [unrolled: 2-line block ×4, first 2 shown]
	v_xor_b32_e32 v10, 1, v24
	s_delay_alu instid0(VALU_DEP_1) | instskip(SKIP_2) | instid1(VALU_DEP_2)
	v_cmp_gt_i32_e32 vcc_lo, 32, v10
	v_cndmask_b32_e32 v10, v24, v10, vcc_lo
	v_cmp_eq_u32_e32 vcc_lo, 3, v0
	v_lshlrev_b32_e32 v19, 2, v10
	ds_bpermute_b32 v12, v19, v16
	ds_bpermute_b32 v13, v19, v17
	;; [unrolled: 1-line block ×8, first 2 shown]
	s_and_b32 exec_lo, exec_lo, vcc_lo
	s_cbranch_execz .LBB62_23
; %bb.19:
	s_waitcnt lgkmcnt(6)
	v_add_f64 v[12:13], v[16:17], v[12:13]
	s_waitcnt lgkmcnt(4)
	v_add_f64 v[10:11], v[8:9], v[10:11]
	;; [unrolled: 2-line block ×4, first 2 shown]
	s_load_b64 s[0:1], s[0:1], 0x38
	s_mov_b32 s2, exec_lo
	v_cmpx_eq_f64_e32 0, v[3:4]
	s_xor_b32 s2, exec_lo, s2
	s_cbranch_execz .LBB62_21
; %bb.20:
	v_mul_f64 v[12:13], v[1:2], v[12:13]
	v_mul_f64 v[14:15], v[1:2], v[10:11]
	;; [unrolled: 1-line block ×4, first 2 shown]
	v_lshlrev_b32_e32 v0, 2, v5
                                        ; implicit-def: $vgpr5
                                        ; implicit-def: $vgpr3_vgpr4
                                        ; implicit-def: $vgpr6_vgpr7
	s_delay_alu instid0(VALU_DEP_1) | instskip(NEXT) | instid1(VALU_DEP_1)
	v_ashrrev_i32_e32 v1, 31, v0
	v_lshlrev_b64 v[0:1], 3, v[0:1]
	s_waitcnt lgkmcnt(0)
	s_delay_alu instid0(VALU_DEP_1) | instskip(NEXT) | instid1(VALU_DEP_2)
	v_add_co_u32 v0, vcc_lo, s0, v0
	v_add_co_ci_u32_e32 v1, vcc_lo, s1, v1, vcc_lo
	s_clause 0x1
	global_store_b128 v[0:1], v[12:15], off
	global_store_b128 v[0:1], v[8:11], off offset:16
                                        ; implicit-def: $vgpr1_vgpr2
                                        ; implicit-def: $vgpr12_vgpr13
                                        ; implicit-def: $vgpr10_vgpr11
                                        ; implicit-def: $vgpr8_vgpr9
.LBB62_21:
	s_and_not1_saveexec_b32 s2, s2
	s_cbranch_execz .LBB62_23
; %bb.22:
	v_lshlrev_b32_e32 v14, 2, v5
	v_mul_f64 v[12:13], v[1:2], v[12:13]
	v_mul_f64 v[10:11], v[1:2], v[10:11]
	;; [unrolled: 1-line block ×4, first 2 shown]
	v_ashrrev_i32_e32 v15, 31, v14
	s_delay_alu instid0(VALU_DEP_1) | instskip(SKIP_1) | instid1(VALU_DEP_1)
	v_lshlrev_b64 v[14:15], 3, v[14:15]
	s_waitcnt lgkmcnt(0)
	v_add_co_u32 v22, vcc_lo, s0, v14
	s_delay_alu instid0(VALU_DEP_2)
	v_add_co_ci_u32_e32 v23, vcc_lo, s1, v15, vcc_lo
	s_clause 0x1
	global_load_b128 v[14:17], v[22:23], off
	global_load_b128 v[18:21], v[22:23], off offset:16
	s_waitcnt vmcnt(1)
	v_fma_f64 v[5:6], v[3:4], v[14:15], v[12:13]
	v_fma_f64 v[7:8], v[3:4], v[16:17], v[10:11]
	s_waitcnt vmcnt(0)
	v_fma_f64 v[0:1], v[3:4], v[18:19], v[24:25]
	v_fma_f64 v[2:3], v[3:4], v[20:21], v[26:27]
	s_clause 0x1
	global_store_b128 v[22:23], v[5:8], off
	global_store_b128 v[22:23], v[0:3], off offset:16
.LBB62_23:
	s_nop 0
	s_sendmsg sendmsg(MSG_DEALLOC_VGPRS)
	s_endpgm
	.section	.rodata,"a",@progbits
	.p2align	6, 0x0
	.amdhsa_kernel _ZN9rocsparseL19gebsrmvn_4xn_kernelILj128ELj7ELj4EdEEvi20rocsparse_direction_NS_24const_host_device_scalarIT2_EEPKiS6_PKS3_S8_S4_PS3_21rocsparse_index_base_b
		.amdhsa_group_segment_fixed_size 0
		.amdhsa_private_segment_fixed_size 0
		.amdhsa_kernarg_size 72
		.amdhsa_user_sgpr_count 15
		.amdhsa_user_sgpr_dispatch_ptr 0
		.amdhsa_user_sgpr_queue_ptr 0
		.amdhsa_user_sgpr_kernarg_segment_ptr 1
		.amdhsa_user_sgpr_dispatch_id 0
		.amdhsa_user_sgpr_private_segment_size 0
		.amdhsa_wavefront_size32 1
		.amdhsa_uses_dynamic_stack 0
		.amdhsa_enable_private_segment 0
		.amdhsa_system_sgpr_workgroup_id_x 1
		.amdhsa_system_sgpr_workgroup_id_y 0
		.amdhsa_system_sgpr_workgroup_id_z 0
		.amdhsa_system_sgpr_workgroup_info 0
		.amdhsa_system_vgpr_workitem_id 0
		.amdhsa_next_free_vgpr 92
		.amdhsa_next_free_sgpr 16
		.amdhsa_reserve_vcc 1
		.amdhsa_float_round_mode_32 0
		.amdhsa_float_round_mode_16_64 0
		.amdhsa_float_denorm_mode_32 3
		.amdhsa_float_denorm_mode_16_64 3
		.amdhsa_dx10_clamp 1
		.amdhsa_ieee_mode 1
		.amdhsa_fp16_overflow 0
		.amdhsa_workgroup_processor_mode 1
		.amdhsa_memory_ordered 1
		.amdhsa_forward_progress 0
		.amdhsa_shared_vgpr_count 0
		.amdhsa_exception_fp_ieee_invalid_op 0
		.amdhsa_exception_fp_denorm_src 0
		.amdhsa_exception_fp_ieee_div_zero 0
		.amdhsa_exception_fp_ieee_overflow 0
		.amdhsa_exception_fp_ieee_underflow 0
		.amdhsa_exception_fp_ieee_inexact 0
		.amdhsa_exception_int_div_zero 0
	.end_amdhsa_kernel
	.section	.text._ZN9rocsparseL19gebsrmvn_4xn_kernelILj128ELj7ELj4EdEEvi20rocsparse_direction_NS_24const_host_device_scalarIT2_EEPKiS6_PKS3_S8_S4_PS3_21rocsparse_index_base_b,"axG",@progbits,_ZN9rocsparseL19gebsrmvn_4xn_kernelILj128ELj7ELj4EdEEvi20rocsparse_direction_NS_24const_host_device_scalarIT2_EEPKiS6_PKS3_S8_S4_PS3_21rocsparse_index_base_b,comdat
.Lfunc_end62:
	.size	_ZN9rocsparseL19gebsrmvn_4xn_kernelILj128ELj7ELj4EdEEvi20rocsparse_direction_NS_24const_host_device_scalarIT2_EEPKiS6_PKS3_S8_S4_PS3_21rocsparse_index_base_b, .Lfunc_end62-_ZN9rocsparseL19gebsrmvn_4xn_kernelILj128ELj7ELj4EdEEvi20rocsparse_direction_NS_24const_host_device_scalarIT2_EEPKiS6_PKS3_S8_S4_PS3_21rocsparse_index_base_b
                                        ; -- End function
	.section	.AMDGPU.csdata,"",@progbits
; Kernel info:
; codeLenInByte = 3672
; NumSgprs: 18
; NumVgprs: 92
; ScratchSize: 0
; MemoryBound: 1
; FloatMode: 240
; IeeeMode: 1
; LDSByteSize: 0 bytes/workgroup (compile time only)
; SGPRBlocks: 2
; VGPRBlocks: 11
; NumSGPRsForWavesPerEU: 18
; NumVGPRsForWavesPerEU: 92
; Occupancy: 16
; WaveLimiterHint : 1
; COMPUTE_PGM_RSRC2:SCRATCH_EN: 0
; COMPUTE_PGM_RSRC2:USER_SGPR: 15
; COMPUTE_PGM_RSRC2:TRAP_HANDLER: 0
; COMPUTE_PGM_RSRC2:TGID_X_EN: 1
; COMPUTE_PGM_RSRC2:TGID_Y_EN: 0
; COMPUTE_PGM_RSRC2:TGID_Z_EN: 0
; COMPUTE_PGM_RSRC2:TIDIG_COMP_CNT: 0
	.section	.text._ZN9rocsparseL19gebsrmvn_4xn_kernelILj128ELj7ELj8EdEEvi20rocsparse_direction_NS_24const_host_device_scalarIT2_EEPKiS6_PKS3_S8_S4_PS3_21rocsparse_index_base_b,"axG",@progbits,_ZN9rocsparseL19gebsrmvn_4xn_kernelILj128ELj7ELj8EdEEvi20rocsparse_direction_NS_24const_host_device_scalarIT2_EEPKiS6_PKS3_S8_S4_PS3_21rocsparse_index_base_b,comdat
	.globl	_ZN9rocsparseL19gebsrmvn_4xn_kernelILj128ELj7ELj8EdEEvi20rocsparse_direction_NS_24const_host_device_scalarIT2_EEPKiS6_PKS3_S8_S4_PS3_21rocsparse_index_base_b ; -- Begin function _ZN9rocsparseL19gebsrmvn_4xn_kernelILj128ELj7ELj8EdEEvi20rocsparse_direction_NS_24const_host_device_scalarIT2_EEPKiS6_PKS3_S8_S4_PS3_21rocsparse_index_base_b
	.p2align	8
	.type	_ZN9rocsparseL19gebsrmvn_4xn_kernelILj128ELj7ELj8EdEEvi20rocsparse_direction_NS_24const_host_device_scalarIT2_EEPKiS6_PKS3_S8_S4_PS3_21rocsparse_index_base_b,@function
_ZN9rocsparseL19gebsrmvn_4xn_kernelILj128ELj7ELj8EdEEvi20rocsparse_direction_NS_24const_host_device_scalarIT2_EEPKiS6_PKS3_S8_S4_PS3_21rocsparse_index_base_b: ; @_ZN9rocsparseL19gebsrmvn_4xn_kernelILj128ELj7ELj8EdEEvi20rocsparse_direction_NS_24const_host_device_scalarIT2_EEPKiS6_PKS3_S8_S4_PS3_21rocsparse_index_base_b
; %bb.0:
	s_clause 0x2
	s_load_b64 s[12:13], s[0:1], 0x40
	s_load_b64 s[4:5], s[0:1], 0x8
	;; [unrolled: 1-line block ×3, first 2 shown]
	s_waitcnt lgkmcnt(0)
	s_bitcmp1_b32 s13, 0
	v_dual_mov_b32 v1, s4 :: v_dual_mov_b32 v2, s5
	s_cselect_b32 s6, -1, 0
	s_delay_alu instid0(SALU_CYCLE_1)
	s_and_b32 vcc_lo, exec_lo, s6
	s_xor_b32 s6, s6, -1
	s_cbranch_vccnz .LBB63_2
; %bb.1:
	v_dual_mov_b32 v1, s4 :: v_dual_mov_b32 v2, s5
	flat_load_b64 v[1:2], v[1:2]
.LBB63_2:
	v_dual_mov_b32 v4, s3 :: v_dual_mov_b32 v3, s2
	s_and_not1_b32 vcc_lo, exec_lo, s6
	s_cbranch_vccnz .LBB63_4
; %bb.3:
	v_dual_mov_b32 v4, s3 :: v_dual_mov_b32 v3, s2
	flat_load_b64 v[3:4], v[3:4]
.LBB63_4:
	s_waitcnt vmcnt(0) lgkmcnt(0)
	v_cmp_neq_f64_e32 vcc_lo, 0, v[1:2]
	v_cmp_neq_f64_e64 s2, 1.0, v[3:4]
	s_delay_alu instid0(VALU_DEP_1) | instskip(NEXT) | instid1(SALU_CYCLE_1)
	s_or_b32 s2, vcc_lo, s2
	s_and_saveexec_b32 s3, s2
	s_cbranch_execz .LBB63_23
; %bb.5:
	s_load_b64 s[2:3], s[0:1], 0x0
	v_lshrrev_b32_e32 v5, 3, v0
	s_delay_alu instid0(VALU_DEP_1) | instskip(SKIP_1) | instid1(VALU_DEP_1)
	v_lshl_or_b32 v5, s15, 4, v5
	s_waitcnt lgkmcnt(0)
	v_cmp_gt_i32_e32 vcc_lo, s2, v5
	s_and_b32 exec_lo, exec_lo, vcc_lo
	s_cbranch_execz .LBB63_23
; %bb.6:
	s_load_b256 s[4:11], s[0:1], 0x10
	v_ashrrev_i32_e32 v6, 31, v5
	v_and_b32_e32 v0, 7, v0
	s_cmp_lg_u32 s3, 0
	s_delay_alu instid0(VALU_DEP_2) | instskip(SKIP_1) | instid1(VALU_DEP_1)
	v_lshlrev_b64 v[6:7], 2, v[5:6]
	s_waitcnt lgkmcnt(0)
	v_add_co_u32 v6, vcc_lo, s4, v6
	s_delay_alu instid0(VALU_DEP_2) | instskip(SKIP_4) | instid1(VALU_DEP_2)
	v_add_co_ci_u32_e32 v7, vcc_lo, s5, v7, vcc_lo
	global_load_b64 v[6:7], v[6:7], off
	s_waitcnt vmcnt(0)
	v_subrev_nc_u32_e32 v6, s12, v6
	v_subrev_nc_u32_e32 v21, s12, v7
	v_add_nc_u32_e32 v8, v6, v0
	s_delay_alu instid0(VALU_DEP_1)
	v_cmp_lt_i32_e64 s2, v8, v21
	s_cbranch_scc0 .LBB63_12
; %bb.7:
	v_mov_b32_e32 v6, 0
	v_mov_b32_e32 v7, 0
	s_delay_alu instid0(VALU_DEP_1)
	v_dual_mov_b32 v11, v7 :: v_dual_mov_b32 v10, v6
	v_dual_mov_b32 v13, v7 :: v_dual_mov_b32 v12, v6
	;; [unrolled: 1-line block ×3, first 2 shown]
	s_and_saveexec_b32 s3, s2
	s_cbranch_execz .LBB63_11
; %bb.8:
	v_dual_mov_b32 v6, 0 :: v_dual_mov_b32 v19, v8
	v_dual_mov_b32 v7, 0 :: v_dual_mov_b32 v18, 0
	v_mad_u64_u32 v[16:17], null, v8, 28, 24
	s_mov_b32 s4, 0
	s_delay_alu instid0(VALU_DEP_2)
	v_dual_mov_b32 v11, v7 :: v_dual_mov_b32 v10, v6
	v_dual_mov_b32 v13, v7 :: v_dual_mov_b32 v12, v6
	;; [unrolled: 1-line block ×3, first 2 shown]
.LBB63_9:                               ; =>This Inner Loop Header: Depth=1
	v_ashrrev_i32_e32 v20, 31, v19
	v_subrev_nc_u32_e32 v17, 24, v16
	v_mov_b32_e32 v75, v18
	s_delay_alu instid0(VALU_DEP_3) | instskip(SKIP_1) | instid1(VALU_DEP_2)
	v_lshlrev_b64 v[22:23], 2, v[19:20]
	v_add_nc_u32_e32 v19, 8, v19
	v_add_co_u32 v22, vcc_lo, s6, v22
	s_delay_alu instid0(VALU_DEP_3) | instskip(SKIP_3) | instid1(VALU_DEP_2)
	v_add_co_ci_u32_e32 v23, vcc_lo, s7, v23, vcc_lo
	global_load_b32 v9, v[22:23], off
	v_lshlrev_b64 v[22:23], 3, v[17:18]
	v_subrev_nc_u32_e32 v17, 20, v16
	v_add_co_u32 v26, vcc_lo, s8, v22
	s_delay_alu instid0(VALU_DEP_3) | instskip(SKIP_3) | instid1(VALU_DEP_1)
	v_add_co_ci_u32_e32 v27, vcc_lo, s9, v23, vcc_lo
	global_load_b128 v[22:25], v[26:27], off offset:16
	s_waitcnt vmcnt(1)
	v_subrev_nc_u32_e32 v9, s12, v9
	v_mul_lo_u32 v74, v9, 7
	s_delay_alu instid0(VALU_DEP_1) | instskip(NEXT) | instid1(VALU_DEP_1)
	v_lshlrev_b64 v[28:29], 3, v[74:75]
	v_add_co_u32 v30, vcc_lo, s10, v28
	s_delay_alu instid0(VALU_DEP_2) | instskip(SKIP_4) | instid1(VALU_DEP_1)
	v_add_co_ci_u32_e32 v31, vcc_lo, s11, v29, vcc_lo
	global_load_b128 v[26:29], v[26:27], off
	global_load_b64 v[78:79], v[30:31], off
	v_lshlrev_b64 v[30:31], 3, v[17:18]
	v_add_nc_u32_e32 v17, 1, v74
	v_lshlrev_b64 v[36:37], 3, v[17:18]
	s_delay_alu instid0(VALU_DEP_3) | instskip(NEXT) | instid1(VALU_DEP_4)
	v_add_co_u32 v34, vcc_lo, s8, v30
	v_add_co_ci_u32_e32 v35, vcc_lo, s9, v31, vcc_lo
	v_add_nc_u32_e32 v17, -16, v16
	s_delay_alu instid0(VALU_DEP_4)
	v_add_co_u32 v38, vcc_lo, s10, v36
	v_add_co_ci_u32_e32 v39, vcc_lo, s11, v37, vcc_lo
	s_clause 0x1
	global_load_b128 v[30:33], v[34:35], off offset:16
	global_load_b128 v[34:37], v[34:35], off
	global_load_b64 v[80:81], v[38:39], off
	v_lshlrev_b64 v[38:39], 3, v[17:18]
	v_add_nc_u32_e32 v17, 2, v74
	s_delay_alu instid0(VALU_DEP_1) | instskip(NEXT) | instid1(VALU_DEP_3)
	v_lshlrev_b64 v[40:41], 3, v[17:18]
	v_add_co_u32 v42, vcc_lo, s8, v38
	s_delay_alu instid0(VALU_DEP_4) | instskip(SKIP_1) | instid1(VALU_DEP_4)
	v_add_co_ci_u32_e32 v43, vcc_lo, s9, v39, vcc_lo
	v_add_nc_u32_e32 v17, -12, v16
	v_add_co_u32 v46, vcc_lo, s10, v40
	v_add_co_ci_u32_e32 v47, vcc_lo, s11, v41, vcc_lo
	s_clause 0x1
	global_load_b128 v[38:41], v[42:43], off offset:16
	global_load_b128 v[42:45], v[42:43], off
	global_load_b64 v[82:83], v[46:47], off
	v_lshlrev_b64 v[46:47], 3, v[17:18]
	v_add_nc_u32_e32 v17, 3, v74
	s_delay_alu instid0(VALU_DEP_1) | instskip(NEXT) | instid1(VALU_DEP_3)
	v_lshlrev_b64 v[48:49], 3, v[17:18]
	v_add_co_u32 v50, vcc_lo, s8, v46
	s_delay_alu instid0(VALU_DEP_4) | instskip(SKIP_1) | instid1(VALU_DEP_4)
	v_add_co_ci_u32_e32 v51, vcc_lo, s9, v47, vcc_lo
	v_add_nc_u32_e32 v17, -8, v16
	;; [unrolled: 14-line block ×3, first 2 shown]
	v_add_co_u32 v62, vcc_lo, s10, v56
	v_add_co_ci_u32_e32 v63, vcc_lo, s11, v57, vcc_lo
	s_clause 0x1
	global_load_b128 v[54:57], v[58:59], off offset:16
	global_load_b128 v[58:61], v[58:59], off
	global_load_b64 v[86:87], v[62:63], off
	v_lshlrev_b64 v[62:63], 3, v[17:18]
	v_add_nc_u32_e32 v17, 5, v74
	s_delay_alu instid0(VALU_DEP_1) | instskip(NEXT) | instid1(VALU_DEP_3)
	v_lshlrev_b64 v[64:65], 3, v[17:18]
	v_add_co_u32 v66, vcc_lo, s8, v62
	s_delay_alu instid0(VALU_DEP_4) | instskip(SKIP_1) | instid1(VALU_DEP_4)
	v_add_co_ci_u32_e32 v67, vcc_lo, s9, v63, vcc_lo
	v_mov_b32_e32 v17, v18
	v_add_co_u32 v70, vcc_lo, s10, v64
	v_add_co_ci_u32_e32 v71, vcc_lo, s11, v65, vcc_lo
	s_clause 0x1
	global_load_b128 v[62:65], v[66:67], off offset:16
	global_load_b128 v[66:69], v[66:67], off
	global_load_b64 v[88:89], v[70:71], off
	v_lshlrev_b64 v[70:71], 3, v[16:17]
	v_add_nc_u32_e32 v16, 0xe0, v16
	v_add_nc_u32_e32 v17, 6, v74
	s_delay_alu instid0(VALU_DEP_3) | instskip(NEXT) | instid1(VALU_DEP_2)
	v_add_co_u32 v75, vcc_lo, s8, v70
	v_lshlrev_b64 v[90:91], 3, v[17:18]
	v_add_co_ci_u32_e32 v76, vcc_lo, s9, v71, vcc_lo
	s_delay_alu instid0(VALU_DEP_2) | instskip(NEXT) | instid1(VALU_DEP_3)
	v_add_co_u32 v90, vcc_lo, s10, v90
	v_add_co_ci_u32_e32 v91, vcc_lo, s11, v91, vcc_lo
	s_clause 0x1
	global_load_b128 v[70:73], v[75:76], off offset:16
	global_load_b128 v[74:77], v[75:76], off
	global_load_b64 v[90:91], v[90:91], off
	v_cmp_ge_i32_e32 vcc_lo, v19, v21
	s_or_b32 s4, vcc_lo, s4
	s_waitcnt vmcnt(18)
	v_fma_f64 v[6:7], v[26:27], v[78:79], v[6:7]
	v_fma_f64 v[14:15], v[28:29], v[78:79], v[14:15]
	;; [unrolled: 1-line block ×4, first 2 shown]
	s_waitcnt vmcnt(15)
	s_delay_alu instid0(VALU_DEP_4) | instskip(NEXT) | instid1(VALU_DEP_4)
	v_fma_f64 v[6:7], v[34:35], v[80:81], v[6:7]
	v_fma_f64 v[14:15], v[36:37], v[80:81], v[14:15]
	s_delay_alu instid0(VALU_DEP_4) | instskip(NEXT) | instid1(VALU_DEP_4)
	v_fma_f64 v[11:12], v[30:31], v[80:81], v[12:13]
	v_fma_f64 v[9:10], v[32:33], v[80:81], v[9:10]
	s_waitcnt vmcnt(12)
	s_delay_alu instid0(VALU_DEP_4) | instskip(NEXT) | instid1(VALU_DEP_4)
	v_fma_f64 v[6:7], v[42:43], v[82:83], v[6:7]
	v_fma_f64 v[13:14], v[44:45], v[82:83], v[14:15]
	s_delay_alu instid0(VALU_DEP_4) | instskip(NEXT) | instid1(VALU_DEP_4)
	v_fma_f64 v[11:12], v[38:39], v[82:83], v[11:12]
	v_fma_f64 v[9:10], v[40:41], v[82:83], v[9:10]
	;; [unrolled: 7-line block ×6, first 2 shown]
	s_and_not1_b32 exec_lo, exec_lo, s4
	s_cbranch_execnz .LBB63_9
; %bb.10:
	s_or_b32 exec_lo, exec_lo, s4
.LBB63_11:
	s_delay_alu instid0(SALU_CYCLE_1)
	s_or_b32 exec_lo, exec_lo, s3
	s_cbranch_execz .LBB63_13
	s_branch .LBB63_18
.LBB63_12:
                                        ; implicit-def: $vgpr6_vgpr7
                                        ; implicit-def: $vgpr10_vgpr11
                                        ; implicit-def: $vgpr12_vgpr13
                                        ; implicit-def: $vgpr14_vgpr15
.LBB63_13:
	v_mov_b32_e32 v6, 0
	v_mov_b32_e32 v7, 0
	s_delay_alu instid0(VALU_DEP_1)
	v_dual_mov_b32 v11, v7 :: v_dual_mov_b32 v10, v6
	v_dual_mov_b32 v13, v7 :: v_dual_mov_b32 v12, v6
	;; [unrolled: 1-line block ×3, first 2 shown]
	s_and_saveexec_b32 s3, s2
	s_cbranch_execz .LBB63_17
; %bb.14:
	v_dual_mov_b32 v6, 0 :: v_dual_mov_b32 v19, 0
	v_mov_b32_e32 v7, 0
	v_mad_u64_u32 v[16:17], null, v8, 28, 27
	s_mov_b32 s2, 0
	s_delay_alu instid0(VALU_DEP_2)
	v_dual_mov_b32 v11, v7 :: v_dual_mov_b32 v10, v6
	v_dual_mov_b32 v13, v7 :: v_dual_mov_b32 v12, v6
	;; [unrolled: 1-line block ×3, first 2 shown]
.LBB63_15:                              ; =>This Inner Loop Header: Depth=1
	v_ashrrev_i32_e32 v9, 31, v8
	v_subrev_nc_u32_e32 v22, 20, v16
	v_dual_mov_b32 v23, v19 :: v_dual_add_nc_u32 v26, -6, v16
	v_dual_mov_b32 v31, v19 :: v_dual_add_nc_u32 v24, -13, v16
	s_delay_alu instid0(VALU_DEP_4) | instskip(SKIP_1) | instid1(VALU_DEP_4)
	v_lshlrev_b64 v[17:18], 2, v[8:9]
	v_mov_b32_e32 v27, v19
	v_lshlrev_b64 v[22:23], 3, v[22:23]
	v_add_nc_u32_e32 v8, 8, v8
	s_delay_alu instid0(VALU_DEP_3)
	v_lshlrev_b64 v[26:27], 3, v[26:27]
	v_add_co_u32 v17, vcc_lo, s6, v17
	v_add_co_ci_u32_e32 v18, vcc_lo, s7, v18, vcc_lo
	global_load_b32 v9, v[17:18], off
	v_subrev_nc_u32_e32 v18, 27, v16
	v_mov_b32_e32 v17, v19
	s_delay_alu instid0(VALU_DEP_2) | instskip(NEXT) | instid1(VALU_DEP_2)
	v_lshlrev_b64 v[28:29], 3, v[18:19]
	v_lshlrev_b64 v[17:18], 3, v[16:17]
	s_delay_alu instid0(VALU_DEP_2) | instskip(NEXT) | instid1(VALU_DEP_3)
	v_add_co_u32 v28, vcc_lo, s8, v28
	v_add_co_ci_u32_e32 v29, vcc_lo, s9, v29, vcc_lo
	v_add_co_u32 v32, vcc_lo, s8, v22
	v_add_co_ci_u32_e32 v33, vcc_lo, s9, v23, vcc_lo
	s_waitcnt vmcnt(0)
	v_subrev_nc_u32_e32 v9, s12, v9
	s_delay_alu instid0(VALU_DEP_1) | instskip(SKIP_1) | instid1(VALU_DEP_1)
	v_mul_lo_u32 v30, v9, 7
	v_mov_b32_e32 v25, v19
	v_lshlrev_b64 v[24:25], 3, v[24:25]
	s_delay_alu instid0(VALU_DEP_1) | instskip(NEXT) | instid1(VALU_DEP_2)
	v_add_co_u32 v34, vcc_lo, s8, v24
	v_add_co_ci_u32_e32 v35, vcc_lo, s9, v25, vcc_lo
	v_add_co_u32 v36, vcc_lo, s8, v26
	v_add_co_ci_u32_e32 v37, vcc_lo, s9, v27, vcc_lo
	;; [unrolled: 2-line block ×3, first 2 shown]
	v_lshlrev_b64 v[17:18], 3, v[30:31]
	s_clause 0x4
	global_load_b128 v[22:25], v[28:29], off offset:16
	global_load_b128 v[26:29], v[28:29], off
	global_load_b64 v[32:33], v[32:33], off
	global_load_b64 v[34:35], v[34:35], off
	;; [unrolled: 1-line block ×3, first 2 shown]
	v_add_co_u32 v17, vcc_lo, s10, v17
	v_add_co_ci_u32_e32 v18, vcc_lo, s11, v18, vcc_lo
	global_load_b64 v[40:41], v[17:18], off
	v_add_nc_u32_e32 v18, 1, v30
	s_delay_alu instid0(VALU_DEP_1) | instskip(SKIP_1) | instid1(VALU_DEP_1)
	v_lshlrev_b64 v[42:43], 3, v[18:19]
	v_subrev_nc_u32_e32 v18, 19, v16
	v_lshlrev_b64 v[44:45], 3, v[18:19]
	v_add_nc_u32_e32 v18, -12, v16
	s_delay_alu instid0(VALU_DEP_4) | instskip(SKIP_1) | instid1(VALU_DEP_3)
	v_add_co_u32 v42, vcc_lo, s10, v42
	v_add_co_ci_u32_e32 v43, vcc_lo, s11, v43, vcc_lo
	v_lshlrev_b64 v[46:47], 3, v[18:19]
	v_add_nc_u32_e32 v18, -5, v16
	v_add_co_u32 v44, vcc_lo, s8, v44
	v_add_co_ci_u32_e32 v45, vcc_lo, s9, v45, vcc_lo
	s_delay_alu instid0(VALU_DEP_3)
	v_lshlrev_b64 v[17:18], 3, v[18:19]
	v_add_co_u32 v46, vcc_lo, s8, v46
	v_add_co_ci_u32_e32 v47, vcc_lo, s9, v47, vcc_lo
	global_load_b64 v[42:43], v[42:43], off
	v_add_co_u32 v17, vcc_lo, s8, v17
	v_add_co_ci_u32_e32 v18, vcc_lo, s9, v18, vcc_lo
	s_clause 0x2
	global_load_b64 v[44:45], v[44:45], off
	global_load_b64 v[46:47], v[46:47], off
	global_load_b64 v[48:49], v[17:18], off
	v_add_nc_u32_e32 v18, 2, v30
	s_delay_alu instid0(VALU_DEP_1) | instskip(SKIP_1) | instid1(VALU_DEP_1)
	v_lshlrev_b64 v[50:51], 3, v[18:19]
	v_subrev_nc_u32_e32 v18, 18, v16
	v_lshlrev_b64 v[52:53], 3, v[18:19]
	v_add_nc_u32_e32 v18, -11, v16
	s_delay_alu instid0(VALU_DEP_4) | instskip(SKIP_1) | instid1(VALU_DEP_3)
	v_add_co_u32 v50, vcc_lo, s10, v50
	v_add_co_ci_u32_e32 v51, vcc_lo, s11, v51, vcc_lo
	v_lshlrev_b64 v[54:55], 3, v[18:19]
	v_add_nc_u32_e32 v18, -4, v16
	v_add_co_u32 v52, vcc_lo, s8, v52
	v_add_co_ci_u32_e32 v53, vcc_lo, s9, v53, vcc_lo
	s_delay_alu instid0(VALU_DEP_3)
	v_lshlrev_b64 v[17:18], 3, v[18:19]
	v_add_co_u32 v54, vcc_lo, s8, v54
	v_add_co_ci_u32_e32 v55, vcc_lo, s9, v55, vcc_lo
	global_load_b64 v[50:51], v[50:51], off
	v_add_co_u32 v56, vcc_lo, s8, v17
	v_add_co_ci_u32_e32 v57, vcc_lo, s9, v18, vcc_lo
	s_clause 0x2
	global_load_b64 v[52:53], v[52:53], off
	global_load_b64 v[54:55], v[54:55], off
	;; [unrolled: 24-line block ×3, first 2 shown]
	global_load_b64 v[64:65], v[64:65], off
	v_subrev_nc_u32_e32 v18, 23, v16
	s_delay_alu instid0(VALU_DEP_1) | instskip(SKIP_1) | instid1(VALU_DEP_1)
	v_lshlrev_b64 v[66:67], 3, v[18:19]
	v_add_nc_u32_e32 v18, 4, v30
	v_lshlrev_b64 v[68:69], 3, v[18:19]
	v_add_nc_u32_e32 v18, -16, v16
	s_delay_alu instid0(VALU_DEP_4) | instskip(SKIP_1) | instid1(VALU_DEP_3)
	v_add_co_u32 v66, vcc_lo, s8, v66
	v_add_co_ci_u32_e32 v67, vcc_lo, s9, v67, vcc_lo
	v_lshlrev_b64 v[70:71], 3, v[18:19]
	v_add_nc_u32_e32 v18, -9, v16
	v_add_co_u32 v68, vcc_lo, s10, v68
	v_add_co_ci_u32_e32 v69, vcc_lo, s11, v69, vcc_lo
	s_delay_alu instid0(VALU_DEP_3) | instskip(SKIP_3) | instid1(VALU_DEP_3)
	v_lshlrev_b64 v[72:73], 3, v[18:19]
	v_add_nc_u32_e32 v18, -2, v16
	v_add_co_u32 v70, vcc_lo, s8, v70
	v_add_co_ci_u32_e32 v71, vcc_lo, s9, v71, vcc_lo
	v_lshlrev_b64 v[17:18], 3, v[18:19]
	v_add_co_u32 v72, vcc_lo, s8, v72
	v_add_co_ci_u32_e32 v73, vcc_lo, s9, v73, vcc_lo
	global_load_b64 v[66:67], v[66:67], off
	v_add_co_u32 v74, vcc_lo, s8, v17
	v_add_co_ci_u32_e32 v75, vcc_lo, s9, v18, vcc_lo
	global_load_b64 v[68:69], v[68:69], off
	s_clause 0x2
	global_load_b64 v[70:71], v[70:71], off
	global_load_b64 v[72:73], v[72:73], off
	;; [unrolled: 1-line block ×3, first 2 shown]
	v_subrev_nc_u32_e32 v18, 22, v16
	s_delay_alu instid0(VALU_DEP_1) | instskip(SKIP_1) | instid1(VALU_DEP_1)
	v_lshlrev_b64 v[76:77], 3, v[18:19]
	v_add_nc_u32_e32 v18, 5, v30
	v_lshlrev_b64 v[78:79], 3, v[18:19]
	v_add_nc_u32_e32 v18, -15, v16
	s_delay_alu instid0(VALU_DEP_4) | instskip(SKIP_1) | instid1(VALU_DEP_3)
	v_add_co_u32 v76, vcc_lo, s8, v76
	v_add_co_ci_u32_e32 v77, vcc_lo, s9, v77, vcc_lo
	v_lshlrev_b64 v[80:81], 3, v[18:19]
	v_add_nc_u32_e32 v18, -8, v16
	v_add_co_u32 v78, vcc_lo, s10, v78
	v_add_co_ci_u32_e32 v79, vcc_lo, s11, v79, vcc_lo
	s_delay_alu instid0(VALU_DEP_3) | instskip(SKIP_3) | instid1(VALU_DEP_3)
	v_lshlrev_b64 v[82:83], 3, v[18:19]
	v_add_nc_u32_e32 v18, -1, v16
	v_add_co_u32 v80, vcc_lo, s8, v80
	v_add_co_ci_u32_e32 v81, vcc_lo, s9, v81, vcc_lo
	v_lshlrev_b64 v[17:18], 3, v[18:19]
	v_add_co_u32 v82, vcc_lo, s8, v82
	v_add_co_ci_u32_e32 v83, vcc_lo, s9, v83, vcc_lo
	s_delay_alu instid0(VALU_DEP_3) | instskip(NEXT) | instid1(VALU_DEP_4)
	v_add_co_u32 v17, vcc_lo, s8, v17
	v_add_co_ci_u32_e32 v18, vcc_lo, s9, v18, vcc_lo
	global_load_b64 v[76:77], v[76:77], off
	global_load_b64 v[78:79], v[78:79], off
	s_clause 0x2
	global_load_b64 v[80:81], v[80:81], off
	global_load_b64 v[82:83], v[82:83], off
	;; [unrolled: 1-line block ×3, first 2 shown]
	v_subrev_nc_u32_e32 v18, 21, v16
	s_delay_alu instid0(VALU_DEP_1) | instskip(SKIP_1) | instid1(VALU_DEP_1)
	v_lshlrev_b64 v[86:87], 3, v[18:19]
	v_add_nc_u32_e32 v18, 6, v30
	v_lshlrev_b64 v[30:31], 3, v[18:19]
	v_add_nc_u32_e32 v18, -14, v16
	s_delay_alu instid0(VALU_DEP_4) | instskip(SKIP_1) | instid1(VALU_DEP_3)
	v_add_co_u32 v86, vcc_lo, s8, v86
	v_add_co_ci_u32_e32 v87, vcc_lo, s9, v87, vcc_lo
	v_lshlrev_b64 v[88:89], 3, v[18:19]
	v_add_nc_u32_e32 v18, -7, v16
	v_add_co_u32 v30, vcc_lo, s10, v30
	v_add_co_ci_u32_e32 v31, vcc_lo, s11, v31, vcc_lo
	s_delay_alu instid0(VALU_DEP_3) | instskip(SKIP_3) | instid1(VALU_DEP_4)
	v_lshlrev_b64 v[17:18], 3, v[18:19]
	v_add_co_u32 v88, vcc_lo, s8, v88
	v_add_co_ci_u32_e32 v89, vcc_lo, s9, v89, vcc_lo
	v_add_nc_u32_e32 v16, 0xe0, v16
	v_add_co_u32 v17, vcc_lo, s8, v17
	v_add_co_ci_u32_e32 v18, vcc_lo, s9, v18, vcc_lo
	global_load_b64 v[86:87], v[86:87], off
	global_load_b64 v[30:31], v[30:31], off
	s_clause 0x2
	global_load_b64 v[88:89], v[88:89], off
	global_load_b64 v[17:18], v[17:18], off
	;; [unrolled: 1-line block ×3, first 2 shown]
	v_cmp_ge_i32_e32 vcc_lo, v8, v21
	s_or_b32 s2, vcc_lo, s2
	s_waitcnt vmcnt(27)
	v_fma_f64 v[6:7], v[26:27], v[40:41], v[6:7]
	v_fma_f64 v[14:15], v[32:33], v[40:41], v[14:15]
	;; [unrolled: 1-line block ×4, first 2 shown]
	s_waitcnt vmcnt(26)
	s_delay_alu instid0(VALU_DEP_4) | instskip(SKIP_1) | instid1(VALU_DEP_4)
	v_fma_f64 v[6:7], v[28:29], v[42:43], v[6:7]
	s_waitcnt vmcnt(25)
	v_fma_f64 v[14:15], v[44:45], v[42:43], v[14:15]
	s_waitcnt vmcnt(24)
	s_delay_alu instid0(VALU_DEP_4) | instskip(SKIP_1) | instid1(VALU_DEP_4)
	v_fma_f64 v[11:12], v[46:47], v[42:43], v[12:13]
	s_waitcnt vmcnt(23)
	v_fma_f64 v[9:10], v[48:49], v[42:43], v[9:10]
	;; [unrolled: 5-line block ×12, first 2 shown]
	s_and_not1_b32 exec_lo, exec_lo, s2
	s_cbranch_execnz .LBB63_15
; %bb.16:
	s_or_b32 exec_lo, exec_lo, s2
.LBB63_17:
	s_delay_alu instid0(SALU_CYCLE_1)
	s_or_b32 exec_lo, exec_lo, s3
.LBB63_18:
	v_mbcnt_lo_u32_b32 v22, -1, 0
	s_delay_alu instid0(VALU_DEP_1) | instskip(NEXT) | instid1(VALU_DEP_1)
	v_xor_b32_e32 v8, 4, v22
	v_cmp_gt_i32_e32 vcc_lo, 32, v8
	v_cndmask_b32_e32 v8, v22, v8, vcc_lo
	s_delay_alu instid0(VALU_DEP_1)
	v_lshlrev_b32_e32 v21, 2, v8
	ds_bpermute_b32 v8, v21, v6
	ds_bpermute_b32 v9, v21, v7
	;; [unrolled: 1-line block ×8, first 2 shown]
	s_waitcnt lgkmcnt(6)
	v_add_f64 v[6:7], v[6:7], v[8:9]
	s_waitcnt lgkmcnt(4)
	v_add_f64 v[8:9], v[14:15], v[16:17]
	;; [unrolled: 2-line block ×4, first 2 shown]
	v_xor_b32_e32 v10, 2, v22
	s_delay_alu instid0(VALU_DEP_1) | instskip(SKIP_1) | instid1(VALU_DEP_1)
	v_cmp_gt_i32_e32 vcc_lo, 32, v10
	v_cndmask_b32_e32 v10, v22, v10, vcc_lo
	v_lshlrev_b32_e32 v21, 2, v10
	ds_bpermute_b32 v10, v21, v6
	ds_bpermute_b32 v11, v21, v7
	;; [unrolled: 1-line block ×8, first 2 shown]
	s_waitcnt lgkmcnt(6)
	v_add_f64 v[10:11], v[6:7], v[10:11]
	s_waitcnt lgkmcnt(4)
	v_add_f64 v[8:9], v[8:9], v[16:17]
	;; [unrolled: 2-line block ×3, first 2 shown]
	v_xor_b32_e32 v12, 1, v22
	s_waitcnt lgkmcnt(0)
	v_add_f64 v[14:15], v[14:15], v[20:21]
	s_delay_alu instid0(VALU_DEP_2) | instskip(SKIP_2) | instid1(VALU_DEP_2)
	v_cmp_gt_i32_e32 vcc_lo, 32, v12
	v_cndmask_b32_e32 v12, v22, v12, vcc_lo
	v_cmp_eq_u32_e32 vcc_lo, 7, v0
	v_lshlrev_b32_e32 v17, 2, v12
	ds_bpermute_b32 v12, v17, v10
	ds_bpermute_b32 v13, v17, v11
	;; [unrolled: 1-line block ×8, first 2 shown]
	s_and_b32 exec_lo, exec_lo, vcc_lo
	s_cbranch_execz .LBB63_23
; %bb.19:
	s_waitcnt lgkmcnt(6)
	v_add_f64 v[12:13], v[10:11], v[12:13]
	s_waitcnt lgkmcnt(4)
	v_add_f64 v[10:11], v[8:9], v[20:21]
	;; [unrolled: 2-line block ×4, first 2 shown]
	s_load_b64 s[0:1], s[0:1], 0x38
	s_mov_b32 s2, exec_lo
	v_cmpx_eq_f64_e32 0, v[3:4]
	s_xor_b32 s2, exec_lo, s2
	s_cbranch_execz .LBB63_21
; %bb.20:
	v_mul_f64 v[12:13], v[1:2], v[12:13]
	v_mul_f64 v[14:15], v[1:2], v[10:11]
	;; [unrolled: 1-line block ×4, first 2 shown]
	v_lshlrev_b32_e32 v0, 2, v5
                                        ; implicit-def: $vgpr5
                                        ; implicit-def: $vgpr3_vgpr4
                                        ; implicit-def: $vgpr6_vgpr7
	s_delay_alu instid0(VALU_DEP_1) | instskip(NEXT) | instid1(VALU_DEP_1)
	v_ashrrev_i32_e32 v1, 31, v0
	v_lshlrev_b64 v[0:1], 3, v[0:1]
	s_waitcnt lgkmcnt(0)
	s_delay_alu instid0(VALU_DEP_1) | instskip(NEXT) | instid1(VALU_DEP_2)
	v_add_co_u32 v0, vcc_lo, s0, v0
	v_add_co_ci_u32_e32 v1, vcc_lo, s1, v1, vcc_lo
	s_clause 0x1
	global_store_b128 v[0:1], v[12:15], off
	global_store_b128 v[0:1], v[8:11], off offset:16
                                        ; implicit-def: $vgpr1_vgpr2
                                        ; implicit-def: $vgpr12_vgpr13
                                        ; implicit-def: $vgpr10_vgpr11
                                        ; implicit-def: $vgpr8_vgpr9
.LBB63_21:
	s_and_not1_saveexec_b32 s2, s2
	s_cbranch_execz .LBB63_23
; %bb.22:
	v_lshlrev_b32_e32 v14, 2, v5
	v_mul_f64 v[12:13], v[1:2], v[12:13]
	v_mul_f64 v[10:11], v[1:2], v[10:11]
	;; [unrolled: 1-line block ×4, first 2 shown]
	v_ashrrev_i32_e32 v15, 31, v14
	s_delay_alu instid0(VALU_DEP_1) | instskip(SKIP_1) | instid1(VALU_DEP_1)
	v_lshlrev_b64 v[14:15], 3, v[14:15]
	s_waitcnt lgkmcnt(0)
	v_add_co_u32 v22, vcc_lo, s0, v14
	s_delay_alu instid0(VALU_DEP_2)
	v_add_co_ci_u32_e32 v23, vcc_lo, s1, v15, vcc_lo
	s_clause 0x1
	global_load_b128 v[14:17], v[22:23], off
	global_load_b128 v[18:21], v[22:23], off offset:16
	s_waitcnt vmcnt(1)
	v_fma_f64 v[5:6], v[3:4], v[14:15], v[12:13]
	v_fma_f64 v[7:8], v[3:4], v[16:17], v[10:11]
	s_waitcnt vmcnt(0)
	v_fma_f64 v[0:1], v[3:4], v[18:19], v[24:25]
	v_fma_f64 v[2:3], v[3:4], v[20:21], v[26:27]
	s_clause 0x1
	global_store_b128 v[22:23], v[5:8], off
	global_store_b128 v[22:23], v[0:3], off offset:16
.LBB63_23:
	s_nop 0
	s_sendmsg sendmsg(MSG_DEALLOC_VGPRS)
	s_endpgm
	.section	.rodata,"a",@progbits
	.p2align	6, 0x0
	.amdhsa_kernel _ZN9rocsparseL19gebsrmvn_4xn_kernelILj128ELj7ELj8EdEEvi20rocsparse_direction_NS_24const_host_device_scalarIT2_EEPKiS6_PKS3_S8_S4_PS3_21rocsparse_index_base_b
		.amdhsa_group_segment_fixed_size 0
		.amdhsa_private_segment_fixed_size 0
		.amdhsa_kernarg_size 72
		.amdhsa_user_sgpr_count 15
		.amdhsa_user_sgpr_dispatch_ptr 0
		.amdhsa_user_sgpr_queue_ptr 0
		.amdhsa_user_sgpr_kernarg_segment_ptr 1
		.amdhsa_user_sgpr_dispatch_id 0
		.amdhsa_user_sgpr_private_segment_size 0
		.amdhsa_wavefront_size32 1
		.amdhsa_uses_dynamic_stack 0
		.amdhsa_enable_private_segment 0
		.amdhsa_system_sgpr_workgroup_id_x 1
		.amdhsa_system_sgpr_workgroup_id_y 0
		.amdhsa_system_sgpr_workgroup_id_z 0
		.amdhsa_system_sgpr_workgroup_info 0
		.amdhsa_system_vgpr_workitem_id 0
		.amdhsa_next_free_vgpr 92
		.amdhsa_next_free_sgpr 16
		.amdhsa_reserve_vcc 1
		.amdhsa_float_round_mode_32 0
		.amdhsa_float_round_mode_16_64 0
		.amdhsa_float_denorm_mode_32 3
		.amdhsa_float_denorm_mode_16_64 3
		.amdhsa_dx10_clamp 1
		.amdhsa_ieee_mode 1
		.amdhsa_fp16_overflow 0
		.amdhsa_workgroup_processor_mode 1
		.amdhsa_memory_ordered 1
		.amdhsa_forward_progress 0
		.amdhsa_shared_vgpr_count 0
		.amdhsa_exception_fp_ieee_invalid_op 0
		.amdhsa_exception_fp_denorm_src 0
		.amdhsa_exception_fp_ieee_div_zero 0
		.amdhsa_exception_fp_ieee_overflow 0
		.amdhsa_exception_fp_ieee_underflow 0
		.amdhsa_exception_fp_ieee_inexact 0
		.amdhsa_exception_int_div_zero 0
	.end_amdhsa_kernel
	.section	.text._ZN9rocsparseL19gebsrmvn_4xn_kernelILj128ELj7ELj8EdEEvi20rocsparse_direction_NS_24const_host_device_scalarIT2_EEPKiS6_PKS3_S8_S4_PS3_21rocsparse_index_base_b,"axG",@progbits,_ZN9rocsparseL19gebsrmvn_4xn_kernelILj128ELj7ELj8EdEEvi20rocsparse_direction_NS_24const_host_device_scalarIT2_EEPKiS6_PKS3_S8_S4_PS3_21rocsparse_index_base_b,comdat
.Lfunc_end63:
	.size	_ZN9rocsparseL19gebsrmvn_4xn_kernelILj128ELj7ELj8EdEEvi20rocsparse_direction_NS_24const_host_device_scalarIT2_EEPKiS6_PKS3_S8_S4_PS3_21rocsparse_index_base_b, .Lfunc_end63-_ZN9rocsparseL19gebsrmvn_4xn_kernelILj128ELj7ELj8EdEEvi20rocsparse_direction_NS_24const_host_device_scalarIT2_EEPKiS6_PKS3_S8_S4_PS3_21rocsparse_index_base_b
                                        ; -- End function
	.section	.AMDGPU.csdata,"",@progbits
; Kernel info:
; codeLenInByte = 3804
; NumSgprs: 18
; NumVgprs: 92
; ScratchSize: 0
; MemoryBound: 1
; FloatMode: 240
; IeeeMode: 1
; LDSByteSize: 0 bytes/workgroup (compile time only)
; SGPRBlocks: 2
; VGPRBlocks: 11
; NumSGPRsForWavesPerEU: 18
; NumVGPRsForWavesPerEU: 92
; Occupancy: 16
; WaveLimiterHint : 1
; COMPUTE_PGM_RSRC2:SCRATCH_EN: 0
; COMPUTE_PGM_RSRC2:USER_SGPR: 15
; COMPUTE_PGM_RSRC2:TRAP_HANDLER: 0
; COMPUTE_PGM_RSRC2:TGID_X_EN: 1
; COMPUTE_PGM_RSRC2:TGID_Y_EN: 0
; COMPUTE_PGM_RSRC2:TGID_Z_EN: 0
; COMPUTE_PGM_RSRC2:TIDIG_COMP_CNT: 0
	.section	.text._ZN9rocsparseL19gebsrmvn_4xn_kernelILj128ELj7ELj16EdEEvi20rocsparse_direction_NS_24const_host_device_scalarIT2_EEPKiS6_PKS3_S8_S4_PS3_21rocsparse_index_base_b,"axG",@progbits,_ZN9rocsparseL19gebsrmvn_4xn_kernelILj128ELj7ELj16EdEEvi20rocsparse_direction_NS_24const_host_device_scalarIT2_EEPKiS6_PKS3_S8_S4_PS3_21rocsparse_index_base_b,comdat
	.globl	_ZN9rocsparseL19gebsrmvn_4xn_kernelILj128ELj7ELj16EdEEvi20rocsparse_direction_NS_24const_host_device_scalarIT2_EEPKiS6_PKS3_S8_S4_PS3_21rocsparse_index_base_b ; -- Begin function _ZN9rocsparseL19gebsrmvn_4xn_kernelILj128ELj7ELj16EdEEvi20rocsparse_direction_NS_24const_host_device_scalarIT2_EEPKiS6_PKS3_S8_S4_PS3_21rocsparse_index_base_b
	.p2align	8
	.type	_ZN9rocsparseL19gebsrmvn_4xn_kernelILj128ELj7ELj16EdEEvi20rocsparse_direction_NS_24const_host_device_scalarIT2_EEPKiS6_PKS3_S8_S4_PS3_21rocsparse_index_base_b,@function
_ZN9rocsparseL19gebsrmvn_4xn_kernelILj128ELj7ELj16EdEEvi20rocsparse_direction_NS_24const_host_device_scalarIT2_EEPKiS6_PKS3_S8_S4_PS3_21rocsparse_index_base_b: ; @_ZN9rocsparseL19gebsrmvn_4xn_kernelILj128ELj7ELj16EdEEvi20rocsparse_direction_NS_24const_host_device_scalarIT2_EEPKiS6_PKS3_S8_S4_PS3_21rocsparse_index_base_b
; %bb.0:
	s_clause 0x2
	s_load_b64 s[12:13], s[0:1], 0x40
	s_load_b64 s[4:5], s[0:1], 0x8
	;; [unrolled: 1-line block ×3, first 2 shown]
	s_waitcnt lgkmcnt(0)
	s_bitcmp1_b32 s13, 0
	v_dual_mov_b32 v1, s4 :: v_dual_mov_b32 v2, s5
	s_cselect_b32 s6, -1, 0
	s_delay_alu instid0(SALU_CYCLE_1)
	s_and_b32 vcc_lo, exec_lo, s6
	s_xor_b32 s6, s6, -1
	s_cbranch_vccnz .LBB64_2
; %bb.1:
	v_dual_mov_b32 v1, s4 :: v_dual_mov_b32 v2, s5
	flat_load_b64 v[1:2], v[1:2]
.LBB64_2:
	v_dual_mov_b32 v4, s3 :: v_dual_mov_b32 v3, s2
	s_and_not1_b32 vcc_lo, exec_lo, s6
	s_cbranch_vccnz .LBB64_4
; %bb.3:
	v_dual_mov_b32 v4, s3 :: v_dual_mov_b32 v3, s2
	flat_load_b64 v[3:4], v[3:4]
.LBB64_4:
	s_waitcnt vmcnt(0) lgkmcnt(0)
	v_cmp_neq_f64_e32 vcc_lo, 0, v[1:2]
	v_cmp_neq_f64_e64 s2, 1.0, v[3:4]
	s_delay_alu instid0(VALU_DEP_1) | instskip(NEXT) | instid1(SALU_CYCLE_1)
	s_or_b32 s2, vcc_lo, s2
	s_and_saveexec_b32 s3, s2
	s_cbranch_execz .LBB64_23
; %bb.5:
	s_load_b64 s[2:3], s[0:1], 0x0
	v_lshrrev_b32_e32 v5, 4, v0
	s_delay_alu instid0(VALU_DEP_1) | instskip(SKIP_1) | instid1(VALU_DEP_1)
	v_lshl_or_b32 v5, s15, 3, v5
	s_waitcnt lgkmcnt(0)
	v_cmp_gt_i32_e32 vcc_lo, s2, v5
	s_and_b32 exec_lo, exec_lo, vcc_lo
	s_cbranch_execz .LBB64_23
; %bb.6:
	s_load_b256 s[4:11], s[0:1], 0x10
	v_ashrrev_i32_e32 v6, 31, v5
	v_and_b32_e32 v0, 15, v0
	s_cmp_lg_u32 s3, 0
	s_delay_alu instid0(VALU_DEP_2) | instskip(SKIP_1) | instid1(VALU_DEP_1)
	v_lshlrev_b64 v[6:7], 2, v[5:6]
	s_waitcnt lgkmcnt(0)
	v_add_co_u32 v6, vcc_lo, s4, v6
	s_delay_alu instid0(VALU_DEP_2) | instskip(SKIP_4) | instid1(VALU_DEP_2)
	v_add_co_ci_u32_e32 v7, vcc_lo, s5, v7, vcc_lo
	global_load_b64 v[6:7], v[6:7], off
	s_waitcnt vmcnt(0)
	v_subrev_nc_u32_e32 v6, s12, v6
	v_subrev_nc_u32_e32 v20, s12, v7
	v_add_nc_u32_e32 v14, v6, v0
	s_delay_alu instid0(VALU_DEP_1)
	v_cmp_lt_i32_e64 s2, v14, v20
	s_cbranch_scc0 .LBB64_12
; %bb.7:
	v_mov_b32_e32 v6, 0
	v_mov_b32_e32 v7, 0
	s_delay_alu instid0(VALU_DEP_1)
	v_dual_mov_b32 v9, v7 :: v_dual_mov_b32 v8, v6
	v_dual_mov_b32 v11, v7 :: v_dual_mov_b32 v10, v6
	;; [unrolled: 1-line block ×3, first 2 shown]
	s_and_saveexec_b32 s3, s2
	s_cbranch_execz .LBB64_11
; %bb.8:
	v_dual_mov_b32 v6, 0 :: v_dual_mov_b32 v17, 0
	v_dual_mov_b32 v7, 0 :: v_dual_mov_b32 v18, v14
	v_mad_u64_u32 v[15:16], null, v14, 28, 24
	s_mov_b32 s4, 0
	s_delay_alu instid0(VALU_DEP_2)
	v_dual_mov_b32 v9, v7 :: v_dual_mov_b32 v8, v6
	v_dual_mov_b32 v11, v7 :: v_dual_mov_b32 v10, v6
	v_dual_mov_b32 v13, v7 :: v_dual_mov_b32 v12, v6
.LBB64_9:                               ; =>This Inner Loop Header: Depth=1
	v_ashrrev_i32_e32 v19, 31, v18
	v_subrev_nc_u32_e32 v16, 24, v15
	v_mov_b32_e32 v74, v17
	s_delay_alu instid0(VALU_DEP_3) | instskip(SKIP_1) | instid1(VALU_DEP_2)
	v_lshlrev_b64 v[21:22], 2, v[18:19]
	v_add_nc_u32_e32 v18, 16, v18
	v_add_co_u32 v21, vcc_lo, s6, v21
	s_delay_alu instid0(VALU_DEP_3) | instskip(SKIP_2) | instid1(VALU_DEP_1)
	v_add_co_ci_u32_e32 v22, vcc_lo, s7, v22, vcc_lo
	global_load_b32 v19, v[21:22], off
	v_lshlrev_b64 v[21:22], 3, v[16:17]
	v_add_co_u32 v25, vcc_lo, s8, v21
	s_delay_alu instid0(VALU_DEP_2) | instskip(SKIP_3) | instid1(VALU_DEP_1)
	v_add_co_ci_u32_e32 v26, vcc_lo, s9, v22, vcc_lo
	global_load_b128 v[21:24], v[25:26], off offset:16
	s_waitcnt vmcnt(1)
	v_subrev_nc_u32_e32 v16, s12, v19
	v_mul_lo_u32 v73, v16, 7
	v_subrev_nc_u32_e32 v16, 20, v15
	s_delay_alu instid0(VALU_DEP_2) | instskip(NEXT) | instid1(VALU_DEP_1)
	v_lshlrev_b64 v[27:28], 3, v[73:74]
	v_add_co_u32 v29, vcc_lo, s10, v27
	s_delay_alu instid0(VALU_DEP_2) | instskip(SKIP_4) | instid1(VALU_DEP_1)
	v_add_co_ci_u32_e32 v30, vcc_lo, s11, v28, vcc_lo
	global_load_b128 v[25:28], v[25:26], off
	global_load_b64 v[77:78], v[29:30], off
	v_lshlrev_b64 v[29:30], 3, v[16:17]
	v_add_nc_u32_e32 v16, 1, v73
	v_lshlrev_b64 v[35:36], 3, v[16:17]
	s_delay_alu instid0(VALU_DEP_3) | instskip(NEXT) | instid1(VALU_DEP_4)
	v_add_co_u32 v33, vcc_lo, s8, v29
	v_add_co_ci_u32_e32 v34, vcc_lo, s9, v30, vcc_lo
	v_add_nc_u32_e32 v16, -16, v15
	s_delay_alu instid0(VALU_DEP_4)
	v_add_co_u32 v37, vcc_lo, s10, v35
	v_add_co_ci_u32_e32 v38, vcc_lo, s11, v36, vcc_lo
	s_clause 0x1
	global_load_b128 v[29:32], v[33:34], off offset:16
	global_load_b128 v[33:36], v[33:34], off
	global_load_b64 v[79:80], v[37:38], off
	v_lshlrev_b64 v[37:38], 3, v[16:17]
	v_add_nc_u32_e32 v16, 2, v73
	s_delay_alu instid0(VALU_DEP_1) | instskip(NEXT) | instid1(VALU_DEP_3)
	v_lshlrev_b64 v[39:40], 3, v[16:17]
	v_add_co_u32 v41, vcc_lo, s8, v37
	s_delay_alu instid0(VALU_DEP_4) | instskip(SKIP_1) | instid1(VALU_DEP_4)
	v_add_co_ci_u32_e32 v42, vcc_lo, s9, v38, vcc_lo
	v_add_nc_u32_e32 v16, -12, v15
	v_add_co_u32 v45, vcc_lo, s10, v39
	v_add_co_ci_u32_e32 v46, vcc_lo, s11, v40, vcc_lo
	s_clause 0x1
	global_load_b128 v[37:40], v[41:42], off offset:16
	global_load_b128 v[41:44], v[41:42], off
	global_load_b64 v[81:82], v[45:46], off
	v_lshlrev_b64 v[45:46], 3, v[16:17]
	v_add_nc_u32_e32 v16, 3, v73
	s_delay_alu instid0(VALU_DEP_1) | instskip(NEXT) | instid1(VALU_DEP_3)
	v_lshlrev_b64 v[47:48], 3, v[16:17]
	v_add_co_u32 v49, vcc_lo, s8, v45
	s_delay_alu instid0(VALU_DEP_4) | instskip(SKIP_1) | instid1(VALU_DEP_4)
	v_add_co_ci_u32_e32 v50, vcc_lo, s9, v46, vcc_lo
	v_add_nc_u32_e32 v16, -8, v15
	;; [unrolled: 14-line block ×3, first 2 shown]
	v_add_co_u32 v61, vcc_lo, s10, v55
	v_add_co_ci_u32_e32 v62, vcc_lo, s11, v56, vcc_lo
	s_clause 0x1
	global_load_b128 v[53:56], v[57:58], off offset:16
	global_load_b128 v[57:60], v[57:58], off
	global_load_b64 v[85:86], v[61:62], off
	v_lshlrev_b64 v[61:62], 3, v[16:17]
	v_add_nc_u32_e32 v16, 5, v73
	s_delay_alu instid0(VALU_DEP_1) | instskip(NEXT) | instid1(VALU_DEP_3)
	v_lshlrev_b64 v[63:64], 3, v[16:17]
	v_add_co_u32 v65, vcc_lo, s8, v61
	s_delay_alu instid0(VALU_DEP_4) | instskip(SKIP_1) | instid1(VALU_DEP_4)
	v_add_co_ci_u32_e32 v66, vcc_lo, s9, v62, vcc_lo
	v_mov_b32_e32 v16, v17
	v_add_co_u32 v69, vcc_lo, s10, v63
	v_add_co_ci_u32_e32 v70, vcc_lo, s11, v64, vcc_lo
	s_clause 0x1
	global_load_b128 v[61:64], v[65:66], off offset:16
	global_load_b128 v[65:68], v[65:66], off
	global_load_b64 v[87:88], v[69:70], off
	v_lshlrev_b64 v[69:70], 3, v[15:16]
	v_add_nc_u32_e32 v15, 0x1c0, v15
	v_add_nc_u32_e32 v16, 6, v73
	s_delay_alu instid0(VALU_DEP_3) | instskip(NEXT) | instid1(VALU_DEP_2)
	v_add_co_u32 v74, vcc_lo, s8, v69
	v_lshlrev_b64 v[89:90], 3, v[16:17]
	v_add_co_ci_u32_e32 v75, vcc_lo, s9, v70, vcc_lo
	s_delay_alu instid0(VALU_DEP_2) | instskip(NEXT) | instid1(VALU_DEP_3)
	v_add_co_u32 v89, vcc_lo, s10, v89
	v_add_co_ci_u32_e32 v90, vcc_lo, s11, v90, vcc_lo
	s_clause 0x1
	global_load_b128 v[69:72], v[74:75], off offset:16
	global_load_b128 v[73:76], v[74:75], off
	global_load_b64 v[89:90], v[89:90], off
	v_cmp_ge_i32_e32 vcc_lo, v18, v20
	s_or_b32 s4, vcc_lo, s4
	s_waitcnt vmcnt(18)
	v_fma_f64 v[6:7], v[25:26], v[77:78], v[6:7]
	v_fma_f64 v[12:13], v[27:28], v[77:78], v[12:13]
	;; [unrolled: 1-line block ×4, first 2 shown]
	s_waitcnt vmcnt(15)
	s_delay_alu instid0(VALU_DEP_4) | instskip(NEXT) | instid1(VALU_DEP_4)
	v_fma_f64 v[6:7], v[33:34], v[79:80], v[6:7]
	v_fma_f64 v[12:13], v[35:36], v[79:80], v[12:13]
	s_delay_alu instid0(VALU_DEP_4) | instskip(NEXT) | instid1(VALU_DEP_4)
	v_fma_f64 v[10:11], v[29:30], v[79:80], v[10:11]
	v_fma_f64 v[8:9], v[31:32], v[79:80], v[8:9]
	s_waitcnt vmcnt(12)
	s_delay_alu instid0(VALU_DEP_4) | instskip(NEXT) | instid1(VALU_DEP_4)
	v_fma_f64 v[6:7], v[41:42], v[81:82], v[6:7]
	v_fma_f64 v[12:13], v[43:44], v[81:82], v[12:13]
	s_delay_alu instid0(VALU_DEP_4) | instskip(NEXT) | instid1(VALU_DEP_4)
	v_fma_f64 v[10:11], v[37:38], v[81:82], v[10:11]
	v_fma_f64 v[8:9], v[39:40], v[81:82], v[8:9]
	;; [unrolled: 7-line block ×6, first 2 shown]
	s_and_not1_b32 exec_lo, exec_lo, s4
	s_cbranch_execnz .LBB64_9
; %bb.10:
	s_or_b32 exec_lo, exec_lo, s4
.LBB64_11:
	s_delay_alu instid0(SALU_CYCLE_1)
	s_or_b32 exec_lo, exec_lo, s3
	s_cbranch_execz .LBB64_13
	s_branch .LBB64_18
.LBB64_12:
                                        ; implicit-def: $vgpr6_vgpr7
                                        ; implicit-def: $vgpr8_vgpr9
                                        ; implicit-def: $vgpr10_vgpr11
                                        ; implicit-def: $vgpr12_vgpr13
.LBB64_13:
	v_mov_b32_e32 v6, 0
	v_mov_b32_e32 v7, 0
	s_delay_alu instid0(VALU_DEP_1)
	v_dual_mov_b32 v9, v7 :: v_dual_mov_b32 v8, v6
	v_dual_mov_b32 v11, v7 :: v_dual_mov_b32 v10, v6
	;; [unrolled: 1-line block ×3, first 2 shown]
	s_and_saveexec_b32 s3, s2
	s_cbranch_execz .LBB64_17
; %bb.14:
	v_dual_mov_b32 v6, 0 :: v_dual_mov_b32 v19, 0
	v_mov_b32_e32 v7, 0
	v_mad_u64_u32 v[16:17], null, v14, 28, 27
	s_mov_b32 s2, 0
	s_delay_alu instid0(VALU_DEP_2)
	v_dual_mov_b32 v9, v7 :: v_dual_mov_b32 v8, v6
	v_dual_mov_b32 v11, v7 :: v_dual_mov_b32 v10, v6
	;; [unrolled: 1-line block ×3, first 2 shown]
.LBB64_15:                              ; =>This Inner Loop Header: Depth=1
	v_ashrrev_i32_e32 v15, 31, v14
	v_subrev_nc_u32_e32 v21, 20, v16
	v_dual_mov_b32 v22, v19 :: v_dual_add_nc_u32 v25, -6, v16
	v_dual_mov_b32 v30, v19 :: v_dual_add_nc_u32 v23, -13, v16
	s_delay_alu instid0(VALU_DEP_4) | instskip(SKIP_1) | instid1(VALU_DEP_4)
	v_lshlrev_b64 v[17:18], 2, v[14:15]
	v_mov_b32_e32 v24, v19
	v_lshlrev_b64 v[21:22], 3, v[21:22]
	v_mov_b32_e32 v26, v19
	v_add_nc_u32_e32 v14, 16, v14
	v_add_co_u32 v17, vcc_lo, s6, v17
	v_add_co_ci_u32_e32 v18, vcc_lo, s7, v18, vcc_lo
	v_lshlrev_b64 v[23:24], 3, v[23:24]
	v_lshlrev_b64 v[25:26], 3, v[25:26]
	global_load_b32 v15, v[17:18], off
	v_subrev_nc_u32_e32 v18, 27, v16
	s_delay_alu instid0(VALU_DEP_1) | instskip(NEXT) | instid1(VALU_DEP_1)
	v_lshlrev_b64 v[27:28], 3, v[18:19]
	v_add_co_u32 v27, vcc_lo, s8, v27
	s_delay_alu instid0(VALU_DEP_2)
	v_add_co_ci_u32_e32 v28, vcc_lo, s9, v28, vcc_lo
	v_add_co_u32 v31, vcc_lo, s8, v21
	v_add_co_ci_u32_e32 v32, vcc_lo, s9, v22, vcc_lo
	v_add_co_u32 v33, vcc_lo, s8, v23
	;; [unrolled: 2-line block ×3, first 2 shown]
	v_add_co_ci_u32_e32 v36, vcc_lo, s9, v26, vcc_lo
	s_clause 0x4
	global_load_b128 v[21:24], v[27:28], off offset:16
	global_load_b128 v[25:28], v[27:28], off
	global_load_b64 v[31:32], v[31:32], off
	global_load_b64 v[33:34], v[33:34], off
	;; [unrolled: 1-line block ×3, first 2 shown]
	s_waitcnt vmcnt(5)
	v_subrev_nc_u32_e32 v15, s12, v15
	s_delay_alu instid0(VALU_DEP_1) | instskip(SKIP_1) | instid1(VALU_DEP_1)
	v_mul_lo_u32 v29, v15, 7
	v_mov_b32_e32 v17, v19
	v_lshlrev_b64 v[17:18], 3, v[16:17]
	s_delay_alu instid0(VALU_DEP_1) | instskip(NEXT) | instid1(VALU_DEP_2)
	v_add_co_u32 v37, vcc_lo, s8, v17
	v_add_co_ci_u32_e32 v38, vcc_lo, s9, v18, vcc_lo
	v_lshlrev_b64 v[17:18], 3, v[29:30]
	s_delay_alu instid0(VALU_DEP_1) | instskip(NEXT) | instid1(VALU_DEP_2)
	v_add_co_u32 v17, vcc_lo, s10, v17
	v_add_co_ci_u32_e32 v18, vcc_lo, s11, v18, vcc_lo
	global_load_b64 v[39:40], v[17:18], off
	v_add_nc_u32_e32 v18, 1, v29
	s_delay_alu instid0(VALU_DEP_1) | instskip(SKIP_1) | instid1(VALU_DEP_1)
	v_lshlrev_b64 v[41:42], 3, v[18:19]
	v_subrev_nc_u32_e32 v18, 19, v16
	v_lshlrev_b64 v[43:44], 3, v[18:19]
	v_add_nc_u32_e32 v18, -12, v16
	s_delay_alu instid0(VALU_DEP_4) | instskip(SKIP_1) | instid1(VALU_DEP_3)
	v_add_co_u32 v41, vcc_lo, s10, v41
	v_add_co_ci_u32_e32 v42, vcc_lo, s11, v42, vcc_lo
	v_lshlrev_b64 v[45:46], 3, v[18:19]
	v_add_nc_u32_e32 v18, -5, v16
	v_add_co_u32 v43, vcc_lo, s8, v43
	v_add_co_ci_u32_e32 v44, vcc_lo, s9, v44, vcc_lo
	s_delay_alu instid0(VALU_DEP_3)
	v_lshlrev_b64 v[17:18], 3, v[18:19]
	v_add_co_u32 v45, vcc_lo, s8, v45
	v_add_co_ci_u32_e32 v46, vcc_lo, s9, v46, vcc_lo
	global_load_b64 v[41:42], v[41:42], off
	v_add_co_u32 v17, vcc_lo, s8, v17
	v_add_co_ci_u32_e32 v18, vcc_lo, s9, v18, vcc_lo
	s_clause 0x2
	global_load_b64 v[43:44], v[43:44], off
	global_load_b64 v[45:46], v[45:46], off
	global_load_b64 v[47:48], v[17:18], off
	v_add_nc_u32_e32 v18, 2, v29
	s_delay_alu instid0(VALU_DEP_1) | instskip(SKIP_1) | instid1(VALU_DEP_1)
	v_lshlrev_b64 v[49:50], 3, v[18:19]
	v_subrev_nc_u32_e32 v18, 18, v16
	v_lshlrev_b64 v[51:52], 3, v[18:19]
	v_add_nc_u32_e32 v18, -11, v16
	s_delay_alu instid0(VALU_DEP_4) | instskip(SKIP_1) | instid1(VALU_DEP_3)
	v_add_co_u32 v49, vcc_lo, s10, v49
	v_add_co_ci_u32_e32 v50, vcc_lo, s11, v50, vcc_lo
	v_lshlrev_b64 v[53:54], 3, v[18:19]
	v_add_nc_u32_e32 v18, -4, v16
	v_add_co_u32 v51, vcc_lo, s8, v51
	v_add_co_ci_u32_e32 v52, vcc_lo, s9, v52, vcc_lo
	s_delay_alu instid0(VALU_DEP_3)
	v_lshlrev_b64 v[17:18], 3, v[18:19]
	v_add_co_u32 v53, vcc_lo, s8, v53
	v_add_co_ci_u32_e32 v54, vcc_lo, s9, v54, vcc_lo
	global_load_b64 v[49:50], v[49:50], off
	v_add_co_u32 v55, vcc_lo, s8, v17
	v_add_co_ci_u32_e32 v56, vcc_lo, s9, v18, vcc_lo
	s_clause 0x2
	global_load_b64 v[51:52], v[51:52], off
	global_load_b64 v[53:54], v[53:54], off
	;; [unrolled: 24-line block ×3, first 2 shown]
	global_load_b64 v[63:64], v[63:64], off
	v_subrev_nc_u32_e32 v18, 23, v16
	s_delay_alu instid0(VALU_DEP_1) | instskip(SKIP_1) | instid1(VALU_DEP_1)
	v_lshlrev_b64 v[65:66], 3, v[18:19]
	v_add_nc_u32_e32 v18, 4, v29
	v_lshlrev_b64 v[67:68], 3, v[18:19]
	v_add_nc_u32_e32 v18, -16, v16
	s_delay_alu instid0(VALU_DEP_4) | instskip(SKIP_1) | instid1(VALU_DEP_3)
	v_add_co_u32 v65, vcc_lo, s8, v65
	v_add_co_ci_u32_e32 v66, vcc_lo, s9, v66, vcc_lo
	v_lshlrev_b64 v[69:70], 3, v[18:19]
	v_add_nc_u32_e32 v18, -9, v16
	v_add_co_u32 v67, vcc_lo, s10, v67
	v_add_co_ci_u32_e32 v68, vcc_lo, s11, v68, vcc_lo
	s_delay_alu instid0(VALU_DEP_3) | instskip(SKIP_3) | instid1(VALU_DEP_3)
	v_lshlrev_b64 v[71:72], 3, v[18:19]
	v_add_nc_u32_e32 v18, -2, v16
	v_add_co_u32 v69, vcc_lo, s8, v69
	v_add_co_ci_u32_e32 v70, vcc_lo, s9, v70, vcc_lo
	v_lshlrev_b64 v[17:18], 3, v[18:19]
	v_add_co_u32 v71, vcc_lo, s8, v71
	v_add_co_ci_u32_e32 v72, vcc_lo, s9, v72, vcc_lo
	global_load_b64 v[65:66], v[65:66], off
	v_add_co_u32 v73, vcc_lo, s8, v17
	v_add_co_ci_u32_e32 v74, vcc_lo, s9, v18, vcc_lo
	global_load_b64 v[67:68], v[67:68], off
	s_clause 0x2
	global_load_b64 v[69:70], v[69:70], off
	global_load_b64 v[71:72], v[71:72], off
	;; [unrolled: 1-line block ×3, first 2 shown]
	v_subrev_nc_u32_e32 v18, 22, v16
	s_delay_alu instid0(VALU_DEP_1) | instskip(SKIP_1) | instid1(VALU_DEP_1)
	v_lshlrev_b64 v[75:76], 3, v[18:19]
	v_add_nc_u32_e32 v18, 5, v29
	v_lshlrev_b64 v[77:78], 3, v[18:19]
	v_add_nc_u32_e32 v18, -15, v16
	s_delay_alu instid0(VALU_DEP_4) | instskip(SKIP_1) | instid1(VALU_DEP_3)
	v_add_co_u32 v75, vcc_lo, s8, v75
	v_add_co_ci_u32_e32 v76, vcc_lo, s9, v76, vcc_lo
	v_lshlrev_b64 v[79:80], 3, v[18:19]
	v_add_nc_u32_e32 v18, -8, v16
	v_add_co_u32 v77, vcc_lo, s10, v77
	v_add_co_ci_u32_e32 v78, vcc_lo, s11, v78, vcc_lo
	s_delay_alu instid0(VALU_DEP_3) | instskip(SKIP_3) | instid1(VALU_DEP_3)
	v_lshlrev_b64 v[81:82], 3, v[18:19]
	v_add_nc_u32_e32 v18, -1, v16
	v_add_co_u32 v79, vcc_lo, s8, v79
	v_add_co_ci_u32_e32 v80, vcc_lo, s9, v80, vcc_lo
	v_lshlrev_b64 v[17:18], 3, v[18:19]
	v_add_co_u32 v81, vcc_lo, s8, v81
	v_add_co_ci_u32_e32 v82, vcc_lo, s9, v82, vcc_lo
	s_delay_alu instid0(VALU_DEP_3) | instskip(NEXT) | instid1(VALU_DEP_4)
	v_add_co_u32 v17, vcc_lo, s8, v17
	v_add_co_ci_u32_e32 v18, vcc_lo, s9, v18, vcc_lo
	global_load_b64 v[75:76], v[75:76], off
	global_load_b64 v[77:78], v[77:78], off
	s_clause 0x2
	global_load_b64 v[79:80], v[79:80], off
	global_load_b64 v[81:82], v[81:82], off
	;; [unrolled: 1-line block ×3, first 2 shown]
	v_subrev_nc_u32_e32 v18, 21, v16
	s_delay_alu instid0(VALU_DEP_1) | instskip(SKIP_1) | instid1(VALU_DEP_1)
	v_lshlrev_b64 v[85:86], 3, v[18:19]
	v_add_nc_u32_e32 v18, 6, v29
	v_lshlrev_b64 v[29:30], 3, v[18:19]
	v_add_nc_u32_e32 v18, -14, v16
	s_delay_alu instid0(VALU_DEP_4) | instskip(SKIP_1) | instid1(VALU_DEP_3)
	v_add_co_u32 v85, vcc_lo, s8, v85
	v_add_co_ci_u32_e32 v86, vcc_lo, s9, v86, vcc_lo
	v_lshlrev_b64 v[87:88], 3, v[18:19]
	v_add_nc_u32_e32 v18, -7, v16
	v_add_co_u32 v29, vcc_lo, s10, v29
	v_add_co_ci_u32_e32 v30, vcc_lo, s11, v30, vcc_lo
	s_delay_alu instid0(VALU_DEP_3) | instskip(SKIP_3) | instid1(VALU_DEP_4)
	v_lshlrev_b64 v[17:18], 3, v[18:19]
	v_add_co_u32 v87, vcc_lo, s8, v87
	v_add_co_ci_u32_e32 v88, vcc_lo, s9, v88, vcc_lo
	v_add_nc_u32_e32 v16, 0x1c0, v16
	v_add_co_u32 v17, vcc_lo, s8, v17
	v_add_co_ci_u32_e32 v18, vcc_lo, s9, v18, vcc_lo
	global_load_b64 v[85:86], v[85:86], off
	global_load_b64 v[29:30], v[29:30], off
	s_clause 0x2
	global_load_b64 v[87:88], v[87:88], off
	global_load_b64 v[17:18], v[17:18], off
	;; [unrolled: 1-line block ×3, first 2 shown]
	v_cmp_ge_i32_e32 vcc_lo, v14, v20
	s_or_b32 s2, vcc_lo, s2
	s_waitcnt vmcnt(27)
	v_fma_f64 v[6:7], v[25:26], v[39:40], v[6:7]
	v_fma_f64 v[12:13], v[31:32], v[39:40], v[12:13]
	;; [unrolled: 1-line block ×4, first 2 shown]
	s_waitcnt vmcnt(26)
	s_delay_alu instid0(VALU_DEP_4) | instskip(SKIP_1) | instid1(VALU_DEP_4)
	v_fma_f64 v[6:7], v[27:28], v[41:42], v[6:7]
	s_waitcnt vmcnt(25)
	v_fma_f64 v[12:13], v[43:44], v[41:42], v[12:13]
	s_waitcnt vmcnt(24)
	s_delay_alu instid0(VALU_DEP_4) | instskip(SKIP_1) | instid1(VALU_DEP_4)
	v_fma_f64 v[10:11], v[45:46], v[41:42], v[10:11]
	s_waitcnt vmcnt(23)
	v_fma_f64 v[8:9], v[47:48], v[41:42], v[8:9]
	;; [unrolled: 5-line block ×12, first 2 shown]
	s_and_not1_b32 exec_lo, exec_lo, s2
	s_cbranch_execnz .LBB64_15
; %bb.16:
	s_or_b32 exec_lo, exec_lo, s2
.LBB64_17:
	s_delay_alu instid0(SALU_CYCLE_1)
	s_or_b32 exec_lo, exec_lo, s3
.LBB64_18:
	v_mbcnt_lo_u32_b32 v24, -1, 0
	s_delay_alu instid0(VALU_DEP_1) | instskip(NEXT) | instid1(VALU_DEP_1)
	v_xor_b32_e32 v14, 8, v24
	v_cmp_gt_i32_e32 vcc_lo, 32, v14
	v_cndmask_b32_e32 v14, v24, v14, vcc_lo
	s_delay_alu instid0(VALU_DEP_1)
	v_lshlrev_b32_e32 v21, 2, v14
	ds_bpermute_b32 v14, v21, v6
	ds_bpermute_b32 v15, v21, v7
	;; [unrolled: 1-line block ×8, first 2 shown]
	s_waitcnt lgkmcnt(6)
	v_add_f64 v[6:7], v[6:7], v[14:15]
	v_xor_b32_e32 v14, 4, v24
	s_waitcnt lgkmcnt(4)
	v_add_f64 v[12:13], v[12:13], v[16:17]
	s_waitcnt lgkmcnt(2)
	v_add_f64 v[10:11], v[10:11], v[18:19]
	;; [unrolled: 2-line block ×3, first 2 shown]
	v_cmp_gt_i32_e32 vcc_lo, 32, v14
	v_cndmask_b32_e32 v14, v24, v14, vcc_lo
	s_delay_alu instid0(VALU_DEP_1)
	v_lshlrev_b32_e32 v21, 2, v14
	ds_bpermute_b32 v14, v21, v6
	ds_bpermute_b32 v15, v21, v7
	;; [unrolled: 1-line block ×8, first 2 shown]
	s_waitcnt lgkmcnt(6)
	v_add_f64 v[6:7], v[6:7], v[14:15]
	s_waitcnt lgkmcnt(4)
	v_add_f64 v[12:13], v[12:13], v[16:17]
	;; [unrolled: 2-line block ×4, first 2 shown]
	v_xor_b32_e32 v8, 2, v24
	s_delay_alu instid0(VALU_DEP_1) | instskip(SKIP_1) | instid1(VALU_DEP_1)
	v_cmp_gt_i32_e32 vcc_lo, 32, v8
	v_cndmask_b32_e32 v8, v24, v8, vcc_lo
	v_lshlrev_b32_e32 v10, 2, v8
	ds_bpermute_b32 v8, v10, v6
	ds_bpermute_b32 v9, v10, v7
	;; [unrolled: 1-line block ×8, first 2 shown]
	s_waitcnt lgkmcnt(6)
	v_add_f64 v[10:11], v[6:7], v[8:9]
	s_waitcnt lgkmcnt(4)
	v_add_f64 v[8:9], v[12:13], v[18:19]
	v_xor_b32_e32 v12, 1, v24
	s_waitcnt lgkmcnt(2)
	v_add_f64 v[6:7], v[14:15], v[20:21]
	s_waitcnt lgkmcnt(0)
	v_add_f64 v[14:15], v[16:17], v[22:23]
	v_cmp_gt_i32_e32 vcc_lo, 32, v12
	v_cndmask_b32_e32 v12, v24, v12, vcc_lo
	v_cmp_eq_u32_e32 vcc_lo, 15, v0
	s_delay_alu instid0(VALU_DEP_2)
	v_lshlrev_b32_e32 v17, 2, v12
	ds_bpermute_b32 v12, v17, v10
	ds_bpermute_b32 v13, v17, v11
	;; [unrolled: 1-line block ×8, first 2 shown]
	s_and_b32 exec_lo, exec_lo, vcc_lo
	s_cbranch_execz .LBB64_23
; %bb.19:
	s_waitcnt lgkmcnt(6)
	v_add_f64 v[12:13], v[10:11], v[12:13]
	s_waitcnt lgkmcnt(4)
	v_add_f64 v[10:11], v[8:9], v[20:21]
	;; [unrolled: 2-line block ×4, first 2 shown]
	s_load_b64 s[0:1], s[0:1], 0x38
	s_mov_b32 s2, exec_lo
	v_cmpx_eq_f64_e32 0, v[3:4]
	s_xor_b32 s2, exec_lo, s2
	s_cbranch_execz .LBB64_21
; %bb.20:
	v_mul_f64 v[12:13], v[1:2], v[12:13]
	v_mul_f64 v[14:15], v[1:2], v[10:11]
	;; [unrolled: 1-line block ×4, first 2 shown]
	v_lshlrev_b32_e32 v0, 2, v5
                                        ; implicit-def: $vgpr5
                                        ; implicit-def: $vgpr3_vgpr4
                                        ; implicit-def: $vgpr6_vgpr7
	s_delay_alu instid0(VALU_DEP_1) | instskip(NEXT) | instid1(VALU_DEP_1)
	v_ashrrev_i32_e32 v1, 31, v0
	v_lshlrev_b64 v[0:1], 3, v[0:1]
	s_waitcnt lgkmcnt(0)
	s_delay_alu instid0(VALU_DEP_1) | instskip(NEXT) | instid1(VALU_DEP_2)
	v_add_co_u32 v0, vcc_lo, s0, v0
	v_add_co_ci_u32_e32 v1, vcc_lo, s1, v1, vcc_lo
	s_clause 0x1
	global_store_b128 v[0:1], v[12:15], off
	global_store_b128 v[0:1], v[8:11], off offset:16
                                        ; implicit-def: $vgpr1_vgpr2
                                        ; implicit-def: $vgpr12_vgpr13
                                        ; implicit-def: $vgpr10_vgpr11
                                        ; implicit-def: $vgpr8_vgpr9
.LBB64_21:
	s_and_not1_saveexec_b32 s2, s2
	s_cbranch_execz .LBB64_23
; %bb.22:
	v_lshlrev_b32_e32 v14, 2, v5
	v_mul_f64 v[12:13], v[1:2], v[12:13]
	v_mul_f64 v[10:11], v[1:2], v[10:11]
	;; [unrolled: 1-line block ×4, first 2 shown]
	v_ashrrev_i32_e32 v15, 31, v14
	s_delay_alu instid0(VALU_DEP_1) | instskip(SKIP_1) | instid1(VALU_DEP_1)
	v_lshlrev_b64 v[14:15], 3, v[14:15]
	s_waitcnt lgkmcnt(0)
	v_add_co_u32 v22, vcc_lo, s0, v14
	s_delay_alu instid0(VALU_DEP_2)
	v_add_co_ci_u32_e32 v23, vcc_lo, s1, v15, vcc_lo
	s_clause 0x1
	global_load_b128 v[14:17], v[22:23], off
	global_load_b128 v[18:21], v[22:23], off offset:16
	s_waitcnt vmcnt(1)
	v_fma_f64 v[5:6], v[3:4], v[14:15], v[12:13]
	v_fma_f64 v[7:8], v[3:4], v[16:17], v[10:11]
	s_waitcnt vmcnt(0)
	v_fma_f64 v[0:1], v[3:4], v[18:19], v[24:25]
	v_fma_f64 v[2:3], v[3:4], v[20:21], v[26:27]
	s_clause 0x1
	global_store_b128 v[22:23], v[5:8], off
	global_store_b128 v[22:23], v[0:3], off offset:16
.LBB64_23:
	s_nop 0
	s_sendmsg sendmsg(MSG_DEALLOC_VGPRS)
	s_endpgm
	.section	.rodata,"a",@progbits
	.p2align	6, 0x0
	.amdhsa_kernel _ZN9rocsparseL19gebsrmvn_4xn_kernelILj128ELj7ELj16EdEEvi20rocsparse_direction_NS_24const_host_device_scalarIT2_EEPKiS6_PKS3_S8_S4_PS3_21rocsparse_index_base_b
		.amdhsa_group_segment_fixed_size 0
		.amdhsa_private_segment_fixed_size 0
		.amdhsa_kernarg_size 72
		.amdhsa_user_sgpr_count 15
		.amdhsa_user_sgpr_dispatch_ptr 0
		.amdhsa_user_sgpr_queue_ptr 0
		.amdhsa_user_sgpr_kernarg_segment_ptr 1
		.amdhsa_user_sgpr_dispatch_id 0
		.amdhsa_user_sgpr_private_segment_size 0
		.amdhsa_wavefront_size32 1
		.amdhsa_uses_dynamic_stack 0
		.amdhsa_enable_private_segment 0
		.amdhsa_system_sgpr_workgroup_id_x 1
		.amdhsa_system_sgpr_workgroup_id_y 0
		.amdhsa_system_sgpr_workgroup_id_z 0
		.amdhsa_system_sgpr_workgroup_info 0
		.amdhsa_system_vgpr_workitem_id 0
		.amdhsa_next_free_vgpr 91
		.amdhsa_next_free_sgpr 16
		.amdhsa_reserve_vcc 1
		.amdhsa_float_round_mode_32 0
		.amdhsa_float_round_mode_16_64 0
		.amdhsa_float_denorm_mode_32 3
		.amdhsa_float_denorm_mode_16_64 3
		.amdhsa_dx10_clamp 1
		.amdhsa_ieee_mode 1
		.amdhsa_fp16_overflow 0
		.amdhsa_workgroup_processor_mode 1
		.amdhsa_memory_ordered 1
		.amdhsa_forward_progress 0
		.amdhsa_shared_vgpr_count 0
		.amdhsa_exception_fp_ieee_invalid_op 0
		.amdhsa_exception_fp_denorm_src 0
		.amdhsa_exception_fp_ieee_div_zero 0
		.amdhsa_exception_fp_ieee_overflow 0
		.amdhsa_exception_fp_ieee_underflow 0
		.amdhsa_exception_fp_ieee_inexact 0
		.amdhsa_exception_int_div_zero 0
	.end_amdhsa_kernel
	.section	.text._ZN9rocsparseL19gebsrmvn_4xn_kernelILj128ELj7ELj16EdEEvi20rocsparse_direction_NS_24const_host_device_scalarIT2_EEPKiS6_PKS3_S8_S4_PS3_21rocsparse_index_base_b,"axG",@progbits,_ZN9rocsparseL19gebsrmvn_4xn_kernelILj128ELj7ELj16EdEEvi20rocsparse_direction_NS_24const_host_device_scalarIT2_EEPKiS6_PKS3_S8_S4_PS3_21rocsparse_index_base_b,comdat
.Lfunc_end64:
	.size	_ZN9rocsparseL19gebsrmvn_4xn_kernelILj128ELj7ELj16EdEEvi20rocsparse_direction_NS_24const_host_device_scalarIT2_EEPKiS6_PKS3_S8_S4_PS3_21rocsparse_index_base_b, .Lfunc_end64-_ZN9rocsparseL19gebsrmvn_4xn_kernelILj128ELj7ELj16EdEEvi20rocsparse_direction_NS_24const_host_device_scalarIT2_EEPKiS6_PKS3_S8_S4_PS3_21rocsparse_index_base_b
                                        ; -- End function
	.section	.AMDGPU.csdata,"",@progbits
; Kernel info:
; codeLenInByte = 3936
; NumSgprs: 18
; NumVgprs: 91
; ScratchSize: 0
; MemoryBound: 1
; FloatMode: 240
; IeeeMode: 1
; LDSByteSize: 0 bytes/workgroup (compile time only)
; SGPRBlocks: 2
; VGPRBlocks: 11
; NumSGPRsForWavesPerEU: 18
; NumVGPRsForWavesPerEU: 91
; Occupancy: 16
; WaveLimiterHint : 1
; COMPUTE_PGM_RSRC2:SCRATCH_EN: 0
; COMPUTE_PGM_RSRC2:USER_SGPR: 15
; COMPUTE_PGM_RSRC2:TRAP_HANDLER: 0
; COMPUTE_PGM_RSRC2:TGID_X_EN: 1
; COMPUTE_PGM_RSRC2:TGID_Y_EN: 0
; COMPUTE_PGM_RSRC2:TGID_Z_EN: 0
; COMPUTE_PGM_RSRC2:TIDIG_COMP_CNT: 0
	.section	.text._ZN9rocsparseL19gebsrmvn_4xn_kernelILj128ELj7ELj32EdEEvi20rocsparse_direction_NS_24const_host_device_scalarIT2_EEPKiS6_PKS3_S8_S4_PS3_21rocsparse_index_base_b,"axG",@progbits,_ZN9rocsparseL19gebsrmvn_4xn_kernelILj128ELj7ELj32EdEEvi20rocsparse_direction_NS_24const_host_device_scalarIT2_EEPKiS6_PKS3_S8_S4_PS3_21rocsparse_index_base_b,comdat
	.globl	_ZN9rocsparseL19gebsrmvn_4xn_kernelILj128ELj7ELj32EdEEvi20rocsparse_direction_NS_24const_host_device_scalarIT2_EEPKiS6_PKS3_S8_S4_PS3_21rocsparse_index_base_b ; -- Begin function _ZN9rocsparseL19gebsrmvn_4xn_kernelILj128ELj7ELj32EdEEvi20rocsparse_direction_NS_24const_host_device_scalarIT2_EEPKiS6_PKS3_S8_S4_PS3_21rocsparse_index_base_b
	.p2align	8
	.type	_ZN9rocsparseL19gebsrmvn_4xn_kernelILj128ELj7ELj32EdEEvi20rocsparse_direction_NS_24const_host_device_scalarIT2_EEPKiS6_PKS3_S8_S4_PS3_21rocsparse_index_base_b,@function
_ZN9rocsparseL19gebsrmvn_4xn_kernelILj128ELj7ELj32EdEEvi20rocsparse_direction_NS_24const_host_device_scalarIT2_EEPKiS6_PKS3_S8_S4_PS3_21rocsparse_index_base_b: ; @_ZN9rocsparseL19gebsrmvn_4xn_kernelILj128ELj7ELj32EdEEvi20rocsparse_direction_NS_24const_host_device_scalarIT2_EEPKiS6_PKS3_S8_S4_PS3_21rocsparse_index_base_b
; %bb.0:
	s_clause 0x2
	s_load_b64 s[12:13], s[0:1], 0x40
	s_load_b64 s[4:5], s[0:1], 0x8
	;; [unrolled: 1-line block ×3, first 2 shown]
	s_waitcnt lgkmcnt(0)
	s_bitcmp1_b32 s13, 0
	v_dual_mov_b32 v1, s4 :: v_dual_mov_b32 v2, s5
	s_cselect_b32 s6, -1, 0
	s_delay_alu instid0(SALU_CYCLE_1)
	s_and_b32 vcc_lo, exec_lo, s6
	s_xor_b32 s6, s6, -1
	s_cbranch_vccnz .LBB65_2
; %bb.1:
	v_dual_mov_b32 v1, s4 :: v_dual_mov_b32 v2, s5
	flat_load_b64 v[1:2], v[1:2]
.LBB65_2:
	v_dual_mov_b32 v4, s3 :: v_dual_mov_b32 v3, s2
	s_and_not1_b32 vcc_lo, exec_lo, s6
	s_cbranch_vccnz .LBB65_4
; %bb.3:
	v_dual_mov_b32 v4, s3 :: v_dual_mov_b32 v3, s2
	flat_load_b64 v[3:4], v[3:4]
.LBB65_4:
	s_waitcnt vmcnt(0) lgkmcnt(0)
	v_cmp_neq_f64_e32 vcc_lo, 0, v[1:2]
	v_cmp_neq_f64_e64 s2, 1.0, v[3:4]
	s_delay_alu instid0(VALU_DEP_1) | instskip(NEXT) | instid1(SALU_CYCLE_1)
	s_or_b32 s2, vcc_lo, s2
	s_and_saveexec_b32 s3, s2
	s_cbranch_execz .LBB65_23
; %bb.5:
	s_load_b64 s[2:3], s[0:1], 0x0
	v_lshrrev_b32_e32 v5, 5, v0
	s_delay_alu instid0(VALU_DEP_1) | instskip(SKIP_1) | instid1(VALU_DEP_1)
	v_lshl_or_b32 v5, s15, 2, v5
	s_waitcnt lgkmcnt(0)
	v_cmp_gt_i32_e32 vcc_lo, s2, v5
	s_and_b32 exec_lo, exec_lo, vcc_lo
	s_cbranch_execz .LBB65_23
; %bb.6:
	s_load_b256 s[4:11], s[0:1], 0x10
	v_ashrrev_i32_e32 v6, 31, v5
	v_and_b32_e32 v0, 31, v0
	s_cmp_lg_u32 s3, 0
	s_delay_alu instid0(VALU_DEP_2) | instskip(SKIP_1) | instid1(VALU_DEP_1)
	v_lshlrev_b64 v[6:7], 2, v[5:6]
	s_waitcnt lgkmcnt(0)
	v_add_co_u32 v6, vcc_lo, s4, v6
	s_delay_alu instid0(VALU_DEP_2) | instskip(SKIP_4) | instid1(VALU_DEP_2)
	v_add_co_ci_u32_e32 v7, vcc_lo, s5, v7, vcc_lo
	global_load_b64 v[6:7], v[6:7], off
	s_waitcnt vmcnt(0)
	v_subrev_nc_u32_e32 v6, s12, v6
	v_subrev_nc_u32_e32 v20, s12, v7
	v_add_nc_u32_e32 v14, v6, v0
	s_delay_alu instid0(VALU_DEP_1)
	v_cmp_lt_i32_e64 s2, v14, v20
	s_cbranch_scc0 .LBB65_12
; %bb.7:
	v_mov_b32_e32 v6, 0
	v_mov_b32_e32 v7, 0
	s_delay_alu instid0(VALU_DEP_1)
	v_dual_mov_b32 v9, v7 :: v_dual_mov_b32 v8, v6
	v_dual_mov_b32 v11, v7 :: v_dual_mov_b32 v10, v6
	;; [unrolled: 1-line block ×3, first 2 shown]
	s_and_saveexec_b32 s3, s2
	s_cbranch_execz .LBB65_11
; %bb.8:
	v_dual_mov_b32 v6, 0 :: v_dual_mov_b32 v17, 0
	v_dual_mov_b32 v7, 0 :: v_dual_mov_b32 v18, v14
	v_mad_u64_u32 v[15:16], null, v14, 28, 24
	s_mov_b32 s4, 0
	s_delay_alu instid0(VALU_DEP_2)
	v_dual_mov_b32 v9, v7 :: v_dual_mov_b32 v8, v6
	v_dual_mov_b32 v11, v7 :: v_dual_mov_b32 v10, v6
	;; [unrolled: 1-line block ×3, first 2 shown]
.LBB65_9:                               ; =>This Inner Loop Header: Depth=1
	v_ashrrev_i32_e32 v19, 31, v18
	v_subrev_nc_u32_e32 v16, 24, v15
	v_mov_b32_e32 v74, v17
	s_delay_alu instid0(VALU_DEP_3) | instskip(SKIP_1) | instid1(VALU_DEP_2)
	v_lshlrev_b64 v[21:22], 2, v[18:19]
	v_add_nc_u32_e32 v18, 32, v18
	v_add_co_u32 v21, vcc_lo, s6, v21
	s_delay_alu instid0(VALU_DEP_3) | instskip(SKIP_2) | instid1(VALU_DEP_1)
	v_add_co_ci_u32_e32 v22, vcc_lo, s7, v22, vcc_lo
	global_load_b32 v19, v[21:22], off
	v_lshlrev_b64 v[21:22], 3, v[16:17]
	v_add_co_u32 v25, vcc_lo, s8, v21
	s_delay_alu instid0(VALU_DEP_2) | instskip(SKIP_3) | instid1(VALU_DEP_1)
	v_add_co_ci_u32_e32 v26, vcc_lo, s9, v22, vcc_lo
	global_load_b128 v[21:24], v[25:26], off offset:16
	s_waitcnt vmcnt(1)
	v_subrev_nc_u32_e32 v16, s12, v19
	v_mul_lo_u32 v73, v16, 7
	v_subrev_nc_u32_e32 v16, 20, v15
	s_delay_alu instid0(VALU_DEP_2) | instskip(NEXT) | instid1(VALU_DEP_1)
	v_lshlrev_b64 v[27:28], 3, v[73:74]
	v_add_co_u32 v29, vcc_lo, s10, v27
	s_delay_alu instid0(VALU_DEP_2) | instskip(SKIP_4) | instid1(VALU_DEP_1)
	v_add_co_ci_u32_e32 v30, vcc_lo, s11, v28, vcc_lo
	global_load_b128 v[25:28], v[25:26], off
	global_load_b64 v[77:78], v[29:30], off
	v_lshlrev_b64 v[29:30], 3, v[16:17]
	v_add_nc_u32_e32 v16, 1, v73
	v_lshlrev_b64 v[35:36], 3, v[16:17]
	s_delay_alu instid0(VALU_DEP_3) | instskip(NEXT) | instid1(VALU_DEP_4)
	v_add_co_u32 v33, vcc_lo, s8, v29
	v_add_co_ci_u32_e32 v34, vcc_lo, s9, v30, vcc_lo
	v_add_nc_u32_e32 v16, -16, v15
	s_delay_alu instid0(VALU_DEP_4)
	v_add_co_u32 v37, vcc_lo, s10, v35
	v_add_co_ci_u32_e32 v38, vcc_lo, s11, v36, vcc_lo
	s_clause 0x1
	global_load_b128 v[29:32], v[33:34], off offset:16
	global_load_b128 v[33:36], v[33:34], off
	global_load_b64 v[79:80], v[37:38], off
	v_lshlrev_b64 v[37:38], 3, v[16:17]
	v_add_nc_u32_e32 v16, 2, v73
	s_delay_alu instid0(VALU_DEP_1) | instskip(NEXT) | instid1(VALU_DEP_3)
	v_lshlrev_b64 v[39:40], 3, v[16:17]
	v_add_co_u32 v41, vcc_lo, s8, v37
	s_delay_alu instid0(VALU_DEP_4) | instskip(SKIP_1) | instid1(VALU_DEP_4)
	v_add_co_ci_u32_e32 v42, vcc_lo, s9, v38, vcc_lo
	v_add_nc_u32_e32 v16, -12, v15
	v_add_co_u32 v45, vcc_lo, s10, v39
	v_add_co_ci_u32_e32 v46, vcc_lo, s11, v40, vcc_lo
	s_clause 0x1
	global_load_b128 v[37:40], v[41:42], off offset:16
	global_load_b128 v[41:44], v[41:42], off
	global_load_b64 v[81:82], v[45:46], off
	v_lshlrev_b64 v[45:46], 3, v[16:17]
	v_add_nc_u32_e32 v16, 3, v73
	s_delay_alu instid0(VALU_DEP_1) | instskip(NEXT) | instid1(VALU_DEP_3)
	v_lshlrev_b64 v[47:48], 3, v[16:17]
	v_add_co_u32 v49, vcc_lo, s8, v45
	s_delay_alu instid0(VALU_DEP_4) | instskip(SKIP_1) | instid1(VALU_DEP_4)
	v_add_co_ci_u32_e32 v50, vcc_lo, s9, v46, vcc_lo
	v_add_nc_u32_e32 v16, -8, v15
	;; [unrolled: 14-line block ×3, first 2 shown]
	v_add_co_u32 v61, vcc_lo, s10, v55
	v_add_co_ci_u32_e32 v62, vcc_lo, s11, v56, vcc_lo
	s_clause 0x1
	global_load_b128 v[53:56], v[57:58], off offset:16
	global_load_b128 v[57:60], v[57:58], off
	global_load_b64 v[85:86], v[61:62], off
	v_lshlrev_b64 v[61:62], 3, v[16:17]
	v_add_nc_u32_e32 v16, 5, v73
	s_delay_alu instid0(VALU_DEP_1) | instskip(NEXT) | instid1(VALU_DEP_3)
	v_lshlrev_b64 v[63:64], 3, v[16:17]
	v_add_co_u32 v65, vcc_lo, s8, v61
	s_delay_alu instid0(VALU_DEP_4) | instskip(SKIP_1) | instid1(VALU_DEP_4)
	v_add_co_ci_u32_e32 v66, vcc_lo, s9, v62, vcc_lo
	v_mov_b32_e32 v16, v17
	v_add_co_u32 v69, vcc_lo, s10, v63
	v_add_co_ci_u32_e32 v70, vcc_lo, s11, v64, vcc_lo
	s_clause 0x1
	global_load_b128 v[61:64], v[65:66], off offset:16
	global_load_b128 v[65:68], v[65:66], off
	global_load_b64 v[87:88], v[69:70], off
	v_lshlrev_b64 v[69:70], 3, v[15:16]
	v_add_nc_u32_e32 v15, 0x380, v15
	v_add_nc_u32_e32 v16, 6, v73
	s_delay_alu instid0(VALU_DEP_3) | instskip(NEXT) | instid1(VALU_DEP_2)
	v_add_co_u32 v74, vcc_lo, s8, v69
	v_lshlrev_b64 v[89:90], 3, v[16:17]
	v_add_co_ci_u32_e32 v75, vcc_lo, s9, v70, vcc_lo
	s_delay_alu instid0(VALU_DEP_2) | instskip(NEXT) | instid1(VALU_DEP_3)
	v_add_co_u32 v89, vcc_lo, s10, v89
	v_add_co_ci_u32_e32 v90, vcc_lo, s11, v90, vcc_lo
	s_clause 0x1
	global_load_b128 v[69:72], v[74:75], off offset:16
	global_load_b128 v[73:76], v[74:75], off
	global_load_b64 v[89:90], v[89:90], off
	v_cmp_ge_i32_e32 vcc_lo, v18, v20
	s_or_b32 s4, vcc_lo, s4
	s_waitcnt vmcnt(18)
	v_fma_f64 v[6:7], v[25:26], v[77:78], v[6:7]
	v_fma_f64 v[12:13], v[27:28], v[77:78], v[12:13]
	;; [unrolled: 1-line block ×4, first 2 shown]
	s_waitcnt vmcnt(15)
	s_delay_alu instid0(VALU_DEP_4) | instskip(NEXT) | instid1(VALU_DEP_4)
	v_fma_f64 v[6:7], v[33:34], v[79:80], v[6:7]
	v_fma_f64 v[12:13], v[35:36], v[79:80], v[12:13]
	s_delay_alu instid0(VALU_DEP_4) | instskip(NEXT) | instid1(VALU_DEP_4)
	v_fma_f64 v[10:11], v[29:30], v[79:80], v[10:11]
	v_fma_f64 v[8:9], v[31:32], v[79:80], v[8:9]
	s_waitcnt vmcnt(12)
	s_delay_alu instid0(VALU_DEP_4) | instskip(NEXT) | instid1(VALU_DEP_4)
	v_fma_f64 v[6:7], v[41:42], v[81:82], v[6:7]
	v_fma_f64 v[12:13], v[43:44], v[81:82], v[12:13]
	s_delay_alu instid0(VALU_DEP_4) | instskip(NEXT) | instid1(VALU_DEP_4)
	v_fma_f64 v[10:11], v[37:38], v[81:82], v[10:11]
	v_fma_f64 v[8:9], v[39:40], v[81:82], v[8:9]
	;; [unrolled: 7-line block ×6, first 2 shown]
	s_and_not1_b32 exec_lo, exec_lo, s4
	s_cbranch_execnz .LBB65_9
; %bb.10:
	s_or_b32 exec_lo, exec_lo, s4
.LBB65_11:
	s_delay_alu instid0(SALU_CYCLE_1)
	s_or_b32 exec_lo, exec_lo, s3
	s_cbranch_execz .LBB65_13
	s_branch .LBB65_18
.LBB65_12:
                                        ; implicit-def: $vgpr6_vgpr7
                                        ; implicit-def: $vgpr8_vgpr9
                                        ; implicit-def: $vgpr10_vgpr11
                                        ; implicit-def: $vgpr12_vgpr13
.LBB65_13:
	v_mov_b32_e32 v6, 0
	v_mov_b32_e32 v7, 0
	s_delay_alu instid0(VALU_DEP_1)
	v_dual_mov_b32 v9, v7 :: v_dual_mov_b32 v8, v6
	v_dual_mov_b32 v11, v7 :: v_dual_mov_b32 v10, v6
	;; [unrolled: 1-line block ×3, first 2 shown]
	s_and_saveexec_b32 s3, s2
	s_cbranch_execz .LBB65_17
; %bb.14:
	v_dual_mov_b32 v6, 0 :: v_dual_mov_b32 v19, 0
	v_mov_b32_e32 v7, 0
	v_mad_u64_u32 v[16:17], null, v14, 28, 27
	s_mov_b32 s2, 0
	s_delay_alu instid0(VALU_DEP_2)
	v_dual_mov_b32 v9, v7 :: v_dual_mov_b32 v8, v6
	v_dual_mov_b32 v11, v7 :: v_dual_mov_b32 v10, v6
	;; [unrolled: 1-line block ×3, first 2 shown]
.LBB65_15:                              ; =>This Inner Loop Header: Depth=1
	v_ashrrev_i32_e32 v15, 31, v14
	v_subrev_nc_u32_e32 v21, 20, v16
	v_dual_mov_b32 v22, v19 :: v_dual_add_nc_u32 v25, -6, v16
	v_dual_mov_b32 v30, v19 :: v_dual_add_nc_u32 v23, -13, v16
	s_delay_alu instid0(VALU_DEP_4) | instskip(SKIP_1) | instid1(VALU_DEP_4)
	v_lshlrev_b64 v[17:18], 2, v[14:15]
	v_mov_b32_e32 v24, v19
	v_lshlrev_b64 v[21:22], 3, v[21:22]
	v_mov_b32_e32 v26, v19
	v_add_nc_u32_e32 v14, 32, v14
	v_add_co_u32 v17, vcc_lo, s6, v17
	v_add_co_ci_u32_e32 v18, vcc_lo, s7, v18, vcc_lo
	v_lshlrev_b64 v[23:24], 3, v[23:24]
	v_lshlrev_b64 v[25:26], 3, v[25:26]
	global_load_b32 v15, v[17:18], off
	v_subrev_nc_u32_e32 v18, 27, v16
	s_delay_alu instid0(VALU_DEP_1) | instskip(NEXT) | instid1(VALU_DEP_1)
	v_lshlrev_b64 v[27:28], 3, v[18:19]
	v_add_co_u32 v27, vcc_lo, s8, v27
	s_delay_alu instid0(VALU_DEP_2)
	v_add_co_ci_u32_e32 v28, vcc_lo, s9, v28, vcc_lo
	v_add_co_u32 v31, vcc_lo, s8, v21
	v_add_co_ci_u32_e32 v32, vcc_lo, s9, v22, vcc_lo
	v_add_co_u32 v33, vcc_lo, s8, v23
	;; [unrolled: 2-line block ×3, first 2 shown]
	v_add_co_ci_u32_e32 v36, vcc_lo, s9, v26, vcc_lo
	s_clause 0x4
	global_load_b128 v[21:24], v[27:28], off offset:16
	global_load_b128 v[25:28], v[27:28], off
	global_load_b64 v[31:32], v[31:32], off
	global_load_b64 v[33:34], v[33:34], off
	;; [unrolled: 1-line block ×3, first 2 shown]
	s_waitcnt vmcnt(5)
	v_subrev_nc_u32_e32 v15, s12, v15
	s_delay_alu instid0(VALU_DEP_1) | instskip(SKIP_1) | instid1(VALU_DEP_1)
	v_mul_lo_u32 v29, v15, 7
	v_mov_b32_e32 v17, v19
	v_lshlrev_b64 v[17:18], 3, v[16:17]
	s_delay_alu instid0(VALU_DEP_1) | instskip(NEXT) | instid1(VALU_DEP_2)
	v_add_co_u32 v37, vcc_lo, s8, v17
	v_add_co_ci_u32_e32 v38, vcc_lo, s9, v18, vcc_lo
	v_lshlrev_b64 v[17:18], 3, v[29:30]
	s_delay_alu instid0(VALU_DEP_1) | instskip(NEXT) | instid1(VALU_DEP_2)
	v_add_co_u32 v17, vcc_lo, s10, v17
	v_add_co_ci_u32_e32 v18, vcc_lo, s11, v18, vcc_lo
	global_load_b64 v[39:40], v[17:18], off
	v_add_nc_u32_e32 v18, 1, v29
	s_delay_alu instid0(VALU_DEP_1) | instskip(SKIP_1) | instid1(VALU_DEP_1)
	v_lshlrev_b64 v[41:42], 3, v[18:19]
	v_subrev_nc_u32_e32 v18, 19, v16
	v_lshlrev_b64 v[43:44], 3, v[18:19]
	v_add_nc_u32_e32 v18, -12, v16
	s_delay_alu instid0(VALU_DEP_4) | instskip(SKIP_1) | instid1(VALU_DEP_3)
	v_add_co_u32 v41, vcc_lo, s10, v41
	v_add_co_ci_u32_e32 v42, vcc_lo, s11, v42, vcc_lo
	v_lshlrev_b64 v[45:46], 3, v[18:19]
	v_add_nc_u32_e32 v18, -5, v16
	v_add_co_u32 v43, vcc_lo, s8, v43
	v_add_co_ci_u32_e32 v44, vcc_lo, s9, v44, vcc_lo
	s_delay_alu instid0(VALU_DEP_3)
	v_lshlrev_b64 v[17:18], 3, v[18:19]
	v_add_co_u32 v45, vcc_lo, s8, v45
	v_add_co_ci_u32_e32 v46, vcc_lo, s9, v46, vcc_lo
	global_load_b64 v[41:42], v[41:42], off
	v_add_co_u32 v17, vcc_lo, s8, v17
	v_add_co_ci_u32_e32 v18, vcc_lo, s9, v18, vcc_lo
	s_clause 0x2
	global_load_b64 v[43:44], v[43:44], off
	global_load_b64 v[45:46], v[45:46], off
	global_load_b64 v[47:48], v[17:18], off
	v_add_nc_u32_e32 v18, 2, v29
	s_delay_alu instid0(VALU_DEP_1) | instskip(SKIP_1) | instid1(VALU_DEP_1)
	v_lshlrev_b64 v[49:50], 3, v[18:19]
	v_subrev_nc_u32_e32 v18, 18, v16
	v_lshlrev_b64 v[51:52], 3, v[18:19]
	v_add_nc_u32_e32 v18, -11, v16
	s_delay_alu instid0(VALU_DEP_4) | instskip(SKIP_1) | instid1(VALU_DEP_3)
	v_add_co_u32 v49, vcc_lo, s10, v49
	v_add_co_ci_u32_e32 v50, vcc_lo, s11, v50, vcc_lo
	v_lshlrev_b64 v[53:54], 3, v[18:19]
	v_add_nc_u32_e32 v18, -4, v16
	v_add_co_u32 v51, vcc_lo, s8, v51
	v_add_co_ci_u32_e32 v52, vcc_lo, s9, v52, vcc_lo
	s_delay_alu instid0(VALU_DEP_3)
	v_lshlrev_b64 v[17:18], 3, v[18:19]
	v_add_co_u32 v53, vcc_lo, s8, v53
	v_add_co_ci_u32_e32 v54, vcc_lo, s9, v54, vcc_lo
	global_load_b64 v[49:50], v[49:50], off
	v_add_co_u32 v55, vcc_lo, s8, v17
	v_add_co_ci_u32_e32 v56, vcc_lo, s9, v18, vcc_lo
	s_clause 0x2
	global_load_b64 v[51:52], v[51:52], off
	global_load_b64 v[53:54], v[53:54], off
	;; [unrolled: 24-line block ×3, first 2 shown]
	global_load_b64 v[63:64], v[63:64], off
	v_subrev_nc_u32_e32 v18, 23, v16
	s_delay_alu instid0(VALU_DEP_1) | instskip(SKIP_1) | instid1(VALU_DEP_1)
	v_lshlrev_b64 v[65:66], 3, v[18:19]
	v_add_nc_u32_e32 v18, 4, v29
	v_lshlrev_b64 v[67:68], 3, v[18:19]
	v_add_nc_u32_e32 v18, -16, v16
	s_delay_alu instid0(VALU_DEP_4) | instskip(SKIP_1) | instid1(VALU_DEP_3)
	v_add_co_u32 v65, vcc_lo, s8, v65
	v_add_co_ci_u32_e32 v66, vcc_lo, s9, v66, vcc_lo
	v_lshlrev_b64 v[69:70], 3, v[18:19]
	v_add_nc_u32_e32 v18, -9, v16
	v_add_co_u32 v67, vcc_lo, s10, v67
	v_add_co_ci_u32_e32 v68, vcc_lo, s11, v68, vcc_lo
	s_delay_alu instid0(VALU_DEP_3) | instskip(SKIP_3) | instid1(VALU_DEP_3)
	v_lshlrev_b64 v[71:72], 3, v[18:19]
	v_add_nc_u32_e32 v18, -2, v16
	v_add_co_u32 v69, vcc_lo, s8, v69
	v_add_co_ci_u32_e32 v70, vcc_lo, s9, v70, vcc_lo
	v_lshlrev_b64 v[17:18], 3, v[18:19]
	v_add_co_u32 v71, vcc_lo, s8, v71
	v_add_co_ci_u32_e32 v72, vcc_lo, s9, v72, vcc_lo
	global_load_b64 v[65:66], v[65:66], off
	v_add_co_u32 v73, vcc_lo, s8, v17
	v_add_co_ci_u32_e32 v74, vcc_lo, s9, v18, vcc_lo
	global_load_b64 v[67:68], v[67:68], off
	s_clause 0x2
	global_load_b64 v[69:70], v[69:70], off
	global_load_b64 v[71:72], v[71:72], off
	global_load_b64 v[73:74], v[73:74], off
	v_subrev_nc_u32_e32 v18, 22, v16
	s_delay_alu instid0(VALU_DEP_1) | instskip(SKIP_1) | instid1(VALU_DEP_1)
	v_lshlrev_b64 v[75:76], 3, v[18:19]
	v_add_nc_u32_e32 v18, 5, v29
	v_lshlrev_b64 v[77:78], 3, v[18:19]
	v_add_nc_u32_e32 v18, -15, v16
	s_delay_alu instid0(VALU_DEP_4) | instskip(SKIP_1) | instid1(VALU_DEP_3)
	v_add_co_u32 v75, vcc_lo, s8, v75
	v_add_co_ci_u32_e32 v76, vcc_lo, s9, v76, vcc_lo
	v_lshlrev_b64 v[79:80], 3, v[18:19]
	v_add_nc_u32_e32 v18, -8, v16
	v_add_co_u32 v77, vcc_lo, s10, v77
	v_add_co_ci_u32_e32 v78, vcc_lo, s11, v78, vcc_lo
	s_delay_alu instid0(VALU_DEP_3) | instskip(SKIP_3) | instid1(VALU_DEP_3)
	v_lshlrev_b64 v[81:82], 3, v[18:19]
	v_add_nc_u32_e32 v18, -1, v16
	v_add_co_u32 v79, vcc_lo, s8, v79
	v_add_co_ci_u32_e32 v80, vcc_lo, s9, v80, vcc_lo
	v_lshlrev_b64 v[17:18], 3, v[18:19]
	v_add_co_u32 v81, vcc_lo, s8, v81
	v_add_co_ci_u32_e32 v82, vcc_lo, s9, v82, vcc_lo
	s_delay_alu instid0(VALU_DEP_3) | instskip(NEXT) | instid1(VALU_DEP_4)
	v_add_co_u32 v17, vcc_lo, s8, v17
	v_add_co_ci_u32_e32 v18, vcc_lo, s9, v18, vcc_lo
	global_load_b64 v[75:76], v[75:76], off
	global_load_b64 v[77:78], v[77:78], off
	s_clause 0x2
	global_load_b64 v[79:80], v[79:80], off
	global_load_b64 v[81:82], v[81:82], off
	;; [unrolled: 1-line block ×3, first 2 shown]
	v_subrev_nc_u32_e32 v18, 21, v16
	s_delay_alu instid0(VALU_DEP_1) | instskip(SKIP_1) | instid1(VALU_DEP_1)
	v_lshlrev_b64 v[85:86], 3, v[18:19]
	v_add_nc_u32_e32 v18, 6, v29
	v_lshlrev_b64 v[29:30], 3, v[18:19]
	v_add_nc_u32_e32 v18, -14, v16
	s_delay_alu instid0(VALU_DEP_4) | instskip(SKIP_1) | instid1(VALU_DEP_3)
	v_add_co_u32 v85, vcc_lo, s8, v85
	v_add_co_ci_u32_e32 v86, vcc_lo, s9, v86, vcc_lo
	v_lshlrev_b64 v[87:88], 3, v[18:19]
	v_add_nc_u32_e32 v18, -7, v16
	v_add_co_u32 v29, vcc_lo, s10, v29
	v_add_co_ci_u32_e32 v30, vcc_lo, s11, v30, vcc_lo
	s_delay_alu instid0(VALU_DEP_3) | instskip(SKIP_3) | instid1(VALU_DEP_4)
	v_lshlrev_b64 v[17:18], 3, v[18:19]
	v_add_co_u32 v87, vcc_lo, s8, v87
	v_add_co_ci_u32_e32 v88, vcc_lo, s9, v88, vcc_lo
	v_add_nc_u32_e32 v16, 0x380, v16
	v_add_co_u32 v17, vcc_lo, s8, v17
	v_add_co_ci_u32_e32 v18, vcc_lo, s9, v18, vcc_lo
	global_load_b64 v[85:86], v[85:86], off
	global_load_b64 v[29:30], v[29:30], off
	s_clause 0x2
	global_load_b64 v[87:88], v[87:88], off
	global_load_b64 v[17:18], v[17:18], off
	;; [unrolled: 1-line block ×3, first 2 shown]
	v_cmp_ge_i32_e32 vcc_lo, v14, v20
	s_or_b32 s2, vcc_lo, s2
	s_waitcnt vmcnt(27)
	v_fma_f64 v[6:7], v[25:26], v[39:40], v[6:7]
	v_fma_f64 v[12:13], v[31:32], v[39:40], v[12:13]
	;; [unrolled: 1-line block ×4, first 2 shown]
	s_waitcnt vmcnt(26)
	s_delay_alu instid0(VALU_DEP_4) | instskip(SKIP_1) | instid1(VALU_DEP_4)
	v_fma_f64 v[6:7], v[27:28], v[41:42], v[6:7]
	s_waitcnt vmcnt(25)
	v_fma_f64 v[12:13], v[43:44], v[41:42], v[12:13]
	s_waitcnt vmcnt(24)
	s_delay_alu instid0(VALU_DEP_4) | instskip(SKIP_1) | instid1(VALU_DEP_4)
	v_fma_f64 v[10:11], v[45:46], v[41:42], v[10:11]
	s_waitcnt vmcnt(23)
	v_fma_f64 v[8:9], v[47:48], v[41:42], v[8:9]
	;; [unrolled: 5-line block ×12, first 2 shown]
	s_and_not1_b32 exec_lo, exec_lo, s2
	s_cbranch_execnz .LBB65_15
; %bb.16:
	s_or_b32 exec_lo, exec_lo, s2
.LBB65_17:
	s_delay_alu instid0(SALU_CYCLE_1)
	s_or_b32 exec_lo, exec_lo, s3
.LBB65_18:
	v_mbcnt_lo_u32_b32 v24, -1, 0
	s_delay_alu instid0(VALU_DEP_1) | instskip(NEXT) | instid1(VALU_DEP_1)
	v_xor_b32_e32 v14, 16, v24
	v_cmp_gt_i32_e32 vcc_lo, 32, v14
	v_cndmask_b32_e32 v14, v24, v14, vcc_lo
	s_delay_alu instid0(VALU_DEP_1)
	v_lshlrev_b32_e32 v21, 2, v14
	ds_bpermute_b32 v14, v21, v6
	ds_bpermute_b32 v15, v21, v7
	;; [unrolled: 1-line block ×8, first 2 shown]
	s_waitcnt lgkmcnt(6)
	v_add_f64 v[6:7], v[6:7], v[14:15]
	v_xor_b32_e32 v14, 8, v24
	s_waitcnt lgkmcnt(4)
	v_add_f64 v[12:13], v[12:13], v[16:17]
	s_waitcnt lgkmcnt(2)
	v_add_f64 v[10:11], v[10:11], v[18:19]
	;; [unrolled: 2-line block ×3, first 2 shown]
	v_cmp_gt_i32_e32 vcc_lo, 32, v14
	v_cndmask_b32_e32 v14, v24, v14, vcc_lo
	s_delay_alu instid0(VALU_DEP_1)
	v_lshlrev_b32_e32 v21, 2, v14
	ds_bpermute_b32 v14, v21, v6
	ds_bpermute_b32 v15, v21, v7
	;; [unrolled: 1-line block ×8, first 2 shown]
	s_waitcnt lgkmcnt(6)
	v_add_f64 v[6:7], v[6:7], v[14:15]
	v_xor_b32_e32 v14, 4, v24
	s_waitcnt lgkmcnt(4)
	v_add_f64 v[12:13], v[12:13], v[16:17]
	s_waitcnt lgkmcnt(2)
	v_add_f64 v[10:11], v[10:11], v[18:19]
	;; [unrolled: 2-line block ×3, first 2 shown]
	v_cmp_gt_i32_e32 vcc_lo, 32, v14
	v_cndmask_b32_e32 v14, v24, v14, vcc_lo
	s_delay_alu instid0(VALU_DEP_1)
	v_lshlrev_b32_e32 v21, 2, v14
	ds_bpermute_b32 v14, v21, v6
	ds_bpermute_b32 v15, v21, v7
	;; [unrolled: 1-line block ×8, first 2 shown]
	s_waitcnt lgkmcnt(6)
	v_add_f64 v[6:7], v[6:7], v[14:15]
	s_waitcnt lgkmcnt(4)
	v_add_f64 v[12:13], v[12:13], v[16:17]
	s_waitcnt lgkmcnt(2)
	v_add_f64 v[14:15], v[10:11], v[18:19]
	s_waitcnt lgkmcnt(0)
	v_add_f64 v[16:17], v[8:9], v[20:21]
	v_xor_b32_e32 v8, 2, v24
	s_delay_alu instid0(VALU_DEP_1) | instskip(SKIP_1) | instid1(VALU_DEP_1)
	v_cmp_gt_i32_e32 vcc_lo, 32, v8
	v_cndmask_b32_e32 v8, v24, v8, vcc_lo
	v_lshlrev_b32_e32 v10, 2, v8
	ds_bpermute_b32 v8, v10, v6
	ds_bpermute_b32 v9, v10, v7
	ds_bpermute_b32 v18, v10, v12
	ds_bpermute_b32 v19, v10, v13
	ds_bpermute_b32 v20, v10, v14
	ds_bpermute_b32 v21, v10, v15
	ds_bpermute_b32 v22, v10, v16
	ds_bpermute_b32 v23, v10, v17
	s_waitcnt lgkmcnt(6)
	v_add_f64 v[10:11], v[6:7], v[8:9]
	s_waitcnt lgkmcnt(4)
	v_add_f64 v[8:9], v[12:13], v[18:19]
	v_xor_b32_e32 v12, 1, v24
	s_waitcnt lgkmcnt(2)
	v_add_f64 v[6:7], v[14:15], v[20:21]
	s_waitcnt lgkmcnt(0)
	v_add_f64 v[14:15], v[16:17], v[22:23]
	v_cmp_gt_i32_e32 vcc_lo, 32, v12
	v_cndmask_b32_e32 v12, v24, v12, vcc_lo
	v_cmp_eq_u32_e32 vcc_lo, 31, v0
	s_delay_alu instid0(VALU_DEP_2)
	v_lshlrev_b32_e32 v17, 2, v12
	ds_bpermute_b32 v12, v17, v10
	ds_bpermute_b32 v13, v17, v11
	;; [unrolled: 1-line block ×8, first 2 shown]
	s_and_b32 exec_lo, exec_lo, vcc_lo
	s_cbranch_execz .LBB65_23
; %bb.19:
	s_waitcnt lgkmcnt(6)
	v_add_f64 v[12:13], v[10:11], v[12:13]
	s_waitcnt lgkmcnt(4)
	v_add_f64 v[10:11], v[8:9], v[20:21]
	;; [unrolled: 2-line block ×4, first 2 shown]
	s_load_b64 s[0:1], s[0:1], 0x38
	s_mov_b32 s2, exec_lo
	v_cmpx_eq_f64_e32 0, v[3:4]
	s_xor_b32 s2, exec_lo, s2
	s_cbranch_execz .LBB65_21
; %bb.20:
	v_mul_f64 v[12:13], v[1:2], v[12:13]
	v_mul_f64 v[14:15], v[1:2], v[10:11]
	;; [unrolled: 1-line block ×4, first 2 shown]
	v_lshlrev_b32_e32 v0, 2, v5
                                        ; implicit-def: $vgpr5
                                        ; implicit-def: $vgpr3_vgpr4
                                        ; implicit-def: $vgpr6_vgpr7
	s_delay_alu instid0(VALU_DEP_1) | instskip(NEXT) | instid1(VALU_DEP_1)
	v_ashrrev_i32_e32 v1, 31, v0
	v_lshlrev_b64 v[0:1], 3, v[0:1]
	s_waitcnt lgkmcnt(0)
	s_delay_alu instid0(VALU_DEP_1) | instskip(NEXT) | instid1(VALU_DEP_2)
	v_add_co_u32 v0, vcc_lo, s0, v0
	v_add_co_ci_u32_e32 v1, vcc_lo, s1, v1, vcc_lo
	s_clause 0x1
	global_store_b128 v[0:1], v[12:15], off
	global_store_b128 v[0:1], v[8:11], off offset:16
                                        ; implicit-def: $vgpr1_vgpr2
                                        ; implicit-def: $vgpr12_vgpr13
                                        ; implicit-def: $vgpr10_vgpr11
                                        ; implicit-def: $vgpr8_vgpr9
.LBB65_21:
	s_and_not1_saveexec_b32 s2, s2
	s_cbranch_execz .LBB65_23
; %bb.22:
	v_lshlrev_b32_e32 v14, 2, v5
	v_mul_f64 v[12:13], v[1:2], v[12:13]
	v_mul_f64 v[10:11], v[1:2], v[10:11]
	;; [unrolled: 1-line block ×4, first 2 shown]
	v_ashrrev_i32_e32 v15, 31, v14
	s_delay_alu instid0(VALU_DEP_1) | instskip(SKIP_1) | instid1(VALU_DEP_1)
	v_lshlrev_b64 v[14:15], 3, v[14:15]
	s_waitcnt lgkmcnt(0)
	v_add_co_u32 v22, vcc_lo, s0, v14
	s_delay_alu instid0(VALU_DEP_2)
	v_add_co_ci_u32_e32 v23, vcc_lo, s1, v15, vcc_lo
	s_clause 0x1
	global_load_b128 v[14:17], v[22:23], off
	global_load_b128 v[18:21], v[22:23], off offset:16
	s_waitcnt vmcnt(1)
	v_fma_f64 v[5:6], v[3:4], v[14:15], v[12:13]
	v_fma_f64 v[7:8], v[3:4], v[16:17], v[10:11]
	s_waitcnt vmcnt(0)
	v_fma_f64 v[0:1], v[3:4], v[18:19], v[24:25]
	v_fma_f64 v[2:3], v[3:4], v[20:21], v[26:27]
	s_clause 0x1
	global_store_b128 v[22:23], v[5:8], off
	global_store_b128 v[22:23], v[0:3], off offset:16
.LBB65_23:
	s_nop 0
	s_sendmsg sendmsg(MSG_DEALLOC_VGPRS)
	s_endpgm
	.section	.rodata,"a",@progbits
	.p2align	6, 0x0
	.amdhsa_kernel _ZN9rocsparseL19gebsrmvn_4xn_kernelILj128ELj7ELj32EdEEvi20rocsparse_direction_NS_24const_host_device_scalarIT2_EEPKiS6_PKS3_S8_S4_PS3_21rocsparse_index_base_b
		.amdhsa_group_segment_fixed_size 0
		.amdhsa_private_segment_fixed_size 0
		.amdhsa_kernarg_size 72
		.amdhsa_user_sgpr_count 15
		.amdhsa_user_sgpr_dispatch_ptr 0
		.amdhsa_user_sgpr_queue_ptr 0
		.amdhsa_user_sgpr_kernarg_segment_ptr 1
		.amdhsa_user_sgpr_dispatch_id 0
		.amdhsa_user_sgpr_private_segment_size 0
		.amdhsa_wavefront_size32 1
		.amdhsa_uses_dynamic_stack 0
		.amdhsa_enable_private_segment 0
		.amdhsa_system_sgpr_workgroup_id_x 1
		.amdhsa_system_sgpr_workgroup_id_y 0
		.amdhsa_system_sgpr_workgroup_id_z 0
		.amdhsa_system_sgpr_workgroup_info 0
		.amdhsa_system_vgpr_workitem_id 0
		.amdhsa_next_free_vgpr 91
		.amdhsa_next_free_sgpr 16
		.amdhsa_reserve_vcc 1
		.amdhsa_float_round_mode_32 0
		.amdhsa_float_round_mode_16_64 0
		.amdhsa_float_denorm_mode_32 3
		.amdhsa_float_denorm_mode_16_64 3
		.amdhsa_dx10_clamp 1
		.amdhsa_ieee_mode 1
		.amdhsa_fp16_overflow 0
		.amdhsa_workgroup_processor_mode 1
		.amdhsa_memory_ordered 1
		.amdhsa_forward_progress 0
		.amdhsa_shared_vgpr_count 0
		.amdhsa_exception_fp_ieee_invalid_op 0
		.amdhsa_exception_fp_denorm_src 0
		.amdhsa_exception_fp_ieee_div_zero 0
		.amdhsa_exception_fp_ieee_overflow 0
		.amdhsa_exception_fp_ieee_underflow 0
		.amdhsa_exception_fp_ieee_inexact 0
		.amdhsa_exception_int_div_zero 0
	.end_amdhsa_kernel
	.section	.text._ZN9rocsparseL19gebsrmvn_4xn_kernelILj128ELj7ELj32EdEEvi20rocsparse_direction_NS_24const_host_device_scalarIT2_EEPKiS6_PKS3_S8_S4_PS3_21rocsparse_index_base_b,"axG",@progbits,_ZN9rocsparseL19gebsrmvn_4xn_kernelILj128ELj7ELj32EdEEvi20rocsparse_direction_NS_24const_host_device_scalarIT2_EEPKiS6_PKS3_S8_S4_PS3_21rocsparse_index_base_b,comdat
.Lfunc_end65:
	.size	_ZN9rocsparseL19gebsrmvn_4xn_kernelILj128ELj7ELj32EdEEvi20rocsparse_direction_NS_24const_host_device_scalarIT2_EEPKiS6_PKS3_S8_S4_PS3_21rocsparse_index_base_b, .Lfunc_end65-_ZN9rocsparseL19gebsrmvn_4xn_kernelILj128ELj7ELj32EdEEvi20rocsparse_direction_NS_24const_host_device_scalarIT2_EEPKiS6_PKS3_S8_S4_PS3_21rocsparse_index_base_b
                                        ; -- End function
	.section	.AMDGPU.csdata,"",@progbits
; Kernel info:
; codeLenInByte = 4068
; NumSgprs: 18
; NumVgprs: 91
; ScratchSize: 0
; MemoryBound: 1
; FloatMode: 240
; IeeeMode: 1
; LDSByteSize: 0 bytes/workgroup (compile time only)
; SGPRBlocks: 2
; VGPRBlocks: 11
; NumSGPRsForWavesPerEU: 18
; NumVGPRsForWavesPerEU: 91
; Occupancy: 16
; WaveLimiterHint : 1
; COMPUTE_PGM_RSRC2:SCRATCH_EN: 0
; COMPUTE_PGM_RSRC2:USER_SGPR: 15
; COMPUTE_PGM_RSRC2:TRAP_HANDLER: 0
; COMPUTE_PGM_RSRC2:TGID_X_EN: 1
; COMPUTE_PGM_RSRC2:TGID_Y_EN: 0
; COMPUTE_PGM_RSRC2:TGID_Z_EN: 0
; COMPUTE_PGM_RSRC2:TIDIG_COMP_CNT: 0
	.section	.text._ZN9rocsparseL19gebsrmvn_4xn_kernelILj128ELj7ELj64EdEEvi20rocsparse_direction_NS_24const_host_device_scalarIT2_EEPKiS6_PKS3_S8_S4_PS3_21rocsparse_index_base_b,"axG",@progbits,_ZN9rocsparseL19gebsrmvn_4xn_kernelILj128ELj7ELj64EdEEvi20rocsparse_direction_NS_24const_host_device_scalarIT2_EEPKiS6_PKS3_S8_S4_PS3_21rocsparse_index_base_b,comdat
	.globl	_ZN9rocsparseL19gebsrmvn_4xn_kernelILj128ELj7ELj64EdEEvi20rocsparse_direction_NS_24const_host_device_scalarIT2_EEPKiS6_PKS3_S8_S4_PS3_21rocsparse_index_base_b ; -- Begin function _ZN9rocsparseL19gebsrmvn_4xn_kernelILj128ELj7ELj64EdEEvi20rocsparse_direction_NS_24const_host_device_scalarIT2_EEPKiS6_PKS3_S8_S4_PS3_21rocsparse_index_base_b
	.p2align	8
	.type	_ZN9rocsparseL19gebsrmvn_4xn_kernelILj128ELj7ELj64EdEEvi20rocsparse_direction_NS_24const_host_device_scalarIT2_EEPKiS6_PKS3_S8_S4_PS3_21rocsparse_index_base_b,@function
_ZN9rocsparseL19gebsrmvn_4xn_kernelILj128ELj7ELj64EdEEvi20rocsparse_direction_NS_24const_host_device_scalarIT2_EEPKiS6_PKS3_S8_S4_PS3_21rocsparse_index_base_b: ; @_ZN9rocsparseL19gebsrmvn_4xn_kernelILj128ELj7ELj64EdEEvi20rocsparse_direction_NS_24const_host_device_scalarIT2_EEPKiS6_PKS3_S8_S4_PS3_21rocsparse_index_base_b
; %bb.0:
	s_clause 0x2
	s_load_b64 s[12:13], s[0:1], 0x40
	s_load_b64 s[4:5], s[0:1], 0x8
	;; [unrolled: 1-line block ×3, first 2 shown]
	s_waitcnt lgkmcnt(0)
	s_bitcmp1_b32 s13, 0
	v_dual_mov_b32 v1, s4 :: v_dual_mov_b32 v2, s5
	s_cselect_b32 s6, -1, 0
	s_delay_alu instid0(SALU_CYCLE_1)
	s_and_b32 vcc_lo, exec_lo, s6
	s_xor_b32 s6, s6, -1
	s_cbranch_vccnz .LBB66_2
; %bb.1:
	v_dual_mov_b32 v1, s4 :: v_dual_mov_b32 v2, s5
	flat_load_b64 v[1:2], v[1:2]
.LBB66_2:
	v_dual_mov_b32 v4, s3 :: v_dual_mov_b32 v3, s2
	s_and_not1_b32 vcc_lo, exec_lo, s6
	s_cbranch_vccnz .LBB66_4
; %bb.3:
	v_dual_mov_b32 v4, s3 :: v_dual_mov_b32 v3, s2
	flat_load_b64 v[3:4], v[3:4]
.LBB66_4:
	s_waitcnt vmcnt(0) lgkmcnt(0)
	v_cmp_neq_f64_e32 vcc_lo, 0, v[1:2]
	v_cmp_neq_f64_e64 s2, 1.0, v[3:4]
	s_delay_alu instid0(VALU_DEP_1) | instskip(NEXT) | instid1(SALU_CYCLE_1)
	s_or_b32 s2, vcc_lo, s2
	s_and_saveexec_b32 s3, s2
	s_cbranch_execz .LBB66_23
; %bb.5:
	s_load_b64 s[2:3], s[0:1], 0x0
	v_lshrrev_b32_e32 v5, 6, v0
	s_delay_alu instid0(VALU_DEP_1) | instskip(SKIP_1) | instid1(VALU_DEP_1)
	v_lshl_or_b32 v5, s15, 1, v5
	s_waitcnt lgkmcnt(0)
	v_cmp_gt_i32_e32 vcc_lo, s2, v5
	s_and_b32 exec_lo, exec_lo, vcc_lo
	s_cbranch_execz .LBB66_23
; %bb.6:
	s_load_b256 s[4:11], s[0:1], 0x10
	v_ashrrev_i32_e32 v6, 31, v5
	v_and_b32_e32 v0, 63, v0
	s_cmp_lg_u32 s3, 0
	s_delay_alu instid0(VALU_DEP_2) | instskip(SKIP_1) | instid1(VALU_DEP_1)
	v_lshlrev_b64 v[6:7], 2, v[5:6]
	s_waitcnt lgkmcnt(0)
	v_add_co_u32 v6, vcc_lo, s4, v6
	s_delay_alu instid0(VALU_DEP_2) | instskip(SKIP_4) | instid1(VALU_DEP_2)
	v_add_co_ci_u32_e32 v7, vcc_lo, s5, v7, vcc_lo
	global_load_b64 v[6:7], v[6:7], off
	s_waitcnt vmcnt(0)
	v_subrev_nc_u32_e32 v6, s12, v6
	v_subrev_nc_u32_e32 v20, s12, v7
	v_add_nc_u32_e32 v14, v6, v0
	s_delay_alu instid0(VALU_DEP_1)
	v_cmp_lt_i32_e64 s2, v14, v20
	s_cbranch_scc0 .LBB66_12
; %bb.7:
	v_mov_b32_e32 v6, 0
	v_mov_b32_e32 v7, 0
	s_delay_alu instid0(VALU_DEP_1)
	v_dual_mov_b32 v9, v7 :: v_dual_mov_b32 v8, v6
	v_dual_mov_b32 v11, v7 :: v_dual_mov_b32 v10, v6
	;; [unrolled: 1-line block ×3, first 2 shown]
	s_and_saveexec_b32 s3, s2
	s_cbranch_execz .LBB66_11
; %bb.8:
	v_dual_mov_b32 v6, 0 :: v_dual_mov_b32 v17, 0
	v_dual_mov_b32 v7, 0 :: v_dual_mov_b32 v18, v14
	v_mad_u64_u32 v[15:16], null, v14, 28, 24
	s_mov_b32 s4, 0
	s_delay_alu instid0(VALU_DEP_2)
	v_dual_mov_b32 v9, v7 :: v_dual_mov_b32 v8, v6
	v_dual_mov_b32 v11, v7 :: v_dual_mov_b32 v10, v6
	;; [unrolled: 1-line block ×3, first 2 shown]
.LBB66_9:                               ; =>This Inner Loop Header: Depth=1
	v_ashrrev_i32_e32 v19, 31, v18
	v_subrev_nc_u32_e32 v16, 24, v15
	v_mov_b32_e32 v74, v17
	s_delay_alu instid0(VALU_DEP_3) | instskip(SKIP_1) | instid1(VALU_DEP_2)
	v_lshlrev_b64 v[21:22], 2, v[18:19]
	v_add_nc_u32_e32 v18, 64, v18
	v_add_co_u32 v21, vcc_lo, s6, v21
	s_delay_alu instid0(VALU_DEP_3) | instskip(SKIP_2) | instid1(VALU_DEP_1)
	v_add_co_ci_u32_e32 v22, vcc_lo, s7, v22, vcc_lo
	global_load_b32 v19, v[21:22], off
	v_lshlrev_b64 v[21:22], 3, v[16:17]
	v_add_co_u32 v25, vcc_lo, s8, v21
	s_delay_alu instid0(VALU_DEP_2) | instskip(SKIP_3) | instid1(VALU_DEP_1)
	v_add_co_ci_u32_e32 v26, vcc_lo, s9, v22, vcc_lo
	global_load_b128 v[21:24], v[25:26], off offset:16
	s_waitcnt vmcnt(1)
	v_subrev_nc_u32_e32 v16, s12, v19
	v_mul_lo_u32 v73, v16, 7
	v_subrev_nc_u32_e32 v16, 20, v15
	s_delay_alu instid0(VALU_DEP_2) | instskip(NEXT) | instid1(VALU_DEP_1)
	v_lshlrev_b64 v[27:28], 3, v[73:74]
	v_add_co_u32 v29, vcc_lo, s10, v27
	s_delay_alu instid0(VALU_DEP_2) | instskip(SKIP_4) | instid1(VALU_DEP_1)
	v_add_co_ci_u32_e32 v30, vcc_lo, s11, v28, vcc_lo
	global_load_b128 v[25:28], v[25:26], off
	global_load_b64 v[77:78], v[29:30], off
	v_lshlrev_b64 v[29:30], 3, v[16:17]
	v_add_nc_u32_e32 v16, 1, v73
	v_lshlrev_b64 v[35:36], 3, v[16:17]
	s_delay_alu instid0(VALU_DEP_3) | instskip(NEXT) | instid1(VALU_DEP_4)
	v_add_co_u32 v33, vcc_lo, s8, v29
	v_add_co_ci_u32_e32 v34, vcc_lo, s9, v30, vcc_lo
	v_add_nc_u32_e32 v16, -16, v15
	s_delay_alu instid0(VALU_DEP_4)
	v_add_co_u32 v37, vcc_lo, s10, v35
	v_add_co_ci_u32_e32 v38, vcc_lo, s11, v36, vcc_lo
	s_clause 0x1
	global_load_b128 v[29:32], v[33:34], off offset:16
	global_load_b128 v[33:36], v[33:34], off
	global_load_b64 v[79:80], v[37:38], off
	v_lshlrev_b64 v[37:38], 3, v[16:17]
	v_add_nc_u32_e32 v16, 2, v73
	s_delay_alu instid0(VALU_DEP_1) | instskip(NEXT) | instid1(VALU_DEP_3)
	v_lshlrev_b64 v[39:40], 3, v[16:17]
	v_add_co_u32 v41, vcc_lo, s8, v37
	s_delay_alu instid0(VALU_DEP_4) | instskip(SKIP_1) | instid1(VALU_DEP_4)
	v_add_co_ci_u32_e32 v42, vcc_lo, s9, v38, vcc_lo
	v_add_nc_u32_e32 v16, -12, v15
	v_add_co_u32 v45, vcc_lo, s10, v39
	v_add_co_ci_u32_e32 v46, vcc_lo, s11, v40, vcc_lo
	s_clause 0x1
	global_load_b128 v[37:40], v[41:42], off offset:16
	global_load_b128 v[41:44], v[41:42], off
	global_load_b64 v[81:82], v[45:46], off
	v_lshlrev_b64 v[45:46], 3, v[16:17]
	v_add_nc_u32_e32 v16, 3, v73
	s_delay_alu instid0(VALU_DEP_1) | instskip(NEXT) | instid1(VALU_DEP_3)
	v_lshlrev_b64 v[47:48], 3, v[16:17]
	v_add_co_u32 v49, vcc_lo, s8, v45
	s_delay_alu instid0(VALU_DEP_4) | instskip(SKIP_1) | instid1(VALU_DEP_4)
	v_add_co_ci_u32_e32 v50, vcc_lo, s9, v46, vcc_lo
	v_add_nc_u32_e32 v16, -8, v15
	;; [unrolled: 14-line block ×3, first 2 shown]
	v_add_co_u32 v61, vcc_lo, s10, v55
	v_add_co_ci_u32_e32 v62, vcc_lo, s11, v56, vcc_lo
	s_clause 0x1
	global_load_b128 v[53:56], v[57:58], off offset:16
	global_load_b128 v[57:60], v[57:58], off
	global_load_b64 v[85:86], v[61:62], off
	v_lshlrev_b64 v[61:62], 3, v[16:17]
	v_add_nc_u32_e32 v16, 5, v73
	s_delay_alu instid0(VALU_DEP_1) | instskip(NEXT) | instid1(VALU_DEP_3)
	v_lshlrev_b64 v[63:64], 3, v[16:17]
	v_add_co_u32 v65, vcc_lo, s8, v61
	s_delay_alu instid0(VALU_DEP_4) | instskip(SKIP_1) | instid1(VALU_DEP_4)
	v_add_co_ci_u32_e32 v66, vcc_lo, s9, v62, vcc_lo
	v_mov_b32_e32 v16, v17
	v_add_co_u32 v69, vcc_lo, s10, v63
	v_add_co_ci_u32_e32 v70, vcc_lo, s11, v64, vcc_lo
	s_clause 0x1
	global_load_b128 v[61:64], v[65:66], off offset:16
	global_load_b128 v[65:68], v[65:66], off
	global_load_b64 v[87:88], v[69:70], off
	v_lshlrev_b64 v[69:70], 3, v[15:16]
	v_add_nc_u32_e32 v15, 0x700, v15
	v_add_nc_u32_e32 v16, 6, v73
	s_delay_alu instid0(VALU_DEP_3) | instskip(NEXT) | instid1(VALU_DEP_2)
	v_add_co_u32 v74, vcc_lo, s8, v69
	v_lshlrev_b64 v[89:90], 3, v[16:17]
	v_add_co_ci_u32_e32 v75, vcc_lo, s9, v70, vcc_lo
	s_delay_alu instid0(VALU_DEP_2) | instskip(NEXT) | instid1(VALU_DEP_3)
	v_add_co_u32 v89, vcc_lo, s10, v89
	v_add_co_ci_u32_e32 v90, vcc_lo, s11, v90, vcc_lo
	s_clause 0x1
	global_load_b128 v[69:72], v[74:75], off offset:16
	global_load_b128 v[73:76], v[74:75], off
	global_load_b64 v[89:90], v[89:90], off
	v_cmp_ge_i32_e32 vcc_lo, v18, v20
	s_or_b32 s4, vcc_lo, s4
	s_waitcnt vmcnt(18)
	v_fma_f64 v[6:7], v[25:26], v[77:78], v[6:7]
	v_fma_f64 v[12:13], v[27:28], v[77:78], v[12:13]
	;; [unrolled: 1-line block ×4, first 2 shown]
	s_waitcnt vmcnt(15)
	s_delay_alu instid0(VALU_DEP_4) | instskip(NEXT) | instid1(VALU_DEP_4)
	v_fma_f64 v[6:7], v[33:34], v[79:80], v[6:7]
	v_fma_f64 v[12:13], v[35:36], v[79:80], v[12:13]
	s_delay_alu instid0(VALU_DEP_4) | instskip(NEXT) | instid1(VALU_DEP_4)
	v_fma_f64 v[10:11], v[29:30], v[79:80], v[10:11]
	v_fma_f64 v[8:9], v[31:32], v[79:80], v[8:9]
	s_waitcnt vmcnt(12)
	s_delay_alu instid0(VALU_DEP_4) | instskip(NEXT) | instid1(VALU_DEP_4)
	v_fma_f64 v[6:7], v[41:42], v[81:82], v[6:7]
	v_fma_f64 v[12:13], v[43:44], v[81:82], v[12:13]
	s_delay_alu instid0(VALU_DEP_4) | instskip(NEXT) | instid1(VALU_DEP_4)
	v_fma_f64 v[10:11], v[37:38], v[81:82], v[10:11]
	v_fma_f64 v[8:9], v[39:40], v[81:82], v[8:9]
	;; [unrolled: 7-line block ×6, first 2 shown]
	s_and_not1_b32 exec_lo, exec_lo, s4
	s_cbranch_execnz .LBB66_9
; %bb.10:
	s_or_b32 exec_lo, exec_lo, s4
.LBB66_11:
	s_delay_alu instid0(SALU_CYCLE_1)
	s_or_b32 exec_lo, exec_lo, s3
	s_cbranch_execz .LBB66_13
	s_branch .LBB66_18
.LBB66_12:
                                        ; implicit-def: $vgpr6_vgpr7
                                        ; implicit-def: $vgpr8_vgpr9
                                        ; implicit-def: $vgpr10_vgpr11
                                        ; implicit-def: $vgpr12_vgpr13
.LBB66_13:
	v_mov_b32_e32 v6, 0
	v_mov_b32_e32 v7, 0
	s_delay_alu instid0(VALU_DEP_1)
	v_dual_mov_b32 v9, v7 :: v_dual_mov_b32 v8, v6
	v_dual_mov_b32 v11, v7 :: v_dual_mov_b32 v10, v6
	;; [unrolled: 1-line block ×3, first 2 shown]
	s_and_saveexec_b32 s3, s2
	s_cbranch_execz .LBB66_17
; %bb.14:
	v_dual_mov_b32 v6, 0 :: v_dual_mov_b32 v19, 0
	v_mov_b32_e32 v7, 0
	v_mad_u64_u32 v[16:17], null, v14, 28, 27
	s_mov_b32 s2, 0
	s_delay_alu instid0(VALU_DEP_2)
	v_dual_mov_b32 v9, v7 :: v_dual_mov_b32 v8, v6
	v_dual_mov_b32 v11, v7 :: v_dual_mov_b32 v10, v6
	;; [unrolled: 1-line block ×3, first 2 shown]
.LBB66_15:                              ; =>This Inner Loop Header: Depth=1
	v_ashrrev_i32_e32 v15, 31, v14
	v_subrev_nc_u32_e32 v21, 20, v16
	v_dual_mov_b32 v22, v19 :: v_dual_add_nc_u32 v25, -6, v16
	v_dual_mov_b32 v30, v19 :: v_dual_add_nc_u32 v23, -13, v16
	s_delay_alu instid0(VALU_DEP_4) | instskip(SKIP_1) | instid1(VALU_DEP_4)
	v_lshlrev_b64 v[17:18], 2, v[14:15]
	v_mov_b32_e32 v24, v19
	v_lshlrev_b64 v[21:22], 3, v[21:22]
	v_mov_b32_e32 v26, v19
	v_add_nc_u32_e32 v14, 64, v14
	v_add_co_u32 v17, vcc_lo, s6, v17
	v_add_co_ci_u32_e32 v18, vcc_lo, s7, v18, vcc_lo
	v_lshlrev_b64 v[23:24], 3, v[23:24]
	v_lshlrev_b64 v[25:26], 3, v[25:26]
	global_load_b32 v15, v[17:18], off
	v_subrev_nc_u32_e32 v18, 27, v16
	s_delay_alu instid0(VALU_DEP_1) | instskip(NEXT) | instid1(VALU_DEP_1)
	v_lshlrev_b64 v[27:28], 3, v[18:19]
	v_add_co_u32 v27, vcc_lo, s8, v27
	s_delay_alu instid0(VALU_DEP_2)
	v_add_co_ci_u32_e32 v28, vcc_lo, s9, v28, vcc_lo
	v_add_co_u32 v31, vcc_lo, s8, v21
	v_add_co_ci_u32_e32 v32, vcc_lo, s9, v22, vcc_lo
	v_add_co_u32 v33, vcc_lo, s8, v23
	v_add_co_ci_u32_e32 v34, vcc_lo, s9, v24, vcc_lo
	v_add_co_u32 v35, vcc_lo, s8, v25
	v_add_co_ci_u32_e32 v36, vcc_lo, s9, v26, vcc_lo
	s_clause 0x4
	global_load_b128 v[21:24], v[27:28], off offset:16
	global_load_b128 v[25:28], v[27:28], off
	global_load_b64 v[31:32], v[31:32], off
	global_load_b64 v[33:34], v[33:34], off
	;; [unrolled: 1-line block ×3, first 2 shown]
	s_waitcnt vmcnt(5)
	v_subrev_nc_u32_e32 v15, s12, v15
	s_delay_alu instid0(VALU_DEP_1) | instskip(SKIP_1) | instid1(VALU_DEP_1)
	v_mul_lo_u32 v29, v15, 7
	v_mov_b32_e32 v17, v19
	v_lshlrev_b64 v[17:18], 3, v[16:17]
	s_delay_alu instid0(VALU_DEP_1) | instskip(NEXT) | instid1(VALU_DEP_2)
	v_add_co_u32 v37, vcc_lo, s8, v17
	v_add_co_ci_u32_e32 v38, vcc_lo, s9, v18, vcc_lo
	v_lshlrev_b64 v[17:18], 3, v[29:30]
	s_delay_alu instid0(VALU_DEP_1) | instskip(NEXT) | instid1(VALU_DEP_2)
	v_add_co_u32 v17, vcc_lo, s10, v17
	v_add_co_ci_u32_e32 v18, vcc_lo, s11, v18, vcc_lo
	global_load_b64 v[39:40], v[17:18], off
	v_add_nc_u32_e32 v18, 1, v29
	s_delay_alu instid0(VALU_DEP_1) | instskip(SKIP_1) | instid1(VALU_DEP_1)
	v_lshlrev_b64 v[41:42], 3, v[18:19]
	v_subrev_nc_u32_e32 v18, 19, v16
	v_lshlrev_b64 v[43:44], 3, v[18:19]
	v_add_nc_u32_e32 v18, -12, v16
	s_delay_alu instid0(VALU_DEP_4) | instskip(SKIP_1) | instid1(VALU_DEP_3)
	v_add_co_u32 v41, vcc_lo, s10, v41
	v_add_co_ci_u32_e32 v42, vcc_lo, s11, v42, vcc_lo
	v_lshlrev_b64 v[45:46], 3, v[18:19]
	v_add_nc_u32_e32 v18, -5, v16
	v_add_co_u32 v43, vcc_lo, s8, v43
	v_add_co_ci_u32_e32 v44, vcc_lo, s9, v44, vcc_lo
	s_delay_alu instid0(VALU_DEP_3)
	v_lshlrev_b64 v[17:18], 3, v[18:19]
	v_add_co_u32 v45, vcc_lo, s8, v45
	v_add_co_ci_u32_e32 v46, vcc_lo, s9, v46, vcc_lo
	global_load_b64 v[41:42], v[41:42], off
	v_add_co_u32 v17, vcc_lo, s8, v17
	v_add_co_ci_u32_e32 v18, vcc_lo, s9, v18, vcc_lo
	s_clause 0x2
	global_load_b64 v[43:44], v[43:44], off
	global_load_b64 v[45:46], v[45:46], off
	global_load_b64 v[47:48], v[17:18], off
	v_add_nc_u32_e32 v18, 2, v29
	s_delay_alu instid0(VALU_DEP_1) | instskip(SKIP_1) | instid1(VALU_DEP_1)
	v_lshlrev_b64 v[49:50], 3, v[18:19]
	v_subrev_nc_u32_e32 v18, 18, v16
	v_lshlrev_b64 v[51:52], 3, v[18:19]
	v_add_nc_u32_e32 v18, -11, v16
	s_delay_alu instid0(VALU_DEP_4) | instskip(SKIP_1) | instid1(VALU_DEP_3)
	v_add_co_u32 v49, vcc_lo, s10, v49
	v_add_co_ci_u32_e32 v50, vcc_lo, s11, v50, vcc_lo
	v_lshlrev_b64 v[53:54], 3, v[18:19]
	v_add_nc_u32_e32 v18, -4, v16
	v_add_co_u32 v51, vcc_lo, s8, v51
	v_add_co_ci_u32_e32 v52, vcc_lo, s9, v52, vcc_lo
	s_delay_alu instid0(VALU_DEP_3)
	v_lshlrev_b64 v[17:18], 3, v[18:19]
	v_add_co_u32 v53, vcc_lo, s8, v53
	v_add_co_ci_u32_e32 v54, vcc_lo, s9, v54, vcc_lo
	global_load_b64 v[49:50], v[49:50], off
	v_add_co_u32 v55, vcc_lo, s8, v17
	v_add_co_ci_u32_e32 v56, vcc_lo, s9, v18, vcc_lo
	s_clause 0x2
	global_load_b64 v[51:52], v[51:52], off
	global_load_b64 v[53:54], v[53:54], off
	;; [unrolled: 24-line block ×3, first 2 shown]
	global_load_b64 v[63:64], v[63:64], off
	v_subrev_nc_u32_e32 v18, 23, v16
	s_delay_alu instid0(VALU_DEP_1) | instskip(SKIP_1) | instid1(VALU_DEP_1)
	v_lshlrev_b64 v[65:66], 3, v[18:19]
	v_add_nc_u32_e32 v18, 4, v29
	v_lshlrev_b64 v[67:68], 3, v[18:19]
	v_add_nc_u32_e32 v18, -16, v16
	s_delay_alu instid0(VALU_DEP_4) | instskip(SKIP_1) | instid1(VALU_DEP_3)
	v_add_co_u32 v65, vcc_lo, s8, v65
	v_add_co_ci_u32_e32 v66, vcc_lo, s9, v66, vcc_lo
	v_lshlrev_b64 v[69:70], 3, v[18:19]
	v_add_nc_u32_e32 v18, -9, v16
	v_add_co_u32 v67, vcc_lo, s10, v67
	v_add_co_ci_u32_e32 v68, vcc_lo, s11, v68, vcc_lo
	s_delay_alu instid0(VALU_DEP_3) | instskip(SKIP_3) | instid1(VALU_DEP_3)
	v_lshlrev_b64 v[71:72], 3, v[18:19]
	v_add_nc_u32_e32 v18, -2, v16
	v_add_co_u32 v69, vcc_lo, s8, v69
	v_add_co_ci_u32_e32 v70, vcc_lo, s9, v70, vcc_lo
	v_lshlrev_b64 v[17:18], 3, v[18:19]
	v_add_co_u32 v71, vcc_lo, s8, v71
	v_add_co_ci_u32_e32 v72, vcc_lo, s9, v72, vcc_lo
	global_load_b64 v[65:66], v[65:66], off
	v_add_co_u32 v73, vcc_lo, s8, v17
	v_add_co_ci_u32_e32 v74, vcc_lo, s9, v18, vcc_lo
	global_load_b64 v[67:68], v[67:68], off
	s_clause 0x2
	global_load_b64 v[69:70], v[69:70], off
	global_load_b64 v[71:72], v[71:72], off
	;; [unrolled: 1-line block ×3, first 2 shown]
	v_subrev_nc_u32_e32 v18, 22, v16
	s_delay_alu instid0(VALU_DEP_1) | instskip(SKIP_1) | instid1(VALU_DEP_1)
	v_lshlrev_b64 v[75:76], 3, v[18:19]
	v_add_nc_u32_e32 v18, 5, v29
	v_lshlrev_b64 v[77:78], 3, v[18:19]
	v_add_nc_u32_e32 v18, -15, v16
	s_delay_alu instid0(VALU_DEP_4) | instskip(SKIP_1) | instid1(VALU_DEP_3)
	v_add_co_u32 v75, vcc_lo, s8, v75
	v_add_co_ci_u32_e32 v76, vcc_lo, s9, v76, vcc_lo
	v_lshlrev_b64 v[79:80], 3, v[18:19]
	v_add_nc_u32_e32 v18, -8, v16
	v_add_co_u32 v77, vcc_lo, s10, v77
	v_add_co_ci_u32_e32 v78, vcc_lo, s11, v78, vcc_lo
	s_delay_alu instid0(VALU_DEP_3) | instskip(SKIP_3) | instid1(VALU_DEP_3)
	v_lshlrev_b64 v[81:82], 3, v[18:19]
	v_add_nc_u32_e32 v18, -1, v16
	v_add_co_u32 v79, vcc_lo, s8, v79
	v_add_co_ci_u32_e32 v80, vcc_lo, s9, v80, vcc_lo
	v_lshlrev_b64 v[17:18], 3, v[18:19]
	v_add_co_u32 v81, vcc_lo, s8, v81
	v_add_co_ci_u32_e32 v82, vcc_lo, s9, v82, vcc_lo
	s_delay_alu instid0(VALU_DEP_3) | instskip(NEXT) | instid1(VALU_DEP_4)
	v_add_co_u32 v17, vcc_lo, s8, v17
	v_add_co_ci_u32_e32 v18, vcc_lo, s9, v18, vcc_lo
	global_load_b64 v[75:76], v[75:76], off
	global_load_b64 v[77:78], v[77:78], off
	s_clause 0x2
	global_load_b64 v[79:80], v[79:80], off
	global_load_b64 v[81:82], v[81:82], off
	;; [unrolled: 1-line block ×3, first 2 shown]
	v_subrev_nc_u32_e32 v18, 21, v16
	s_delay_alu instid0(VALU_DEP_1) | instskip(SKIP_1) | instid1(VALU_DEP_1)
	v_lshlrev_b64 v[85:86], 3, v[18:19]
	v_add_nc_u32_e32 v18, 6, v29
	v_lshlrev_b64 v[29:30], 3, v[18:19]
	v_add_nc_u32_e32 v18, -14, v16
	s_delay_alu instid0(VALU_DEP_4) | instskip(SKIP_1) | instid1(VALU_DEP_3)
	v_add_co_u32 v85, vcc_lo, s8, v85
	v_add_co_ci_u32_e32 v86, vcc_lo, s9, v86, vcc_lo
	v_lshlrev_b64 v[87:88], 3, v[18:19]
	v_add_nc_u32_e32 v18, -7, v16
	v_add_co_u32 v29, vcc_lo, s10, v29
	v_add_co_ci_u32_e32 v30, vcc_lo, s11, v30, vcc_lo
	s_delay_alu instid0(VALU_DEP_3) | instskip(SKIP_3) | instid1(VALU_DEP_4)
	v_lshlrev_b64 v[17:18], 3, v[18:19]
	v_add_co_u32 v87, vcc_lo, s8, v87
	v_add_co_ci_u32_e32 v88, vcc_lo, s9, v88, vcc_lo
	v_add_nc_u32_e32 v16, 0x700, v16
	v_add_co_u32 v17, vcc_lo, s8, v17
	v_add_co_ci_u32_e32 v18, vcc_lo, s9, v18, vcc_lo
	global_load_b64 v[85:86], v[85:86], off
	global_load_b64 v[29:30], v[29:30], off
	s_clause 0x2
	global_load_b64 v[87:88], v[87:88], off
	global_load_b64 v[17:18], v[17:18], off
	;; [unrolled: 1-line block ×3, first 2 shown]
	v_cmp_ge_i32_e32 vcc_lo, v14, v20
	s_or_b32 s2, vcc_lo, s2
	s_waitcnt vmcnt(27)
	v_fma_f64 v[6:7], v[25:26], v[39:40], v[6:7]
	v_fma_f64 v[12:13], v[31:32], v[39:40], v[12:13]
	;; [unrolled: 1-line block ×4, first 2 shown]
	s_waitcnt vmcnt(26)
	s_delay_alu instid0(VALU_DEP_4) | instskip(SKIP_1) | instid1(VALU_DEP_4)
	v_fma_f64 v[6:7], v[27:28], v[41:42], v[6:7]
	s_waitcnt vmcnt(25)
	v_fma_f64 v[12:13], v[43:44], v[41:42], v[12:13]
	s_waitcnt vmcnt(24)
	s_delay_alu instid0(VALU_DEP_4) | instskip(SKIP_1) | instid1(VALU_DEP_4)
	v_fma_f64 v[10:11], v[45:46], v[41:42], v[10:11]
	s_waitcnt vmcnt(23)
	v_fma_f64 v[8:9], v[47:48], v[41:42], v[8:9]
	;; [unrolled: 5-line block ×12, first 2 shown]
	s_and_not1_b32 exec_lo, exec_lo, s2
	s_cbranch_execnz .LBB66_15
; %bb.16:
	s_or_b32 exec_lo, exec_lo, s2
.LBB66_17:
	s_delay_alu instid0(SALU_CYCLE_1)
	s_or_b32 exec_lo, exec_lo, s3
.LBB66_18:
	v_mbcnt_lo_u32_b32 v24, -1, 0
	s_delay_alu instid0(VALU_DEP_1) | instskip(NEXT) | instid1(VALU_DEP_1)
	v_or_b32_e32 v14, 32, v24
	v_cmp_gt_i32_e32 vcc_lo, 32, v14
	v_cndmask_b32_e32 v14, v24, v14, vcc_lo
	s_delay_alu instid0(VALU_DEP_1)
	v_lshlrev_b32_e32 v21, 2, v14
	ds_bpermute_b32 v14, v21, v6
	ds_bpermute_b32 v15, v21, v7
	ds_bpermute_b32 v16, v21, v12
	ds_bpermute_b32 v17, v21, v13
	ds_bpermute_b32 v18, v21, v10
	ds_bpermute_b32 v19, v21, v11
	ds_bpermute_b32 v20, v21, v8
	ds_bpermute_b32 v21, v21, v9
	s_waitcnt lgkmcnt(6)
	v_add_f64 v[6:7], v[6:7], v[14:15]
	v_xor_b32_e32 v14, 16, v24
	s_waitcnt lgkmcnt(4)
	v_add_f64 v[12:13], v[12:13], v[16:17]
	s_waitcnt lgkmcnt(2)
	v_add_f64 v[10:11], v[10:11], v[18:19]
	s_waitcnt lgkmcnt(0)
	v_add_f64 v[8:9], v[8:9], v[20:21]
	v_cmp_gt_i32_e32 vcc_lo, 32, v14
	v_cndmask_b32_e32 v14, v24, v14, vcc_lo
	s_delay_alu instid0(VALU_DEP_1)
	v_lshlrev_b32_e32 v21, 2, v14
	ds_bpermute_b32 v14, v21, v6
	ds_bpermute_b32 v15, v21, v7
	ds_bpermute_b32 v16, v21, v12
	ds_bpermute_b32 v17, v21, v13
	ds_bpermute_b32 v18, v21, v10
	ds_bpermute_b32 v19, v21, v11
	ds_bpermute_b32 v20, v21, v8
	ds_bpermute_b32 v21, v21, v9
	s_waitcnt lgkmcnt(6)
	v_add_f64 v[6:7], v[6:7], v[14:15]
	v_xor_b32_e32 v14, 8, v24
	s_waitcnt lgkmcnt(4)
	v_add_f64 v[12:13], v[12:13], v[16:17]
	s_waitcnt lgkmcnt(2)
	v_add_f64 v[10:11], v[10:11], v[18:19]
	s_waitcnt lgkmcnt(0)
	v_add_f64 v[8:9], v[8:9], v[20:21]
	v_cmp_gt_i32_e32 vcc_lo, 32, v14
	v_cndmask_b32_e32 v14, v24, v14, vcc_lo
	s_delay_alu instid0(VALU_DEP_1)
	v_lshlrev_b32_e32 v21, 2, v14
	ds_bpermute_b32 v14, v21, v6
	ds_bpermute_b32 v15, v21, v7
	ds_bpermute_b32 v16, v21, v12
	ds_bpermute_b32 v17, v21, v13
	ds_bpermute_b32 v18, v21, v10
	ds_bpermute_b32 v19, v21, v11
	ds_bpermute_b32 v20, v21, v8
	ds_bpermute_b32 v21, v21, v9
	s_waitcnt lgkmcnt(6)
	v_add_f64 v[6:7], v[6:7], v[14:15]
	v_xor_b32_e32 v14, 4, v24
	s_waitcnt lgkmcnt(4)
	v_add_f64 v[12:13], v[12:13], v[16:17]
	s_waitcnt lgkmcnt(2)
	v_add_f64 v[10:11], v[10:11], v[18:19]
	s_waitcnt lgkmcnt(0)
	v_add_f64 v[8:9], v[8:9], v[20:21]
	v_cmp_gt_i32_e32 vcc_lo, 32, v14
	v_cndmask_b32_e32 v14, v24, v14, vcc_lo
	s_delay_alu instid0(VALU_DEP_1)
	v_lshlrev_b32_e32 v21, 2, v14
	ds_bpermute_b32 v14, v21, v6
	ds_bpermute_b32 v15, v21, v7
	;; [unrolled: 1-line block ×8, first 2 shown]
	s_waitcnt lgkmcnt(6)
	v_add_f64 v[6:7], v[6:7], v[14:15]
	s_waitcnt lgkmcnt(4)
	v_add_f64 v[12:13], v[12:13], v[16:17]
	;; [unrolled: 2-line block ×4, first 2 shown]
	v_xor_b32_e32 v8, 2, v24
	s_delay_alu instid0(VALU_DEP_1) | instskip(SKIP_1) | instid1(VALU_DEP_1)
	v_cmp_gt_i32_e32 vcc_lo, 32, v8
	v_cndmask_b32_e32 v8, v24, v8, vcc_lo
	v_lshlrev_b32_e32 v10, 2, v8
	ds_bpermute_b32 v8, v10, v6
	ds_bpermute_b32 v9, v10, v7
	;; [unrolled: 1-line block ×8, first 2 shown]
	s_waitcnt lgkmcnt(6)
	v_add_f64 v[10:11], v[6:7], v[8:9]
	s_waitcnt lgkmcnt(4)
	v_add_f64 v[8:9], v[12:13], v[18:19]
	v_xor_b32_e32 v12, 1, v24
	s_waitcnt lgkmcnt(2)
	v_add_f64 v[6:7], v[14:15], v[20:21]
	s_waitcnt lgkmcnt(0)
	v_add_f64 v[14:15], v[16:17], v[22:23]
	v_cmp_gt_i32_e32 vcc_lo, 32, v12
	v_cndmask_b32_e32 v12, v24, v12, vcc_lo
	v_cmp_eq_u32_e32 vcc_lo, 63, v0
	s_delay_alu instid0(VALU_DEP_2)
	v_lshlrev_b32_e32 v17, 2, v12
	ds_bpermute_b32 v12, v17, v10
	ds_bpermute_b32 v13, v17, v11
	;; [unrolled: 1-line block ×8, first 2 shown]
	s_and_b32 exec_lo, exec_lo, vcc_lo
	s_cbranch_execz .LBB66_23
; %bb.19:
	s_waitcnt lgkmcnt(6)
	v_add_f64 v[12:13], v[10:11], v[12:13]
	s_waitcnt lgkmcnt(4)
	v_add_f64 v[10:11], v[8:9], v[20:21]
	;; [unrolled: 2-line block ×4, first 2 shown]
	s_load_b64 s[0:1], s[0:1], 0x38
	s_mov_b32 s2, exec_lo
	v_cmpx_eq_f64_e32 0, v[3:4]
	s_xor_b32 s2, exec_lo, s2
	s_cbranch_execz .LBB66_21
; %bb.20:
	v_mul_f64 v[12:13], v[1:2], v[12:13]
	v_mul_f64 v[14:15], v[1:2], v[10:11]
	;; [unrolled: 1-line block ×4, first 2 shown]
	v_lshlrev_b32_e32 v0, 2, v5
                                        ; implicit-def: $vgpr5
                                        ; implicit-def: $vgpr3_vgpr4
                                        ; implicit-def: $vgpr6_vgpr7
	s_delay_alu instid0(VALU_DEP_1) | instskip(NEXT) | instid1(VALU_DEP_1)
	v_ashrrev_i32_e32 v1, 31, v0
	v_lshlrev_b64 v[0:1], 3, v[0:1]
	s_waitcnt lgkmcnt(0)
	s_delay_alu instid0(VALU_DEP_1) | instskip(NEXT) | instid1(VALU_DEP_2)
	v_add_co_u32 v0, vcc_lo, s0, v0
	v_add_co_ci_u32_e32 v1, vcc_lo, s1, v1, vcc_lo
	s_clause 0x1
	global_store_b128 v[0:1], v[12:15], off
	global_store_b128 v[0:1], v[8:11], off offset:16
                                        ; implicit-def: $vgpr1_vgpr2
                                        ; implicit-def: $vgpr12_vgpr13
                                        ; implicit-def: $vgpr10_vgpr11
                                        ; implicit-def: $vgpr8_vgpr9
.LBB66_21:
	s_and_not1_saveexec_b32 s2, s2
	s_cbranch_execz .LBB66_23
; %bb.22:
	v_lshlrev_b32_e32 v14, 2, v5
	v_mul_f64 v[12:13], v[1:2], v[12:13]
	v_mul_f64 v[10:11], v[1:2], v[10:11]
	v_mul_f64 v[24:25], v[1:2], v[8:9]
	v_mul_f64 v[26:27], v[1:2], v[6:7]
	v_ashrrev_i32_e32 v15, 31, v14
	s_delay_alu instid0(VALU_DEP_1) | instskip(SKIP_1) | instid1(VALU_DEP_1)
	v_lshlrev_b64 v[14:15], 3, v[14:15]
	s_waitcnt lgkmcnt(0)
	v_add_co_u32 v22, vcc_lo, s0, v14
	s_delay_alu instid0(VALU_DEP_2)
	v_add_co_ci_u32_e32 v23, vcc_lo, s1, v15, vcc_lo
	s_clause 0x1
	global_load_b128 v[14:17], v[22:23], off
	global_load_b128 v[18:21], v[22:23], off offset:16
	s_waitcnt vmcnt(1)
	v_fma_f64 v[5:6], v[3:4], v[14:15], v[12:13]
	v_fma_f64 v[7:8], v[3:4], v[16:17], v[10:11]
	s_waitcnt vmcnt(0)
	v_fma_f64 v[0:1], v[3:4], v[18:19], v[24:25]
	v_fma_f64 v[2:3], v[3:4], v[20:21], v[26:27]
	s_clause 0x1
	global_store_b128 v[22:23], v[5:8], off
	global_store_b128 v[22:23], v[0:3], off offset:16
.LBB66_23:
	s_nop 0
	s_sendmsg sendmsg(MSG_DEALLOC_VGPRS)
	s_endpgm
	.section	.rodata,"a",@progbits
	.p2align	6, 0x0
	.amdhsa_kernel _ZN9rocsparseL19gebsrmvn_4xn_kernelILj128ELj7ELj64EdEEvi20rocsparse_direction_NS_24const_host_device_scalarIT2_EEPKiS6_PKS3_S8_S4_PS3_21rocsparse_index_base_b
		.amdhsa_group_segment_fixed_size 0
		.amdhsa_private_segment_fixed_size 0
		.amdhsa_kernarg_size 72
		.amdhsa_user_sgpr_count 15
		.amdhsa_user_sgpr_dispatch_ptr 0
		.amdhsa_user_sgpr_queue_ptr 0
		.amdhsa_user_sgpr_kernarg_segment_ptr 1
		.amdhsa_user_sgpr_dispatch_id 0
		.amdhsa_user_sgpr_private_segment_size 0
		.amdhsa_wavefront_size32 1
		.amdhsa_uses_dynamic_stack 0
		.amdhsa_enable_private_segment 0
		.amdhsa_system_sgpr_workgroup_id_x 1
		.amdhsa_system_sgpr_workgroup_id_y 0
		.amdhsa_system_sgpr_workgroup_id_z 0
		.amdhsa_system_sgpr_workgroup_info 0
		.amdhsa_system_vgpr_workitem_id 0
		.amdhsa_next_free_vgpr 91
		.amdhsa_next_free_sgpr 16
		.amdhsa_reserve_vcc 1
		.amdhsa_float_round_mode_32 0
		.amdhsa_float_round_mode_16_64 0
		.amdhsa_float_denorm_mode_32 3
		.amdhsa_float_denorm_mode_16_64 3
		.amdhsa_dx10_clamp 1
		.amdhsa_ieee_mode 1
		.amdhsa_fp16_overflow 0
		.amdhsa_workgroup_processor_mode 1
		.amdhsa_memory_ordered 1
		.amdhsa_forward_progress 0
		.amdhsa_shared_vgpr_count 0
		.amdhsa_exception_fp_ieee_invalid_op 0
		.amdhsa_exception_fp_denorm_src 0
		.amdhsa_exception_fp_ieee_div_zero 0
		.amdhsa_exception_fp_ieee_overflow 0
		.amdhsa_exception_fp_ieee_underflow 0
		.amdhsa_exception_fp_ieee_inexact 0
		.amdhsa_exception_int_div_zero 0
	.end_amdhsa_kernel
	.section	.text._ZN9rocsparseL19gebsrmvn_4xn_kernelILj128ELj7ELj64EdEEvi20rocsparse_direction_NS_24const_host_device_scalarIT2_EEPKiS6_PKS3_S8_S4_PS3_21rocsparse_index_base_b,"axG",@progbits,_ZN9rocsparseL19gebsrmvn_4xn_kernelILj128ELj7ELj64EdEEvi20rocsparse_direction_NS_24const_host_device_scalarIT2_EEPKiS6_PKS3_S8_S4_PS3_21rocsparse_index_base_b,comdat
.Lfunc_end66:
	.size	_ZN9rocsparseL19gebsrmvn_4xn_kernelILj128ELj7ELj64EdEEvi20rocsparse_direction_NS_24const_host_device_scalarIT2_EEPKiS6_PKS3_S8_S4_PS3_21rocsparse_index_base_b, .Lfunc_end66-_ZN9rocsparseL19gebsrmvn_4xn_kernelILj128ELj7ELj64EdEEvi20rocsparse_direction_NS_24const_host_device_scalarIT2_EEPKiS6_PKS3_S8_S4_PS3_21rocsparse_index_base_b
                                        ; -- End function
	.section	.AMDGPU.csdata,"",@progbits
; Kernel info:
; codeLenInByte = 4200
; NumSgprs: 18
; NumVgprs: 91
; ScratchSize: 0
; MemoryBound: 1
; FloatMode: 240
; IeeeMode: 1
; LDSByteSize: 0 bytes/workgroup (compile time only)
; SGPRBlocks: 2
; VGPRBlocks: 11
; NumSGPRsForWavesPerEU: 18
; NumVGPRsForWavesPerEU: 91
; Occupancy: 16
; WaveLimiterHint : 1
; COMPUTE_PGM_RSRC2:SCRATCH_EN: 0
; COMPUTE_PGM_RSRC2:USER_SGPR: 15
; COMPUTE_PGM_RSRC2:TRAP_HANDLER: 0
; COMPUTE_PGM_RSRC2:TGID_X_EN: 1
; COMPUTE_PGM_RSRC2:TGID_Y_EN: 0
; COMPUTE_PGM_RSRC2:TGID_Z_EN: 0
; COMPUTE_PGM_RSRC2:TIDIG_COMP_CNT: 0
	.section	.text._ZN9rocsparseL19gebsrmvn_4xn_kernelILj128ELj8ELj4EdEEvi20rocsparse_direction_NS_24const_host_device_scalarIT2_EEPKiS6_PKS3_S8_S4_PS3_21rocsparse_index_base_b,"axG",@progbits,_ZN9rocsparseL19gebsrmvn_4xn_kernelILj128ELj8ELj4EdEEvi20rocsparse_direction_NS_24const_host_device_scalarIT2_EEPKiS6_PKS3_S8_S4_PS3_21rocsparse_index_base_b,comdat
	.globl	_ZN9rocsparseL19gebsrmvn_4xn_kernelILj128ELj8ELj4EdEEvi20rocsparse_direction_NS_24const_host_device_scalarIT2_EEPKiS6_PKS3_S8_S4_PS3_21rocsparse_index_base_b ; -- Begin function _ZN9rocsparseL19gebsrmvn_4xn_kernelILj128ELj8ELj4EdEEvi20rocsparse_direction_NS_24const_host_device_scalarIT2_EEPKiS6_PKS3_S8_S4_PS3_21rocsparse_index_base_b
	.p2align	8
	.type	_ZN9rocsparseL19gebsrmvn_4xn_kernelILj128ELj8ELj4EdEEvi20rocsparse_direction_NS_24const_host_device_scalarIT2_EEPKiS6_PKS3_S8_S4_PS3_21rocsparse_index_base_b,@function
_ZN9rocsparseL19gebsrmvn_4xn_kernelILj128ELj8ELj4EdEEvi20rocsparse_direction_NS_24const_host_device_scalarIT2_EEPKiS6_PKS3_S8_S4_PS3_21rocsparse_index_base_b: ; @_ZN9rocsparseL19gebsrmvn_4xn_kernelILj128ELj8ELj4EdEEvi20rocsparse_direction_NS_24const_host_device_scalarIT2_EEPKiS6_PKS3_S8_S4_PS3_21rocsparse_index_base_b
; %bb.0:
	s_clause 0x2
	s_load_b64 s[12:13], s[0:1], 0x40
	s_load_b64 s[4:5], s[0:1], 0x8
	;; [unrolled: 1-line block ×3, first 2 shown]
	s_waitcnt lgkmcnt(0)
	s_bitcmp1_b32 s13, 0
	v_dual_mov_b32 v1, s4 :: v_dual_mov_b32 v2, s5
	s_cselect_b32 s6, -1, 0
	s_delay_alu instid0(SALU_CYCLE_1)
	s_and_b32 vcc_lo, exec_lo, s6
	s_xor_b32 s6, s6, -1
	s_cbranch_vccnz .LBB67_2
; %bb.1:
	v_dual_mov_b32 v1, s4 :: v_dual_mov_b32 v2, s5
	flat_load_b64 v[1:2], v[1:2]
.LBB67_2:
	v_dual_mov_b32 v4, s3 :: v_dual_mov_b32 v3, s2
	s_and_not1_b32 vcc_lo, exec_lo, s6
	s_cbranch_vccnz .LBB67_4
; %bb.3:
	v_dual_mov_b32 v4, s3 :: v_dual_mov_b32 v3, s2
	flat_load_b64 v[3:4], v[3:4]
.LBB67_4:
	s_waitcnt vmcnt(0) lgkmcnt(0)
	v_cmp_neq_f64_e32 vcc_lo, 0, v[1:2]
	v_cmp_neq_f64_e64 s2, 1.0, v[3:4]
	s_delay_alu instid0(VALU_DEP_1) | instskip(NEXT) | instid1(SALU_CYCLE_1)
	s_or_b32 s2, vcc_lo, s2
	s_and_saveexec_b32 s3, s2
	s_cbranch_execz .LBB67_23
; %bb.5:
	s_load_b64 s[2:3], s[0:1], 0x0
	v_lshrrev_b32_e32 v5, 2, v0
	s_delay_alu instid0(VALU_DEP_1) | instskip(SKIP_1) | instid1(VALU_DEP_1)
	v_lshl_or_b32 v5, s15, 5, v5
	s_waitcnt lgkmcnt(0)
	v_cmp_gt_i32_e32 vcc_lo, s2, v5
	s_and_b32 exec_lo, exec_lo, vcc_lo
	s_cbranch_execz .LBB67_23
; %bb.6:
	s_load_b256 s[4:11], s[0:1], 0x10
	v_ashrrev_i32_e32 v6, 31, v5
	v_and_b32_e32 v0, 3, v0
	s_cmp_lg_u32 s3, 0
	s_delay_alu instid0(VALU_DEP_2) | instskip(SKIP_1) | instid1(VALU_DEP_1)
	v_lshlrev_b64 v[6:7], 2, v[5:6]
	s_waitcnt lgkmcnt(0)
	v_add_co_u32 v6, vcc_lo, s4, v6
	s_delay_alu instid0(VALU_DEP_2) | instskip(SKIP_4) | instid1(VALU_DEP_2)
	v_add_co_ci_u32_e32 v7, vcc_lo, s5, v7, vcc_lo
	global_load_b64 v[6:7], v[6:7], off
	s_waitcnt vmcnt(0)
	v_subrev_nc_u32_e32 v6, s12, v6
	v_subrev_nc_u32_e32 v20, s12, v7
	v_add_nc_u32_e32 v6, v6, v0
	s_delay_alu instid0(VALU_DEP_1)
	v_cmp_lt_i32_e64 s2, v6, v20
	s_cbranch_scc0 .LBB67_12
; %bb.7:
	v_mov_b32_e32 v8, 0
	v_mov_b32_e32 v9, 0
	s_delay_alu instid0(VALU_DEP_1)
	v_dual_mov_b32 v11, v9 :: v_dual_mov_b32 v10, v8
	v_dual_mov_b32 v13, v9 :: v_dual_mov_b32 v12, v8
	;; [unrolled: 1-line block ×3, first 2 shown]
	s_and_saveexec_b32 s3, s2
	s_cbranch_execz .LBB67_11
; %bb.8:
	v_dual_mov_b32 v8, 0 :: v_dual_mov_b32 v17, 0
	v_dual_mov_b32 v9, 0 :: v_dual_lshlrev_b32 v16, 5, v6
	v_mov_b32_e32 v18, v6
	s_mov_b32 s4, 0
	s_delay_alu instid0(VALU_DEP_2)
	v_dual_mov_b32 v11, v9 :: v_dual_mov_b32 v10, v8
	v_dual_mov_b32 v13, v9 :: v_dual_mov_b32 v12, v8
	;; [unrolled: 1-line block ×3, first 2 shown]
.LBB67_9:                               ; =>This Inner Loop Header: Depth=1
	v_ashrrev_i32_e32 v19, 31, v18
	s_delay_alu instid0(VALU_DEP_1) | instskip(SKIP_1) | instid1(VALU_DEP_2)
	v_lshlrev_b64 v[21:22], 2, v[18:19]
	v_add_nc_u32_e32 v18, 4, v18
	v_add_co_u32 v21, vcc_lo, s6, v21
	s_delay_alu instid0(VALU_DEP_3) | instskip(SKIP_3) | instid1(VALU_DEP_2)
	v_add_co_ci_u32_e32 v22, vcc_lo, s7, v22, vcc_lo
	global_load_b32 v7, v[21:22], off
	v_lshlrev_b64 v[21:22], 3, v[16:17]
	v_add_nc_u32_e32 v16, 0x80, v16
	v_add_co_u32 v97, vcc_lo, s8, v21
	s_delay_alu instid0(VALU_DEP_3) | instskip(SKIP_3) | instid1(VALU_DEP_1)
	v_add_co_ci_u32_e32 v98, vcc_lo, s9, v22, vcc_lo
	global_load_b128 v[21:24], v[97:98], off offset:16
	s_waitcnt vmcnt(1)
	v_subrev_nc_u32_e32 v7, s12, v7
	v_dual_mov_b32 v26, v17 :: v_dual_lshlrev_b32 v25, 3, v7
	s_delay_alu instid0(VALU_DEP_1) | instskip(NEXT) | instid1(VALU_DEP_1)
	v_lshlrev_b64 v[25:26], 3, v[25:26]
	v_add_co_u32 v89, vcc_lo, s10, v25
	s_delay_alu instid0(VALU_DEP_2)
	v_add_co_ci_u32_e32 v90, vcc_lo, s11, v26, vcc_lo
	v_cmp_ge_i32_e32 vcc_lo, v18, v20
	global_load_b128 v[25:28], v[97:98], off
	global_load_b128 v[29:32], v[89:90], off
	s_clause 0x3
	global_load_b128 v[33:36], v[97:98], off offset:32
	global_load_b128 v[37:40], v[97:98], off offset:48
	global_load_b128 v[41:44], v[97:98], off offset:64
	global_load_b128 v[45:48], v[97:98], off offset:80
	global_load_b128 v[49:52], v[89:90], off offset:16
	s_clause 0x3
	global_load_b128 v[53:56], v[97:98], off offset:96
	global_load_b128 v[57:60], v[97:98], off offset:112
	global_load_b128 v[61:64], v[97:98], off offset:144
	global_load_b128 v[65:68], v[97:98], off offset:128
	global_load_b128 v[69:72], v[89:90], off offset:32
	;; [unrolled: 6-line block ×3, first 2 shown]
	s_clause 0x1
	global_load_b128 v[93:96], v[97:98], off offset:224
	global_load_b128 v[97:100], v[97:98], off offset:240
	s_or_b32 s4, vcc_lo, s4
	s_waitcnt vmcnt(17)
	v_fma_f64 v[7:8], v[25:26], v[29:30], v[8:9]
	v_fma_f64 v[14:15], v[27:28], v[29:30], v[14:15]
	;; [unrolled: 1-line block ×4, first 2 shown]
	s_waitcnt vmcnt(16)
	s_delay_alu instid0(VALU_DEP_4) | instskip(NEXT) | instid1(VALU_DEP_4)
	v_fma_f64 v[7:8], v[33:34], v[31:32], v[7:8]
	v_fma_f64 v[14:15], v[35:36], v[31:32], v[14:15]
	s_waitcnt vmcnt(15)
	s_delay_alu instid0(VALU_DEP_4) | instskip(NEXT) | instid1(VALU_DEP_4)
	v_fma_f64 v[11:12], v[37:38], v[31:32], v[12:13]
	v_fma_f64 v[9:10], v[39:40], v[31:32], v[9:10]
	s_waitcnt vmcnt(12)
	s_delay_alu instid0(VALU_DEP_4) | instskip(NEXT) | instid1(VALU_DEP_4)
	v_fma_f64 v[7:8], v[41:42], v[49:50], v[7:8]
	v_fma_f64 v[13:14], v[43:44], v[49:50], v[14:15]
	s_delay_alu instid0(VALU_DEP_4) | instskip(NEXT) | instid1(VALU_DEP_4)
	v_fma_f64 v[11:12], v[45:46], v[49:50], v[11:12]
	v_fma_f64 v[9:10], v[47:48], v[49:50], v[9:10]
	s_waitcnt vmcnt(11)
	s_delay_alu instid0(VALU_DEP_4) | instskip(NEXT) | instid1(VALU_DEP_4)
	v_fma_f64 v[7:8], v[53:54], v[51:52], v[7:8]
	v_fma_f64 v[13:14], v[55:56], v[51:52], v[13:14]
	s_waitcnt vmcnt(10)
	s_delay_alu instid0(VALU_DEP_4) | instskip(NEXT) | instid1(VALU_DEP_4)
	v_fma_f64 v[11:12], v[57:58], v[51:52], v[11:12]
	v_fma_f64 v[9:10], v[59:60], v[51:52], v[9:10]
	s_waitcnt vmcnt(7)
	s_delay_alu instid0(VALU_DEP_4) | instskip(NEXT) | instid1(VALU_DEP_4)
	v_fma_f64 v[7:8], v[65:66], v[69:70], v[7:8]
	v_fma_f64 v[13:14], v[67:68], v[69:70], v[13:14]
	s_delay_alu instid0(VALU_DEP_4) | instskip(NEXT) | instid1(VALU_DEP_4)
	v_fma_f64 v[11:12], v[61:62], v[69:70], v[11:12]
	v_fma_f64 v[9:10], v[63:64], v[69:70], v[9:10]
	;; [unrolled: 15-line block ×3, first 2 shown]
	s_waitcnt vmcnt(1)
	s_delay_alu instid0(VALU_DEP_4) | instskip(NEXT) | instid1(VALU_DEP_4)
	v_fma_f64 v[8:9], v[93:94], v[91:92], v[7:8]
	v_fma_f64 v[14:15], v[95:96], v[91:92], v[13:14]
	s_waitcnt vmcnt(0)
	s_delay_alu instid0(VALU_DEP_4) | instskip(NEXT) | instid1(VALU_DEP_4)
	v_fma_f64 v[12:13], v[97:98], v[91:92], v[11:12]
	v_fma_f64 v[10:11], v[99:100], v[91:92], v[21:22]
	s_and_not1_b32 exec_lo, exec_lo, s4
	s_cbranch_execnz .LBB67_9
; %bb.10:
	s_or_b32 exec_lo, exec_lo, s4
.LBB67_11:
	s_delay_alu instid0(SALU_CYCLE_1)
	s_or_b32 exec_lo, exec_lo, s3
	s_cbranch_execz .LBB67_13
	s_branch .LBB67_18
.LBB67_12:
                                        ; implicit-def: $vgpr8_vgpr9
                                        ; implicit-def: $vgpr10_vgpr11
                                        ; implicit-def: $vgpr12_vgpr13
                                        ; implicit-def: $vgpr14_vgpr15
.LBB67_13:
	v_mov_b32_e32 v8, 0
	v_mov_b32_e32 v9, 0
	s_delay_alu instid0(VALU_DEP_1)
	v_dual_mov_b32 v11, v9 :: v_dual_mov_b32 v10, v8
	v_dual_mov_b32 v13, v9 :: v_dual_mov_b32 v12, v8
	;; [unrolled: 1-line block ×3, first 2 shown]
	s_and_saveexec_b32 s3, s2
	s_cbranch_execz .LBB67_17
; %bb.14:
	v_dual_mov_b32 v8, 0 :: v_dual_mov_b32 v17, 0
	v_dual_mov_b32 v9, 0 :: v_dual_lshlrev_b32 v16, 5, v6
	s_mov_b32 s2, 0
	s_delay_alu instid0(VALU_DEP_1)
	v_dual_mov_b32 v11, v9 :: v_dual_mov_b32 v10, v8
	v_dual_mov_b32 v13, v9 :: v_dual_mov_b32 v12, v8
	;; [unrolled: 1-line block ×3, first 2 shown]
.LBB67_15:                              ; =>This Inner Loop Header: Depth=1
	v_ashrrev_i32_e32 v7, 31, v6
	s_delay_alu instid0(VALU_DEP_1) | instskip(SKIP_1) | instid1(VALU_DEP_2)
	v_lshlrev_b64 v[18:19], 2, v[6:7]
	v_add_nc_u32_e32 v6, 4, v6
	v_add_co_u32 v18, vcc_lo, s6, v18
	s_delay_alu instid0(VALU_DEP_3) | instskip(SKIP_3) | instid1(VALU_DEP_2)
	v_add_co_ci_u32_e32 v19, vcc_lo, s7, v19, vcc_lo
	global_load_b32 v7, v[18:19], off
	v_lshlrev_b64 v[18:19], 3, v[16:17]
	v_add_nc_u32_e32 v16, 0x80, v16
	v_add_co_u32 v18, vcc_lo, s8, v18
	s_delay_alu instid0(VALU_DEP_3)
	v_add_co_ci_u32_e32 v19, vcc_lo, s9, v19, vcc_lo
	s_clause 0x3
	global_load_b128 v[21:24], v[18:19], off
	global_load_b128 v[25:28], v[18:19], off offset:64
	global_load_b128 v[29:32], v[18:19], off offset:128
	;; [unrolled: 1-line block ×3, first 2 shown]
	s_waitcnt vmcnt(4)
	v_subrev_nc_u32_e32 v7, s12, v7
	s_delay_alu instid0(VALU_DEP_1) | instskip(NEXT) | instid1(VALU_DEP_1)
	v_dual_mov_b32 v38, v17 :: v_dual_lshlrev_b32 v37, 3, v7
	v_lshlrev_b64 v[37:38], 3, v[37:38]
	s_delay_alu instid0(VALU_DEP_1) | instskip(NEXT) | instid1(VALU_DEP_2)
	v_add_co_u32 v97, vcc_lo, s10, v37
	v_add_co_ci_u32_e32 v98, vcc_lo, s11, v38, vcc_lo
	v_cmp_ge_i32_e32 vcc_lo, v6, v20
	global_load_b128 v[37:40], v[97:98], off
	s_clause 0x3
	global_load_b128 v[41:44], v[18:19], off offset:16
	global_load_b128 v[45:48], v[18:19], off offset:80
	;; [unrolled: 1-line block ×5, first 2 shown]
	s_clause 0x5
	global_load_b128 v[61:64], v[18:19], off offset:48
	global_load_b128 v[65:68], v[18:19], off offset:32
	;; [unrolled: 1-line block ×7, first 2 shown]
	s_clause 0x1
	global_load_b128 v[89:92], v[18:19], off offset:176
	global_load_b128 v[93:96], v[18:19], off offset:240
	s_or_b32 s2, vcc_lo, s2
	s_waitcnt vmcnt(14)
	v_fma_f64 v[7:8], v[21:22], v[37:38], v[8:9]
	v_fma_f64 v[14:15], v[25:26], v[37:38], v[14:15]
	;; [unrolled: 1-line block ×4, first 2 shown]
	s_delay_alu instid0(VALU_DEP_4)
	v_fma_f64 v[7:8], v[23:24], v[39:40], v[7:8]
	global_load_b128 v[21:24], v[97:98], off offset:48
	v_fma_f64 v[14:15], v[27:28], v[39:40], v[14:15]
	v_fma_f64 v[11:12], v[31:32], v[39:40], v[12:13]
	;; [unrolled: 1-line block ×3, first 2 shown]
	s_waitcnt vmcnt(10)
	v_fma_f64 v[7:8], v[41:42], v[57:58], v[7:8]
	s_delay_alu instid0(VALU_DEP_4) | instskip(NEXT) | instid1(VALU_DEP_4)
	v_fma_f64 v[13:14], v[45:46], v[57:58], v[14:15]
	v_fma_f64 v[11:12], v[49:50], v[57:58], v[11:12]
	s_delay_alu instid0(VALU_DEP_4) | instskip(NEXT) | instid1(VALU_DEP_4)
	v_fma_f64 v[9:10], v[53:54], v[57:58], v[9:10]
	;; [unrolled: 3-line block ×3, first 2 shown]
	v_fma_f64 v[11:12], v[51:52], v[59:60], v[11:12]
	s_delay_alu instid0(VALU_DEP_4) | instskip(SKIP_1) | instid1(VALU_DEP_4)
	v_fma_f64 v[9:10], v[55:56], v[59:60], v[9:10]
	s_waitcnt vmcnt(3)
	v_fma_f64 v[7:8], v[65:66], v[85:86], v[7:8]
	s_delay_alu instid0(VALU_DEP_4) | instskip(NEXT) | instid1(VALU_DEP_4)
	v_fma_f64 v[13:14], v[73:74], v[85:86], v[13:14]
	v_fma_f64 v[11:12], v[81:82], v[85:86], v[11:12]
	s_delay_alu instid0(VALU_DEP_4) | instskip(NEXT) | instid1(VALU_DEP_4)
	v_fma_f64 v[9:10], v[77:78], v[85:86], v[9:10]
	;; [unrolled: 3-line block ×3, first 2 shown]
	v_fma_f64 v[11:12], v[83:84], v[87:88], v[11:12]
	s_delay_alu instid0(VALU_DEP_4) | instskip(SKIP_1) | instid1(VALU_DEP_4)
	v_fma_f64 v[9:10], v[79:80], v[87:88], v[9:10]
	s_waitcnt vmcnt(0)
	v_fma_f64 v[7:8], v[61:62], v[21:22], v[7:8]
	s_delay_alu instid0(VALU_DEP_4) | instskip(NEXT) | instid1(VALU_DEP_4)
	v_fma_f64 v[13:14], v[69:70], v[21:22], v[13:14]
	v_fma_f64 v[11:12], v[89:90], v[21:22], v[11:12]
	s_delay_alu instid0(VALU_DEP_4) | instskip(NEXT) | instid1(VALU_DEP_4)
	v_fma_f64 v[18:19], v[93:94], v[21:22], v[9:10]
	;; [unrolled: 3-line block ×3, first 2 shown]
	v_fma_f64 v[12:13], v[91:92], v[23:24], v[11:12]
	s_delay_alu instid0(VALU_DEP_4)
	v_fma_f64 v[10:11], v[95:96], v[23:24], v[18:19]
	s_and_not1_b32 exec_lo, exec_lo, s2
	s_cbranch_execnz .LBB67_15
; %bb.16:
	s_or_b32 exec_lo, exec_lo, s2
.LBB67_17:
	s_delay_alu instid0(SALU_CYCLE_1)
	s_or_b32 exec_lo, exec_lo, s3
.LBB67_18:
	v_mbcnt_lo_u32_b32 v24, -1, 0
	s_delay_alu instid0(VALU_DEP_1) | instskip(NEXT) | instid1(VALU_DEP_1)
	v_xor_b32_e32 v6, 2, v24
	v_cmp_gt_i32_e32 vcc_lo, 32, v6
	v_cndmask_b32_e32 v6, v24, v6, vcc_lo
	s_delay_alu instid0(VALU_DEP_1)
	v_lshlrev_b32_e32 v16, 2, v6
	ds_bpermute_b32 v6, v16, v8
	ds_bpermute_b32 v7, v16, v9
	ds_bpermute_b32 v18, v16, v14
	ds_bpermute_b32 v19, v16, v15
	ds_bpermute_b32 v20, v16, v12
	ds_bpermute_b32 v21, v16, v13
	ds_bpermute_b32 v22, v16, v10
	ds_bpermute_b32 v23, v16, v11
	s_waitcnt lgkmcnt(6)
	v_add_f64 v[16:17], v[8:9], v[6:7]
	s_waitcnt lgkmcnt(4)
	v_add_f64 v[8:9], v[14:15], v[18:19]
	s_waitcnt lgkmcnt(2)
	v_add_f64 v[6:7], v[12:13], v[20:21]
	s_waitcnt lgkmcnt(0)
	v_add_f64 v[14:15], v[10:11], v[22:23]
	v_xor_b32_e32 v10, 1, v24
	s_delay_alu instid0(VALU_DEP_1) | instskip(SKIP_2) | instid1(VALU_DEP_2)
	v_cmp_gt_i32_e32 vcc_lo, 32, v10
	v_cndmask_b32_e32 v10, v24, v10, vcc_lo
	v_cmp_eq_u32_e32 vcc_lo, 3, v0
	v_lshlrev_b32_e32 v19, 2, v10
	ds_bpermute_b32 v12, v19, v16
	ds_bpermute_b32 v13, v19, v17
	;; [unrolled: 1-line block ×8, first 2 shown]
	s_and_b32 exec_lo, exec_lo, vcc_lo
	s_cbranch_execz .LBB67_23
; %bb.19:
	s_waitcnt lgkmcnt(6)
	v_add_f64 v[12:13], v[16:17], v[12:13]
	s_waitcnt lgkmcnt(4)
	v_add_f64 v[10:11], v[8:9], v[10:11]
	;; [unrolled: 2-line block ×4, first 2 shown]
	s_load_b64 s[0:1], s[0:1], 0x38
	s_mov_b32 s2, exec_lo
	v_cmpx_eq_f64_e32 0, v[3:4]
	s_xor_b32 s2, exec_lo, s2
	s_cbranch_execz .LBB67_21
; %bb.20:
	v_mul_f64 v[12:13], v[1:2], v[12:13]
	v_mul_f64 v[14:15], v[1:2], v[10:11]
	;; [unrolled: 1-line block ×4, first 2 shown]
	v_lshlrev_b32_e32 v0, 2, v5
                                        ; implicit-def: $vgpr5
                                        ; implicit-def: $vgpr3_vgpr4
                                        ; implicit-def: $vgpr6_vgpr7
	s_delay_alu instid0(VALU_DEP_1) | instskip(NEXT) | instid1(VALU_DEP_1)
	v_ashrrev_i32_e32 v1, 31, v0
	v_lshlrev_b64 v[0:1], 3, v[0:1]
	s_waitcnt lgkmcnt(0)
	s_delay_alu instid0(VALU_DEP_1) | instskip(NEXT) | instid1(VALU_DEP_2)
	v_add_co_u32 v0, vcc_lo, s0, v0
	v_add_co_ci_u32_e32 v1, vcc_lo, s1, v1, vcc_lo
	s_clause 0x1
	global_store_b128 v[0:1], v[12:15], off
	global_store_b128 v[0:1], v[8:11], off offset:16
                                        ; implicit-def: $vgpr1_vgpr2
                                        ; implicit-def: $vgpr12_vgpr13
                                        ; implicit-def: $vgpr10_vgpr11
                                        ; implicit-def: $vgpr8_vgpr9
.LBB67_21:
	s_and_not1_saveexec_b32 s2, s2
	s_cbranch_execz .LBB67_23
; %bb.22:
	v_lshlrev_b32_e32 v14, 2, v5
	v_mul_f64 v[12:13], v[1:2], v[12:13]
	v_mul_f64 v[10:11], v[1:2], v[10:11]
	;; [unrolled: 1-line block ×4, first 2 shown]
	v_ashrrev_i32_e32 v15, 31, v14
	s_delay_alu instid0(VALU_DEP_1) | instskip(SKIP_1) | instid1(VALU_DEP_1)
	v_lshlrev_b64 v[14:15], 3, v[14:15]
	s_waitcnt lgkmcnt(0)
	v_add_co_u32 v22, vcc_lo, s0, v14
	s_delay_alu instid0(VALU_DEP_2)
	v_add_co_ci_u32_e32 v23, vcc_lo, s1, v15, vcc_lo
	s_clause 0x1
	global_load_b128 v[14:17], v[22:23], off
	global_load_b128 v[18:21], v[22:23], off offset:16
	s_waitcnt vmcnt(1)
	v_fma_f64 v[5:6], v[3:4], v[14:15], v[12:13]
	v_fma_f64 v[7:8], v[3:4], v[16:17], v[10:11]
	s_waitcnt vmcnt(0)
	v_fma_f64 v[0:1], v[3:4], v[18:19], v[24:25]
	v_fma_f64 v[2:3], v[3:4], v[20:21], v[26:27]
	s_clause 0x1
	global_store_b128 v[22:23], v[5:8], off
	global_store_b128 v[22:23], v[0:3], off offset:16
.LBB67_23:
	s_nop 0
	s_sendmsg sendmsg(MSG_DEALLOC_VGPRS)
	s_endpgm
	.section	.rodata,"a",@progbits
	.p2align	6, 0x0
	.amdhsa_kernel _ZN9rocsparseL19gebsrmvn_4xn_kernelILj128ELj8ELj4EdEEvi20rocsparse_direction_NS_24const_host_device_scalarIT2_EEPKiS6_PKS3_S8_S4_PS3_21rocsparse_index_base_b
		.amdhsa_group_segment_fixed_size 0
		.amdhsa_private_segment_fixed_size 0
		.amdhsa_kernarg_size 72
		.amdhsa_user_sgpr_count 15
		.amdhsa_user_sgpr_dispatch_ptr 0
		.amdhsa_user_sgpr_queue_ptr 0
		.amdhsa_user_sgpr_kernarg_segment_ptr 1
		.amdhsa_user_sgpr_dispatch_id 0
		.amdhsa_user_sgpr_private_segment_size 0
		.amdhsa_wavefront_size32 1
		.amdhsa_uses_dynamic_stack 0
		.amdhsa_enable_private_segment 0
		.amdhsa_system_sgpr_workgroup_id_x 1
		.amdhsa_system_sgpr_workgroup_id_y 0
		.amdhsa_system_sgpr_workgroup_id_z 0
		.amdhsa_system_sgpr_workgroup_info 0
		.amdhsa_system_vgpr_workitem_id 0
		.amdhsa_next_free_vgpr 101
		.amdhsa_next_free_sgpr 16
		.amdhsa_reserve_vcc 1
		.amdhsa_float_round_mode_32 0
		.amdhsa_float_round_mode_16_64 0
		.amdhsa_float_denorm_mode_32 3
		.amdhsa_float_denorm_mode_16_64 3
		.amdhsa_dx10_clamp 1
		.amdhsa_ieee_mode 1
		.amdhsa_fp16_overflow 0
		.amdhsa_workgroup_processor_mode 1
		.amdhsa_memory_ordered 1
		.amdhsa_forward_progress 0
		.amdhsa_shared_vgpr_count 0
		.amdhsa_exception_fp_ieee_invalid_op 0
		.amdhsa_exception_fp_denorm_src 0
		.amdhsa_exception_fp_ieee_div_zero 0
		.amdhsa_exception_fp_ieee_overflow 0
		.amdhsa_exception_fp_ieee_underflow 0
		.amdhsa_exception_fp_ieee_inexact 0
		.amdhsa_exception_int_div_zero 0
	.end_amdhsa_kernel
	.section	.text._ZN9rocsparseL19gebsrmvn_4xn_kernelILj128ELj8ELj4EdEEvi20rocsparse_direction_NS_24const_host_device_scalarIT2_EEPKiS6_PKS3_S8_S4_PS3_21rocsparse_index_base_b,"axG",@progbits,_ZN9rocsparseL19gebsrmvn_4xn_kernelILj128ELj8ELj4EdEEvi20rocsparse_direction_NS_24const_host_device_scalarIT2_EEPKiS6_PKS3_S8_S4_PS3_21rocsparse_index_base_b,comdat
.Lfunc_end67:
	.size	_ZN9rocsparseL19gebsrmvn_4xn_kernelILj128ELj8ELj4EdEEvi20rocsparse_direction_NS_24const_host_device_scalarIT2_EEPKiS6_PKS3_S8_S4_PS3_21rocsparse_index_base_b, .Lfunc_end67-_ZN9rocsparseL19gebsrmvn_4xn_kernelILj128ELj8ELj4EdEEvi20rocsparse_direction_NS_24const_host_device_scalarIT2_EEPKiS6_PKS3_S8_S4_PS3_21rocsparse_index_base_b
                                        ; -- End function
	.section	.AMDGPU.csdata,"",@progbits
; Kernel info:
; codeLenInByte = 2380
; NumSgprs: 18
; NumVgprs: 101
; ScratchSize: 0
; MemoryBound: 1
; FloatMode: 240
; IeeeMode: 1
; LDSByteSize: 0 bytes/workgroup (compile time only)
; SGPRBlocks: 2
; VGPRBlocks: 12
; NumSGPRsForWavesPerEU: 18
; NumVGPRsForWavesPerEU: 101
; Occupancy: 12
; WaveLimiterHint : 1
; COMPUTE_PGM_RSRC2:SCRATCH_EN: 0
; COMPUTE_PGM_RSRC2:USER_SGPR: 15
; COMPUTE_PGM_RSRC2:TRAP_HANDLER: 0
; COMPUTE_PGM_RSRC2:TGID_X_EN: 1
; COMPUTE_PGM_RSRC2:TGID_Y_EN: 0
; COMPUTE_PGM_RSRC2:TGID_Z_EN: 0
; COMPUTE_PGM_RSRC2:TIDIG_COMP_CNT: 0
	.section	.text._ZN9rocsparseL19gebsrmvn_4xn_kernelILj128ELj8ELj8EdEEvi20rocsparse_direction_NS_24const_host_device_scalarIT2_EEPKiS6_PKS3_S8_S4_PS3_21rocsparse_index_base_b,"axG",@progbits,_ZN9rocsparseL19gebsrmvn_4xn_kernelILj128ELj8ELj8EdEEvi20rocsparse_direction_NS_24const_host_device_scalarIT2_EEPKiS6_PKS3_S8_S4_PS3_21rocsparse_index_base_b,comdat
	.globl	_ZN9rocsparseL19gebsrmvn_4xn_kernelILj128ELj8ELj8EdEEvi20rocsparse_direction_NS_24const_host_device_scalarIT2_EEPKiS6_PKS3_S8_S4_PS3_21rocsparse_index_base_b ; -- Begin function _ZN9rocsparseL19gebsrmvn_4xn_kernelILj128ELj8ELj8EdEEvi20rocsparse_direction_NS_24const_host_device_scalarIT2_EEPKiS6_PKS3_S8_S4_PS3_21rocsparse_index_base_b
	.p2align	8
	.type	_ZN9rocsparseL19gebsrmvn_4xn_kernelILj128ELj8ELj8EdEEvi20rocsparse_direction_NS_24const_host_device_scalarIT2_EEPKiS6_PKS3_S8_S4_PS3_21rocsparse_index_base_b,@function
_ZN9rocsparseL19gebsrmvn_4xn_kernelILj128ELj8ELj8EdEEvi20rocsparse_direction_NS_24const_host_device_scalarIT2_EEPKiS6_PKS3_S8_S4_PS3_21rocsparse_index_base_b: ; @_ZN9rocsparseL19gebsrmvn_4xn_kernelILj128ELj8ELj8EdEEvi20rocsparse_direction_NS_24const_host_device_scalarIT2_EEPKiS6_PKS3_S8_S4_PS3_21rocsparse_index_base_b
; %bb.0:
	s_clause 0x2
	s_load_b64 s[12:13], s[0:1], 0x40
	s_load_b64 s[4:5], s[0:1], 0x8
	;; [unrolled: 1-line block ×3, first 2 shown]
	s_waitcnt lgkmcnt(0)
	s_bitcmp1_b32 s13, 0
	v_dual_mov_b32 v1, s4 :: v_dual_mov_b32 v2, s5
	s_cselect_b32 s6, -1, 0
	s_delay_alu instid0(SALU_CYCLE_1)
	s_and_b32 vcc_lo, exec_lo, s6
	s_xor_b32 s6, s6, -1
	s_cbranch_vccnz .LBB68_2
; %bb.1:
	v_dual_mov_b32 v1, s4 :: v_dual_mov_b32 v2, s5
	flat_load_b64 v[1:2], v[1:2]
.LBB68_2:
	v_dual_mov_b32 v4, s3 :: v_dual_mov_b32 v3, s2
	s_and_not1_b32 vcc_lo, exec_lo, s6
	s_cbranch_vccnz .LBB68_4
; %bb.3:
	v_dual_mov_b32 v4, s3 :: v_dual_mov_b32 v3, s2
	flat_load_b64 v[3:4], v[3:4]
.LBB68_4:
	s_waitcnt vmcnt(0) lgkmcnt(0)
	v_cmp_neq_f64_e32 vcc_lo, 0, v[1:2]
	v_cmp_neq_f64_e64 s2, 1.0, v[3:4]
	s_delay_alu instid0(VALU_DEP_1) | instskip(NEXT) | instid1(SALU_CYCLE_1)
	s_or_b32 s2, vcc_lo, s2
	s_and_saveexec_b32 s3, s2
	s_cbranch_execz .LBB68_23
; %bb.5:
	s_load_b64 s[2:3], s[0:1], 0x0
	v_lshrrev_b32_e32 v5, 3, v0
	s_delay_alu instid0(VALU_DEP_1) | instskip(SKIP_1) | instid1(VALU_DEP_1)
	v_lshl_or_b32 v5, s15, 4, v5
	s_waitcnt lgkmcnt(0)
	v_cmp_gt_i32_e32 vcc_lo, s2, v5
	s_and_b32 exec_lo, exec_lo, vcc_lo
	s_cbranch_execz .LBB68_23
; %bb.6:
	s_load_b256 s[4:11], s[0:1], 0x10
	v_ashrrev_i32_e32 v6, 31, v5
	v_and_b32_e32 v0, 7, v0
	s_cmp_lg_u32 s3, 0
	s_delay_alu instid0(VALU_DEP_2) | instskip(SKIP_1) | instid1(VALU_DEP_1)
	v_lshlrev_b64 v[6:7], 2, v[5:6]
	s_waitcnt lgkmcnt(0)
	v_add_co_u32 v6, vcc_lo, s4, v6
	s_delay_alu instid0(VALU_DEP_2) | instskip(SKIP_4) | instid1(VALU_DEP_2)
	v_add_co_ci_u32_e32 v7, vcc_lo, s5, v7, vcc_lo
	global_load_b64 v[6:7], v[6:7], off
	s_waitcnt vmcnt(0)
	v_subrev_nc_u32_e32 v6, s12, v6
	v_subrev_nc_u32_e32 v20, s12, v7
	v_add_nc_u32_e32 v6, v6, v0
	s_delay_alu instid0(VALU_DEP_1)
	v_cmp_lt_i32_e64 s2, v6, v20
	s_cbranch_scc0 .LBB68_12
; %bb.7:
	v_mov_b32_e32 v8, 0
	v_mov_b32_e32 v9, 0
	s_delay_alu instid0(VALU_DEP_1)
	v_dual_mov_b32 v11, v9 :: v_dual_mov_b32 v10, v8
	v_dual_mov_b32 v13, v9 :: v_dual_mov_b32 v12, v8
	;; [unrolled: 1-line block ×3, first 2 shown]
	s_and_saveexec_b32 s3, s2
	s_cbranch_execz .LBB68_11
; %bb.8:
	v_dual_mov_b32 v8, 0 :: v_dual_mov_b32 v17, 0
	v_dual_mov_b32 v9, 0 :: v_dual_lshlrev_b32 v16, 5, v6
	v_mov_b32_e32 v18, v6
	s_mov_b32 s4, 0
	s_delay_alu instid0(VALU_DEP_2)
	v_dual_mov_b32 v11, v9 :: v_dual_mov_b32 v10, v8
	v_dual_mov_b32 v13, v9 :: v_dual_mov_b32 v12, v8
	;; [unrolled: 1-line block ×3, first 2 shown]
.LBB68_9:                               ; =>This Inner Loop Header: Depth=1
	v_ashrrev_i32_e32 v19, 31, v18
	s_delay_alu instid0(VALU_DEP_1) | instskip(SKIP_1) | instid1(VALU_DEP_2)
	v_lshlrev_b64 v[21:22], 2, v[18:19]
	v_add_nc_u32_e32 v18, 8, v18
	v_add_co_u32 v21, vcc_lo, s6, v21
	s_delay_alu instid0(VALU_DEP_3) | instskip(SKIP_3) | instid1(VALU_DEP_2)
	v_add_co_ci_u32_e32 v22, vcc_lo, s7, v22, vcc_lo
	global_load_b32 v7, v[21:22], off
	v_lshlrev_b64 v[21:22], 3, v[16:17]
	v_add_nc_u32_e32 v16, 0x100, v16
	v_add_co_u32 v97, vcc_lo, s8, v21
	s_delay_alu instid0(VALU_DEP_3) | instskip(SKIP_3) | instid1(VALU_DEP_1)
	v_add_co_ci_u32_e32 v98, vcc_lo, s9, v22, vcc_lo
	global_load_b128 v[21:24], v[97:98], off offset:16
	s_waitcnt vmcnt(1)
	v_subrev_nc_u32_e32 v7, s12, v7
	v_dual_mov_b32 v26, v17 :: v_dual_lshlrev_b32 v25, 3, v7
	s_delay_alu instid0(VALU_DEP_1) | instskip(NEXT) | instid1(VALU_DEP_1)
	v_lshlrev_b64 v[25:26], 3, v[25:26]
	v_add_co_u32 v89, vcc_lo, s10, v25
	s_delay_alu instid0(VALU_DEP_2)
	v_add_co_ci_u32_e32 v90, vcc_lo, s11, v26, vcc_lo
	v_cmp_ge_i32_e32 vcc_lo, v18, v20
	global_load_b128 v[25:28], v[97:98], off
	global_load_b128 v[29:32], v[89:90], off
	s_clause 0x3
	global_load_b128 v[33:36], v[97:98], off offset:32
	global_load_b128 v[37:40], v[97:98], off offset:48
	global_load_b128 v[41:44], v[97:98], off offset:64
	global_load_b128 v[45:48], v[97:98], off offset:80
	global_load_b128 v[49:52], v[89:90], off offset:16
	s_clause 0x3
	global_load_b128 v[53:56], v[97:98], off offset:96
	global_load_b128 v[57:60], v[97:98], off offset:112
	global_load_b128 v[61:64], v[97:98], off offset:144
	global_load_b128 v[65:68], v[97:98], off offset:128
	global_load_b128 v[69:72], v[89:90], off offset:32
	;; [unrolled: 6-line block ×3, first 2 shown]
	s_clause 0x1
	global_load_b128 v[93:96], v[97:98], off offset:224
	global_load_b128 v[97:100], v[97:98], off offset:240
	s_or_b32 s4, vcc_lo, s4
	s_waitcnt vmcnt(17)
	v_fma_f64 v[7:8], v[25:26], v[29:30], v[8:9]
	v_fma_f64 v[14:15], v[27:28], v[29:30], v[14:15]
	;; [unrolled: 1-line block ×4, first 2 shown]
	s_waitcnt vmcnt(16)
	s_delay_alu instid0(VALU_DEP_4) | instskip(NEXT) | instid1(VALU_DEP_4)
	v_fma_f64 v[7:8], v[33:34], v[31:32], v[7:8]
	v_fma_f64 v[14:15], v[35:36], v[31:32], v[14:15]
	s_waitcnt vmcnt(15)
	s_delay_alu instid0(VALU_DEP_4) | instskip(NEXT) | instid1(VALU_DEP_4)
	v_fma_f64 v[11:12], v[37:38], v[31:32], v[12:13]
	v_fma_f64 v[9:10], v[39:40], v[31:32], v[9:10]
	s_waitcnt vmcnt(12)
	s_delay_alu instid0(VALU_DEP_4) | instskip(NEXT) | instid1(VALU_DEP_4)
	v_fma_f64 v[7:8], v[41:42], v[49:50], v[7:8]
	v_fma_f64 v[13:14], v[43:44], v[49:50], v[14:15]
	s_delay_alu instid0(VALU_DEP_4) | instskip(NEXT) | instid1(VALU_DEP_4)
	v_fma_f64 v[11:12], v[45:46], v[49:50], v[11:12]
	v_fma_f64 v[9:10], v[47:48], v[49:50], v[9:10]
	s_waitcnt vmcnt(11)
	s_delay_alu instid0(VALU_DEP_4) | instskip(NEXT) | instid1(VALU_DEP_4)
	v_fma_f64 v[7:8], v[53:54], v[51:52], v[7:8]
	v_fma_f64 v[13:14], v[55:56], v[51:52], v[13:14]
	s_waitcnt vmcnt(10)
	s_delay_alu instid0(VALU_DEP_4) | instskip(NEXT) | instid1(VALU_DEP_4)
	v_fma_f64 v[11:12], v[57:58], v[51:52], v[11:12]
	v_fma_f64 v[9:10], v[59:60], v[51:52], v[9:10]
	s_waitcnt vmcnt(7)
	s_delay_alu instid0(VALU_DEP_4) | instskip(NEXT) | instid1(VALU_DEP_4)
	v_fma_f64 v[7:8], v[65:66], v[69:70], v[7:8]
	v_fma_f64 v[13:14], v[67:68], v[69:70], v[13:14]
	s_delay_alu instid0(VALU_DEP_4) | instskip(NEXT) | instid1(VALU_DEP_4)
	v_fma_f64 v[11:12], v[61:62], v[69:70], v[11:12]
	v_fma_f64 v[9:10], v[63:64], v[69:70], v[9:10]
	;; [unrolled: 15-line block ×3, first 2 shown]
	s_waitcnt vmcnt(1)
	s_delay_alu instid0(VALU_DEP_4) | instskip(NEXT) | instid1(VALU_DEP_4)
	v_fma_f64 v[8:9], v[93:94], v[91:92], v[7:8]
	v_fma_f64 v[14:15], v[95:96], v[91:92], v[13:14]
	s_waitcnt vmcnt(0)
	s_delay_alu instid0(VALU_DEP_4) | instskip(NEXT) | instid1(VALU_DEP_4)
	v_fma_f64 v[12:13], v[97:98], v[91:92], v[11:12]
	v_fma_f64 v[10:11], v[99:100], v[91:92], v[21:22]
	s_and_not1_b32 exec_lo, exec_lo, s4
	s_cbranch_execnz .LBB68_9
; %bb.10:
	s_or_b32 exec_lo, exec_lo, s4
.LBB68_11:
	s_delay_alu instid0(SALU_CYCLE_1)
	s_or_b32 exec_lo, exec_lo, s3
	s_cbranch_execz .LBB68_13
	s_branch .LBB68_18
.LBB68_12:
                                        ; implicit-def: $vgpr8_vgpr9
                                        ; implicit-def: $vgpr10_vgpr11
                                        ; implicit-def: $vgpr12_vgpr13
                                        ; implicit-def: $vgpr14_vgpr15
.LBB68_13:
	v_mov_b32_e32 v8, 0
	v_mov_b32_e32 v9, 0
	s_delay_alu instid0(VALU_DEP_1)
	v_dual_mov_b32 v11, v9 :: v_dual_mov_b32 v10, v8
	v_dual_mov_b32 v13, v9 :: v_dual_mov_b32 v12, v8
	;; [unrolled: 1-line block ×3, first 2 shown]
	s_and_saveexec_b32 s3, s2
	s_cbranch_execz .LBB68_17
; %bb.14:
	v_dual_mov_b32 v8, 0 :: v_dual_mov_b32 v17, 0
	v_dual_mov_b32 v9, 0 :: v_dual_lshlrev_b32 v16, 5, v6
	s_mov_b32 s2, 0
	s_delay_alu instid0(VALU_DEP_1)
	v_dual_mov_b32 v11, v9 :: v_dual_mov_b32 v10, v8
	v_dual_mov_b32 v13, v9 :: v_dual_mov_b32 v12, v8
	;; [unrolled: 1-line block ×3, first 2 shown]
.LBB68_15:                              ; =>This Inner Loop Header: Depth=1
	v_ashrrev_i32_e32 v7, 31, v6
	s_delay_alu instid0(VALU_DEP_1) | instskip(SKIP_1) | instid1(VALU_DEP_2)
	v_lshlrev_b64 v[18:19], 2, v[6:7]
	v_add_nc_u32_e32 v6, 8, v6
	v_add_co_u32 v18, vcc_lo, s6, v18
	s_delay_alu instid0(VALU_DEP_3) | instskip(SKIP_3) | instid1(VALU_DEP_2)
	v_add_co_ci_u32_e32 v19, vcc_lo, s7, v19, vcc_lo
	global_load_b32 v7, v[18:19], off
	v_lshlrev_b64 v[18:19], 3, v[16:17]
	v_add_nc_u32_e32 v16, 0x100, v16
	v_add_co_u32 v18, vcc_lo, s8, v18
	s_delay_alu instid0(VALU_DEP_3)
	v_add_co_ci_u32_e32 v19, vcc_lo, s9, v19, vcc_lo
	s_clause 0x3
	global_load_b128 v[21:24], v[18:19], off
	global_load_b128 v[25:28], v[18:19], off offset:64
	global_load_b128 v[29:32], v[18:19], off offset:128
	;; [unrolled: 1-line block ×3, first 2 shown]
	s_waitcnt vmcnt(4)
	v_subrev_nc_u32_e32 v7, s12, v7
	s_delay_alu instid0(VALU_DEP_1) | instskip(NEXT) | instid1(VALU_DEP_1)
	v_dual_mov_b32 v38, v17 :: v_dual_lshlrev_b32 v37, 3, v7
	v_lshlrev_b64 v[37:38], 3, v[37:38]
	s_delay_alu instid0(VALU_DEP_1) | instskip(NEXT) | instid1(VALU_DEP_2)
	v_add_co_u32 v97, vcc_lo, s10, v37
	v_add_co_ci_u32_e32 v98, vcc_lo, s11, v38, vcc_lo
	v_cmp_ge_i32_e32 vcc_lo, v6, v20
	global_load_b128 v[37:40], v[97:98], off
	s_clause 0x3
	global_load_b128 v[41:44], v[18:19], off offset:16
	global_load_b128 v[45:48], v[18:19], off offset:80
	;; [unrolled: 1-line block ×5, first 2 shown]
	s_clause 0x5
	global_load_b128 v[61:64], v[18:19], off offset:48
	global_load_b128 v[65:68], v[18:19], off offset:32
	;; [unrolled: 1-line block ×7, first 2 shown]
	s_clause 0x1
	global_load_b128 v[89:92], v[18:19], off offset:176
	global_load_b128 v[93:96], v[18:19], off offset:240
	s_or_b32 s2, vcc_lo, s2
	s_waitcnt vmcnt(14)
	v_fma_f64 v[7:8], v[21:22], v[37:38], v[8:9]
	v_fma_f64 v[14:15], v[25:26], v[37:38], v[14:15]
	;; [unrolled: 1-line block ×4, first 2 shown]
	s_delay_alu instid0(VALU_DEP_4)
	v_fma_f64 v[7:8], v[23:24], v[39:40], v[7:8]
	global_load_b128 v[21:24], v[97:98], off offset:48
	v_fma_f64 v[14:15], v[27:28], v[39:40], v[14:15]
	v_fma_f64 v[11:12], v[31:32], v[39:40], v[12:13]
	;; [unrolled: 1-line block ×3, first 2 shown]
	s_waitcnt vmcnt(10)
	v_fma_f64 v[7:8], v[41:42], v[57:58], v[7:8]
	s_delay_alu instid0(VALU_DEP_4) | instskip(NEXT) | instid1(VALU_DEP_4)
	v_fma_f64 v[13:14], v[45:46], v[57:58], v[14:15]
	v_fma_f64 v[11:12], v[49:50], v[57:58], v[11:12]
	s_delay_alu instid0(VALU_DEP_4) | instskip(NEXT) | instid1(VALU_DEP_4)
	v_fma_f64 v[9:10], v[53:54], v[57:58], v[9:10]
	;; [unrolled: 3-line block ×3, first 2 shown]
	v_fma_f64 v[11:12], v[51:52], v[59:60], v[11:12]
	s_delay_alu instid0(VALU_DEP_4) | instskip(SKIP_1) | instid1(VALU_DEP_4)
	v_fma_f64 v[9:10], v[55:56], v[59:60], v[9:10]
	s_waitcnt vmcnt(3)
	v_fma_f64 v[7:8], v[65:66], v[85:86], v[7:8]
	s_delay_alu instid0(VALU_DEP_4) | instskip(NEXT) | instid1(VALU_DEP_4)
	v_fma_f64 v[13:14], v[73:74], v[85:86], v[13:14]
	v_fma_f64 v[11:12], v[81:82], v[85:86], v[11:12]
	s_delay_alu instid0(VALU_DEP_4) | instskip(NEXT) | instid1(VALU_DEP_4)
	v_fma_f64 v[9:10], v[77:78], v[85:86], v[9:10]
	;; [unrolled: 3-line block ×3, first 2 shown]
	v_fma_f64 v[11:12], v[83:84], v[87:88], v[11:12]
	s_delay_alu instid0(VALU_DEP_4) | instskip(SKIP_1) | instid1(VALU_DEP_4)
	v_fma_f64 v[9:10], v[79:80], v[87:88], v[9:10]
	s_waitcnt vmcnt(0)
	v_fma_f64 v[7:8], v[61:62], v[21:22], v[7:8]
	s_delay_alu instid0(VALU_DEP_4) | instskip(NEXT) | instid1(VALU_DEP_4)
	v_fma_f64 v[13:14], v[69:70], v[21:22], v[13:14]
	v_fma_f64 v[11:12], v[89:90], v[21:22], v[11:12]
	s_delay_alu instid0(VALU_DEP_4) | instskip(NEXT) | instid1(VALU_DEP_4)
	v_fma_f64 v[18:19], v[93:94], v[21:22], v[9:10]
	;; [unrolled: 3-line block ×3, first 2 shown]
	v_fma_f64 v[12:13], v[91:92], v[23:24], v[11:12]
	s_delay_alu instid0(VALU_DEP_4)
	v_fma_f64 v[10:11], v[95:96], v[23:24], v[18:19]
	s_and_not1_b32 exec_lo, exec_lo, s2
	s_cbranch_execnz .LBB68_15
; %bb.16:
	s_or_b32 exec_lo, exec_lo, s2
.LBB68_17:
	s_delay_alu instid0(SALU_CYCLE_1)
	s_or_b32 exec_lo, exec_lo, s3
.LBB68_18:
	v_mbcnt_lo_u32_b32 v22, -1, 0
	s_delay_alu instid0(VALU_DEP_1) | instskip(NEXT) | instid1(VALU_DEP_1)
	v_xor_b32_e32 v6, 4, v22
	v_cmp_gt_i32_e32 vcc_lo, 32, v6
	v_cndmask_b32_e32 v6, v22, v6, vcc_lo
	s_delay_alu instid0(VALU_DEP_1)
	v_lshlrev_b32_e32 v21, 2, v6
	ds_bpermute_b32 v6, v21, v8
	ds_bpermute_b32 v7, v21, v9
	;; [unrolled: 1-line block ×8, first 2 shown]
	s_waitcnt lgkmcnt(6)
	v_add_f64 v[6:7], v[8:9], v[6:7]
	s_waitcnt lgkmcnt(4)
	v_add_f64 v[8:9], v[14:15], v[16:17]
	;; [unrolled: 2-line block ×4, first 2 shown]
	v_xor_b32_e32 v10, 2, v22
	s_delay_alu instid0(VALU_DEP_1) | instskip(SKIP_1) | instid1(VALU_DEP_1)
	v_cmp_gt_i32_e32 vcc_lo, 32, v10
	v_cndmask_b32_e32 v10, v22, v10, vcc_lo
	v_lshlrev_b32_e32 v21, 2, v10
	ds_bpermute_b32 v10, v21, v6
	ds_bpermute_b32 v11, v21, v7
	ds_bpermute_b32 v16, v21, v8
	ds_bpermute_b32 v17, v21, v9
	ds_bpermute_b32 v18, v21, v12
	ds_bpermute_b32 v19, v21, v13
	ds_bpermute_b32 v20, v21, v14
	ds_bpermute_b32 v21, v21, v15
	s_waitcnt lgkmcnt(6)
	v_add_f64 v[10:11], v[6:7], v[10:11]
	s_waitcnt lgkmcnt(4)
	v_add_f64 v[8:9], v[8:9], v[16:17]
	;; [unrolled: 2-line block ×3, first 2 shown]
	v_xor_b32_e32 v12, 1, v22
	s_waitcnt lgkmcnt(0)
	v_add_f64 v[14:15], v[14:15], v[20:21]
	s_delay_alu instid0(VALU_DEP_2) | instskip(SKIP_2) | instid1(VALU_DEP_2)
	v_cmp_gt_i32_e32 vcc_lo, 32, v12
	v_cndmask_b32_e32 v12, v22, v12, vcc_lo
	v_cmp_eq_u32_e32 vcc_lo, 7, v0
	v_lshlrev_b32_e32 v17, 2, v12
	ds_bpermute_b32 v12, v17, v10
	ds_bpermute_b32 v13, v17, v11
	ds_bpermute_b32 v20, v17, v8
	ds_bpermute_b32 v21, v17, v9
	ds_bpermute_b32 v18, v17, v6
	ds_bpermute_b32 v19, v17, v7
	ds_bpermute_b32 v16, v17, v14
	ds_bpermute_b32 v17, v17, v15
	s_and_b32 exec_lo, exec_lo, vcc_lo
	s_cbranch_execz .LBB68_23
; %bb.19:
	s_waitcnt lgkmcnt(6)
	v_add_f64 v[12:13], v[10:11], v[12:13]
	s_waitcnt lgkmcnt(4)
	v_add_f64 v[10:11], v[8:9], v[20:21]
	;; [unrolled: 2-line block ×4, first 2 shown]
	s_load_b64 s[0:1], s[0:1], 0x38
	s_mov_b32 s2, exec_lo
	v_cmpx_eq_f64_e32 0, v[3:4]
	s_xor_b32 s2, exec_lo, s2
	s_cbranch_execz .LBB68_21
; %bb.20:
	v_mul_f64 v[12:13], v[1:2], v[12:13]
	v_mul_f64 v[14:15], v[1:2], v[10:11]
	;; [unrolled: 1-line block ×4, first 2 shown]
	v_lshlrev_b32_e32 v0, 2, v5
                                        ; implicit-def: $vgpr5
                                        ; implicit-def: $vgpr3_vgpr4
                                        ; implicit-def: $vgpr6_vgpr7
	s_delay_alu instid0(VALU_DEP_1) | instskip(NEXT) | instid1(VALU_DEP_1)
	v_ashrrev_i32_e32 v1, 31, v0
	v_lshlrev_b64 v[0:1], 3, v[0:1]
	s_waitcnt lgkmcnt(0)
	s_delay_alu instid0(VALU_DEP_1) | instskip(NEXT) | instid1(VALU_DEP_2)
	v_add_co_u32 v0, vcc_lo, s0, v0
	v_add_co_ci_u32_e32 v1, vcc_lo, s1, v1, vcc_lo
	s_clause 0x1
	global_store_b128 v[0:1], v[12:15], off
	global_store_b128 v[0:1], v[8:11], off offset:16
                                        ; implicit-def: $vgpr1_vgpr2
                                        ; implicit-def: $vgpr12_vgpr13
                                        ; implicit-def: $vgpr10_vgpr11
                                        ; implicit-def: $vgpr8_vgpr9
.LBB68_21:
	s_and_not1_saveexec_b32 s2, s2
	s_cbranch_execz .LBB68_23
; %bb.22:
	v_lshlrev_b32_e32 v14, 2, v5
	v_mul_f64 v[12:13], v[1:2], v[12:13]
	v_mul_f64 v[10:11], v[1:2], v[10:11]
	;; [unrolled: 1-line block ×4, first 2 shown]
	v_ashrrev_i32_e32 v15, 31, v14
	s_delay_alu instid0(VALU_DEP_1) | instskip(SKIP_1) | instid1(VALU_DEP_1)
	v_lshlrev_b64 v[14:15], 3, v[14:15]
	s_waitcnt lgkmcnt(0)
	v_add_co_u32 v22, vcc_lo, s0, v14
	s_delay_alu instid0(VALU_DEP_2)
	v_add_co_ci_u32_e32 v23, vcc_lo, s1, v15, vcc_lo
	s_clause 0x1
	global_load_b128 v[14:17], v[22:23], off
	global_load_b128 v[18:21], v[22:23], off offset:16
	s_waitcnt vmcnt(1)
	v_fma_f64 v[5:6], v[3:4], v[14:15], v[12:13]
	v_fma_f64 v[7:8], v[3:4], v[16:17], v[10:11]
	s_waitcnt vmcnt(0)
	v_fma_f64 v[0:1], v[3:4], v[18:19], v[24:25]
	v_fma_f64 v[2:3], v[3:4], v[20:21], v[26:27]
	s_clause 0x1
	global_store_b128 v[22:23], v[5:8], off
	global_store_b128 v[22:23], v[0:3], off offset:16
.LBB68_23:
	s_nop 0
	s_sendmsg sendmsg(MSG_DEALLOC_VGPRS)
	s_endpgm
	.section	.rodata,"a",@progbits
	.p2align	6, 0x0
	.amdhsa_kernel _ZN9rocsparseL19gebsrmvn_4xn_kernelILj128ELj8ELj8EdEEvi20rocsparse_direction_NS_24const_host_device_scalarIT2_EEPKiS6_PKS3_S8_S4_PS3_21rocsparse_index_base_b
		.amdhsa_group_segment_fixed_size 0
		.amdhsa_private_segment_fixed_size 0
		.amdhsa_kernarg_size 72
		.amdhsa_user_sgpr_count 15
		.amdhsa_user_sgpr_dispatch_ptr 0
		.amdhsa_user_sgpr_queue_ptr 0
		.amdhsa_user_sgpr_kernarg_segment_ptr 1
		.amdhsa_user_sgpr_dispatch_id 0
		.amdhsa_user_sgpr_private_segment_size 0
		.amdhsa_wavefront_size32 1
		.amdhsa_uses_dynamic_stack 0
		.amdhsa_enable_private_segment 0
		.amdhsa_system_sgpr_workgroup_id_x 1
		.amdhsa_system_sgpr_workgroup_id_y 0
		.amdhsa_system_sgpr_workgroup_id_z 0
		.amdhsa_system_sgpr_workgroup_info 0
		.amdhsa_system_vgpr_workitem_id 0
		.amdhsa_next_free_vgpr 101
		.amdhsa_next_free_sgpr 16
		.amdhsa_reserve_vcc 1
		.amdhsa_float_round_mode_32 0
		.amdhsa_float_round_mode_16_64 0
		.amdhsa_float_denorm_mode_32 3
		.amdhsa_float_denorm_mode_16_64 3
		.amdhsa_dx10_clamp 1
		.amdhsa_ieee_mode 1
		.amdhsa_fp16_overflow 0
		.amdhsa_workgroup_processor_mode 1
		.amdhsa_memory_ordered 1
		.amdhsa_forward_progress 0
		.amdhsa_shared_vgpr_count 0
		.amdhsa_exception_fp_ieee_invalid_op 0
		.amdhsa_exception_fp_denorm_src 0
		.amdhsa_exception_fp_ieee_div_zero 0
		.amdhsa_exception_fp_ieee_overflow 0
		.amdhsa_exception_fp_ieee_underflow 0
		.amdhsa_exception_fp_ieee_inexact 0
		.amdhsa_exception_int_div_zero 0
	.end_amdhsa_kernel
	.section	.text._ZN9rocsparseL19gebsrmvn_4xn_kernelILj128ELj8ELj8EdEEvi20rocsparse_direction_NS_24const_host_device_scalarIT2_EEPKiS6_PKS3_S8_S4_PS3_21rocsparse_index_base_b,"axG",@progbits,_ZN9rocsparseL19gebsrmvn_4xn_kernelILj128ELj8ELj8EdEEvi20rocsparse_direction_NS_24const_host_device_scalarIT2_EEPKiS6_PKS3_S8_S4_PS3_21rocsparse_index_base_b,comdat
.Lfunc_end68:
	.size	_ZN9rocsparseL19gebsrmvn_4xn_kernelILj128ELj8ELj8EdEEvi20rocsparse_direction_NS_24const_host_device_scalarIT2_EEPKiS6_PKS3_S8_S4_PS3_21rocsparse_index_base_b, .Lfunc_end68-_ZN9rocsparseL19gebsrmvn_4xn_kernelILj128ELj8ELj8EdEEvi20rocsparse_direction_NS_24const_host_device_scalarIT2_EEPKiS6_PKS3_S8_S4_PS3_21rocsparse_index_base_b
                                        ; -- End function
	.section	.AMDGPU.csdata,"",@progbits
; Kernel info:
; codeLenInByte = 2512
; NumSgprs: 18
; NumVgprs: 101
; ScratchSize: 0
; MemoryBound: 1
; FloatMode: 240
; IeeeMode: 1
; LDSByteSize: 0 bytes/workgroup (compile time only)
; SGPRBlocks: 2
; VGPRBlocks: 12
; NumSGPRsForWavesPerEU: 18
; NumVGPRsForWavesPerEU: 101
; Occupancy: 12
; WaveLimiterHint : 1
; COMPUTE_PGM_RSRC2:SCRATCH_EN: 0
; COMPUTE_PGM_RSRC2:USER_SGPR: 15
; COMPUTE_PGM_RSRC2:TRAP_HANDLER: 0
; COMPUTE_PGM_RSRC2:TGID_X_EN: 1
; COMPUTE_PGM_RSRC2:TGID_Y_EN: 0
; COMPUTE_PGM_RSRC2:TGID_Z_EN: 0
; COMPUTE_PGM_RSRC2:TIDIG_COMP_CNT: 0
	.section	.text._ZN9rocsparseL19gebsrmvn_4xn_kernelILj128ELj8ELj16EdEEvi20rocsparse_direction_NS_24const_host_device_scalarIT2_EEPKiS6_PKS3_S8_S4_PS3_21rocsparse_index_base_b,"axG",@progbits,_ZN9rocsparseL19gebsrmvn_4xn_kernelILj128ELj8ELj16EdEEvi20rocsparse_direction_NS_24const_host_device_scalarIT2_EEPKiS6_PKS3_S8_S4_PS3_21rocsparse_index_base_b,comdat
	.globl	_ZN9rocsparseL19gebsrmvn_4xn_kernelILj128ELj8ELj16EdEEvi20rocsparse_direction_NS_24const_host_device_scalarIT2_EEPKiS6_PKS3_S8_S4_PS3_21rocsparse_index_base_b ; -- Begin function _ZN9rocsparseL19gebsrmvn_4xn_kernelILj128ELj8ELj16EdEEvi20rocsparse_direction_NS_24const_host_device_scalarIT2_EEPKiS6_PKS3_S8_S4_PS3_21rocsparse_index_base_b
	.p2align	8
	.type	_ZN9rocsparseL19gebsrmvn_4xn_kernelILj128ELj8ELj16EdEEvi20rocsparse_direction_NS_24const_host_device_scalarIT2_EEPKiS6_PKS3_S8_S4_PS3_21rocsparse_index_base_b,@function
_ZN9rocsparseL19gebsrmvn_4xn_kernelILj128ELj8ELj16EdEEvi20rocsparse_direction_NS_24const_host_device_scalarIT2_EEPKiS6_PKS3_S8_S4_PS3_21rocsparse_index_base_b: ; @_ZN9rocsparseL19gebsrmvn_4xn_kernelILj128ELj8ELj16EdEEvi20rocsparse_direction_NS_24const_host_device_scalarIT2_EEPKiS6_PKS3_S8_S4_PS3_21rocsparse_index_base_b
; %bb.0:
	s_clause 0x2
	s_load_b64 s[12:13], s[0:1], 0x40
	s_load_b64 s[4:5], s[0:1], 0x8
	;; [unrolled: 1-line block ×3, first 2 shown]
	s_waitcnt lgkmcnt(0)
	s_bitcmp1_b32 s13, 0
	v_dual_mov_b32 v1, s4 :: v_dual_mov_b32 v2, s5
	s_cselect_b32 s6, -1, 0
	s_delay_alu instid0(SALU_CYCLE_1)
	s_and_b32 vcc_lo, exec_lo, s6
	s_xor_b32 s6, s6, -1
	s_cbranch_vccnz .LBB69_2
; %bb.1:
	v_dual_mov_b32 v1, s4 :: v_dual_mov_b32 v2, s5
	flat_load_b64 v[1:2], v[1:2]
.LBB69_2:
	v_dual_mov_b32 v4, s3 :: v_dual_mov_b32 v3, s2
	s_and_not1_b32 vcc_lo, exec_lo, s6
	s_cbranch_vccnz .LBB69_4
; %bb.3:
	v_dual_mov_b32 v4, s3 :: v_dual_mov_b32 v3, s2
	flat_load_b64 v[3:4], v[3:4]
.LBB69_4:
	s_waitcnt vmcnt(0) lgkmcnt(0)
	v_cmp_neq_f64_e32 vcc_lo, 0, v[1:2]
	v_cmp_neq_f64_e64 s2, 1.0, v[3:4]
	s_delay_alu instid0(VALU_DEP_1) | instskip(NEXT) | instid1(SALU_CYCLE_1)
	s_or_b32 s2, vcc_lo, s2
	s_and_saveexec_b32 s3, s2
	s_cbranch_execz .LBB69_23
; %bb.5:
	s_load_b64 s[2:3], s[0:1], 0x0
	v_lshrrev_b32_e32 v5, 4, v0
	s_delay_alu instid0(VALU_DEP_1) | instskip(SKIP_1) | instid1(VALU_DEP_1)
	v_lshl_or_b32 v5, s15, 3, v5
	s_waitcnt lgkmcnt(0)
	v_cmp_gt_i32_e32 vcc_lo, s2, v5
	s_and_b32 exec_lo, exec_lo, vcc_lo
	s_cbranch_execz .LBB69_23
; %bb.6:
	s_load_b256 s[4:11], s[0:1], 0x10
	v_ashrrev_i32_e32 v6, 31, v5
	v_and_b32_e32 v0, 15, v0
	s_cmp_lg_u32 s3, 0
	s_delay_alu instid0(VALU_DEP_2) | instskip(SKIP_1) | instid1(VALU_DEP_1)
	v_lshlrev_b64 v[6:7], 2, v[5:6]
	s_waitcnt lgkmcnt(0)
	v_add_co_u32 v6, vcc_lo, s4, v6
	s_delay_alu instid0(VALU_DEP_2) | instskip(SKIP_4) | instid1(VALU_DEP_2)
	v_add_co_ci_u32_e32 v7, vcc_lo, s5, v7, vcc_lo
	global_load_b64 v[6:7], v[6:7], off
	s_waitcnt vmcnt(0)
	v_subrev_nc_u32_e32 v6, s12, v6
	v_subrev_nc_u32_e32 v20, s12, v7
	v_add_nc_u32_e32 v8, v6, v0
	s_delay_alu instid0(VALU_DEP_1)
	v_cmp_lt_i32_e64 s2, v8, v20
	s_cbranch_scc0 .LBB69_12
; %bb.7:
	v_mov_b32_e32 v6, 0
	v_mov_b32_e32 v7, 0
	s_delay_alu instid0(VALU_DEP_1)
	v_dual_mov_b32 v11, v7 :: v_dual_mov_b32 v10, v6
	v_dual_mov_b32 v13, v7 :: v_dual_mov_b32 v12, v6
	;; [unrolled: 1-line block ×3, first 2 shown]
	s_and_saveexec_b32 s3, s2
	s_cbranch_execz .LBB69_11
; %bb.8:
	v_dual_mov_b32 v6, 0 :: v_dual_mov_b32 v17, 0
	v_dual_mov_b32 v7, 0 :: v_dual_lshlrev_b32 v16, 5, v8
	v_mov_b32_e32 v18, v8
	s_mov_b32 s4, 0
	s_delay_alu instid0(VALU_DEP_2)
	v_dual_mov_b32 v11, v7 :: v_dual_mov_b32 v10, v6
	v_dual_mov_b32 v13, v7 :: v_dual_mov_b32 v12, v6
	;; [unrolled: 1-line block ×3, first 2 shown]
.LBB69_9:                               ; =>This Inner Loop Header: Depth=1
	v_ashrrev_i32_e32 v19, 31, v18
	s_delay_alu instid0(VALU_DEP_1) | instskip(SKIP_1) | instid1(VALU_DEP_2)
	v_lshlrev_b64 v[21:22], 2, v[18:19]
	v_add_nc_u32_e32 v18, 16, v18
	v_add_co_u32 v21, vcc_lo, s6, v21
	s_delay_alu instid0(VALU_DEP_3) | instskip(SKIP_3) | instid1(VALU_DEP_2)
	v_add_co_ci_u32_e32 v22, vcc_lo, s7, v22, vcc_lo
	global_load_b32 v9, v[21:22], off
	v_lshlrev_b64 v[21:22], 3, v[16:17]
	v_add_nc_u32_e32 v16, 0x200, v16
	v_add_co_u32 v97, vcc_lo, s8, v21
	s_delay_alu instid0(VALU_DEP_3) | instskip(SKIP_3) | instid1(VALU_DEP_1)
	v_add_co_ci_u32_e32 v98, vcc_lo, s9, v22, vcc_lo
	global_load_b128 v[21:24], v[97:98], off offset:16
	s_waitcnt vmcnt(1)
	v_subrev_nc_u32_e32 v9, s12, v9
	v_dual_mov_b32 v26, v17 :: v_dual_lshlrev_b32 v25, 3, v9
	s_delay_alu instid0(VALU_DEP_1) | instskip(NEXT) | instid1(VALU_DEP_1)
	v_lshlrev_b64 v[25:26], 3, v[25:26]
	v_add_co_u32 v89, vcc_lo, s10, v25
	s_delay_alu instid0(VALU_DEP_2)
	v_add_co_ci_u32_e32 v90, vcc_lo, s11, v26, vcc_lo
	v_cmp_ge_i32_e32 vcc_lo, v18, v20
	global_load_b128 v[25:28], v[97:98], off
	global_load_b128 v[29:32], v[89:90], off
	s_clause 0x3
	global_load_b128 v[33:36], v[97:98], off offset:32
	global_load_b128 v[37:40], v[97:98], off offset:48
	global_load_b128 v[41:44], v[97:98], off offset:64
	global_load_b128 v[45:48], v[97:98], off offset:80
	global_load_b128 v[49:52], v[89:90], off offset:16
	s_clause 0x3
	global_load_b128 v[53:56], v[97:98], off offset:96
	global_load_b128 v[57:60], v[97:98], off offset:112
	global_load_b128 v[61:64], v[97:98], off offset:144
	global_load_b128 v[65:68], v[97:98], off offset:128
	global_load_b128 v[69:72], v[89:90], off offset:32
	;; [unrolled: 6-line block ×3, first 2 shown]
	s_clause 0x1
	global_load_b128 v[93:96], v[97:98], off offset:224
	global_load_b128 v[97:100], v[97:98], off offset:240
	s_or_b32 s4, vcc_lo, s4
	s_waitcnt vmcnt(17)
	v_fma_f64 v[6:7], v[25:26], v[29:30], v[6:7]
	v_fma_f64 v[14:15], v[27:28], v[29:30], v[14:15]
	;; [unrolled: 1-line block ×4, first 2 shown]
	s_waitcnt vmcnt(16)
	s_delay_alu instid0(VALU_DEP_4) | instskip(NEXT) | instid1(VALU_DEP_4)
	v_fma_f64 v[6:7], v[33:34], v[31:32], v[6:7]
	v_fma_f64 v[14:15], v[35:36], v[31:32], v[14:15]
	s_waitcnt vmcnt(15)
	s_delay_alu instid0(VALU_DEP_4) | instskip(NEXT) | instid1(VALU_DEP_4)
	v_fma_f64 v[11:12], v[37:38], v[31:32], v[12:13]
	v_fma_f64 v[9:10], v[39:40], v[31:32], v[9:10]
	s_waitcnt vmcnt(12)
	s_delay_alu instid0(VALU_DEP_4) | instskip(NEXT) | instid1(VALU_DEP_4)
	v_fma_f64 v[6:7], v[41:42], v[49:50], v[6:7]
	v_fma_f64 v[13:14], v[43:44], v[49:50], v[14:15]
	s_delay_alu instid0(VALU_DEP_4) | instskip(NEXT) | instid1(VALU_DEP_4)
	v_fma_f64 v[11:12], v[45:46], v[49:50], v[11:12]
	v_fma_f64 v[9:10], v[47:48], v[49:50], v[9:10]
	s_waitcnt vmcnt(11)
	s_delay_alu instid0(VALU_DEP_4) | instskip(NEXT) | instid1(VALU_DEP_4)
	v_fma_f64 v[6:7], v[53:54], v[51:52], v[6:7]
	v_fma_f64 v[13:14], v[55:56], v[51:52], v[13:14]
	s_waitcnt vmcnt(10)
	s_delay_alu instid0(VALU_DEP_4) | instskip(NEXT) | instid1(VALU_DEP_4)
	v_fma_f64 v[11:12], v[57:58], v[51:52], v[11:12]
	v_fma_f64 v[9:10], v[59:60], v[51:52], v[9:10]
	s_waitcnt vmcnt(7)
	s_delay_alu instid0(VALU_DEP_4) | instskip(NEXT) | instid1(VALU_DEP_4)
	v_fma_f64 v[6:7], v[65:66], v[69:70], v[6:7]
	v_fma_f64 v[13:14], v[67:68], v[69:70], v[13:14]
	s_delay_alu instid0(VALU_DEP_4) | instskip(NEXT) | instid1(VALU_DEP_4)
	v_fma_f64 v[11:12], v[61:62], v[69:70], v[11:12]
	v_fma_f64 v[9:10], v[63:64], v[69:70], v[9:10]
	s_waitcnt vmcnt(6)
	s_delay_alu instid0(VALU_DEP_4) | instskip(NEXT) | instid1(VALU_DEP_4)
	v_fma_f64 v[6:7], v[73:74], v[71:72], v[6:7]
	v_fma_f64 v[13:14], v[75:76], v[71:72], v[13:14]
	s_waitcnt vmcnt(5)
	s_delay_alu instid0(VALU_DEP_4) | instskip(NEXT) | instid1(VALU_DEP_4)
	v_fma_f64 v[11:12], v[77:78], v[71:72], v[11:12]
	v_fma_f64 v[9:10], v[79:80], v[71:72], v[9:10]
	s_waitcnt vmcnt(2)
	s_delay_alu instid0(VALU_DEP_4) | instskip(NEXT) | instid1(VALU_DEP_4)
	v_fma_f64 v[6:7], v[81:82], v[89:90], v[6:7]
	v_fma_f64 v[13:14], v[83:84], v[89:90], v[13:14]
	s_delay_alu instid0(VALU_DEP_4) | instskip(NEXT) | instid1(VALU_DEP_4)
	v_fma_f64 v[11:12], v[85:86], v[89:90], v[11:12]
	v_fma_f64 v[9:10], v[87:88], v[89:90], v[9:10]
	s_waitcnt vmcnt(1)
	s_delay_alu instid0(VALU_DEP_4) | instskip(NEXT) | instid1(VALU_DEP_4)
	v_fma_f64 v[6:7], v[93:94], v[91:92], v[6:7]
	v_fma_f64 v[14:15], v[95:96], v[91:92], v[13:14]
	s_waitcnt vmcnt(0)
	s_delay_alu instid0(VALU_DEP_4) | instskip(NEXT) | instid1(VALU_DEP_4)
	v_fma_f64 v[12:13], v[97:98], v[91:92], v[11:12]
	v_fma_f64 v[10:11], v[99:100], v[91:92], v[9:10]
	s_and_not1_b32 exec_lo, exec_lo, s4
	s_cbranch_execnz .LBB69_9
; %bb.10:
	s_or_b32 exec_lo, exec_lo, s4
.LBB69_11:
	s_delay_alu instid0(SALU_CYCLE_1)
	s_or_b32 exec_lo, exec_lo, s3
	s_cbranch_execz .LBB69_13
	s_branch .LBB69_18
.LBB69_12:
                                        ; implicit-def: $vgpr6_vgpr7
                                        ; implicit-def: $vgpr10_vgpr11
                                        ; implicit-def: $vgpr12_vgpr13
                                        ; implicit-def: $vgpr14_vgpr15
.LBB69_13:
	v_mov_b32_e32 v6, 0
	v_mov_b32_e32 v7, 0
	s_delay_alu instid0(VALU_DEP_1)
	v_dual_mov_b32 v11, v7 :: v_dual_mov_b32 v10, v6
	v_dual_mov_b32 v13, v7 :: v_dual_mov_b32 v12, v6
	;; [unrolled: 1-line block ×3, first 2 shown]
	s_and_saveexec_b32 s3, s2
	s_cbranch_execz .LBB69_17
; %bb.14:
	v_dual_mov_b32 v6, 0 :: v_dual_mov_b32 v17, 0
	v_dual_mov_b32 v7, 0 :: v_dual_lshlrev_b32 v16, 5, v8
	s_mov_b32 s2, 0
	s_delay_alu instid0(VALU_DEP_1)
	v_dual_mov_b32 v11, v7 :: v_dual_mov_b32 v10, v6
	v_dual_mov_b32 v13, v7 :: v_dual_mov_b32 v12, v6
	;; [unrolled: 1-line block ×3, first 2 shown]
.LBB69_15:                              ; =>This Inner Loop Header: Depth=1
	v_ashrrev_i32_e32 v9, 31, v8
	s_delay_alu instid0(VALU_DEP_1) | instskip(SKIP_1) | instid1(VALU_DEP_2)
	v_lshlrev_b64 v[18:19], 2, v[8:9]
	v_add_nc_u32_e32 v8, 16, v8
	v_add_co_u32 v18, vcc_lo, s6, v18
	s_delay_alu instid0(VALU_DEP_3) | instskip(SKIP_3) | instid1(VALU_DEP_2)
	v_add_co_ci_u32_e32 v19, vcc_lo, s7, v19, vcc_lo
	global_load_b32 v9, v[18:19], off
	v_lshlrev_b64 v[18:19], 3, v[16:17]
	v_add_nc_u32_e32 v16, 0x200, v16
	v_add_co_u32 v18, vcc_lo, s8, v18
	s_delay_alu instid0(VALU_DEP_3)
	v_add_co_ci_u32_e32 v19, vcc_lo, s9, v19, vcc_lo
	s_clause 0x3
	global_load_b128 v[21:24], v[18:19], off
	global_load_b128 v[25:28], v[18:19], off offset:64
	global_load_b128 v[29:32], v[18:19], off offset:128
	;; [unrolled: 1-line block ×3, first 2 shown]
	s_waitcnt vmcnt(4)
	v_subrev_nc_u32_e32 v9, s12, v9
	s_delay_alu instid0(VALU_DEP_1) | instskip(NEXT) | instid1(VALU_DEP_1)
	v_dual_mov_b32 v38, v17 :: v_dual_lshlrev_b32 v37, 3, v9
	v_lshlrev_b64 v[37:38], 3, v[37:38]
	s_delay_alu instid0(VALU_DEP_1) | instskip(NEXT) | instid1(VALU_DEP_2)
	v_add_co_u32 v97, vcc_lo, s10, v37
	v_add_co_ci_u32_e32 v98, vcc_lo, s11, v38, vcc_lo
	v_cmp_ge_i32_e32 vcc_lo, v8, v20
	global_load_b128 v[37:40], v[97:98], off
	s_clause 0x3
	global_load_b128 v[41:44], v[18:19], off offset:16
	global_load_b128 v[45:48], v[18:19], off offset:80
	;; [unrolled: 1-line block ×5, first 2 shown]
	s_clause 0x5
	global_load_b128 v[61:64], v[18:19], off offset:48
	global_load_b128 v[65:68], v[18:19], off offset:32
	;; [unrolled: 1-line block ×7, first 2 shown]
	s_clause 0x1
	global_load_b128 v[89:92], v[18:19], off offset:176
	global_load_b128 v[93:96], v[18:19], off offset:240
	s_or_b32 s2, vcc_lo, s2
	s_waitcnt vmcnt(14)
	v_fma_f64 v[6:7], v[21:22], v[37:38], v[6:7]
	v_fma_f64 v[14:15], v[25:26], v[37:38], v[14:15]
	;; [unrolled: 1-line block ×4, first 2 shown]
	s_delay_alu instid0(VALU_DEP_4)
	v_fma_f64 v[6:7], v[23:24], v[39:40], v[6:7]
	global_load_b128 v[21:24], v[97:98], off offset:48
	v_fma_f64 v[14:15], v[27:28], v[39:40], v[14:15]
	v_fma_f64 v[11:12], v[31:32], v[39:40], v[12:13]
	;; [unrolled: 1-line block ×3, first 2 shown]
	s_waitcnt vmcnt(10)
	v_fma_f64 v[6:7], v[41:42], v[57:58], v[6:7]
	s_delay_alu instid0(VALU_DEP_4) | instskip(NEXT) | instid1(VALU_DEP_4)
	v_fma_f64 v[13:14], v[45:46], v[57:58], v[14:15]
	v_fma_f64 v[11:12], v[49:50], v[57:58], v[11:12]
	s_delay_alu instid0(VALU_DEP_4) | instskip(NEXT) | instid1(VALU_DEP_4)
	v_fma_f64 v[9:10], v[53:54], v[57:58], v[9:10]
	;; [unrolled: 3-line block ×3, first 2 shown]
	v_fma_f64 v[11:12], v[51:52], v[59:60], v[11:12]
	s_delay_alu instid0(VALU_DEP_4) | instskip(SKIP_1) | instid1(VALU_DEP_4)
	v_fma_f64 v[9:10], v[55:56], v[59:60], v[9:10]
	s_waitcnt vmcnt(3)
	v_fma_f64 v[6:7], v[65:66], v[85:86], v[6:7]
	s_delay_alu instid0(VALU_DEP_4) | instskip(NEXT) | instid1(VALU_DEP_4)
	v_fma_f64 v[13:14], v[73:74], v[85:86], v[13:14]
	v_fma_f64 v[11:12], v[81:82], v[85:86], v[11:12]
	s_delay_alu instid0(VALU_DEP_4) | instskip(NEXT) | instid1(VALU_DEP_4)
	v_fma_f64 v[9:10], v[77:78], v[85:86], v[9:10]
	;; [unrolled: 3-line block ×3, first 2 shown]
	v_fma_f64 v[11:12], v[83:84], v[87:88], v[11:12]
	s_delay_alu instid0(VALU_DEP_4) | instskip(SKIP_1) | instid1(VALU_DEP_4)
	v_fma_f64 v[9:10], v[79:80], v[87:88], v[9:10]
	s_waitcnt vmcnt(0)
	v_fma_f64 v[6:7], v[61:62], v[21:22], v[6:7]
	s_delay_alu instid0(VALU_DEP_4) | instskip(NEXT) | instid1(VALU_DEP_4)
	v_fma_f64 v[13:14], v[69:70], v[21:22], v[13:14]
	v_fma_f64 v[11:12], v[89:90], v[21:22], v[11:12]
	s_delay_alu instid0(VALU_DEP_4) | instskip(NEXT) | instid1(VALU_DEP_4)
	v_fma_f64 v[9:10], v[93:94], v[21:22], v[9:10]
	;; [unrolled: 3-line block ×3, first 2 shown]
	v_fma_f64 v[12:13], v[91:92], v[23:24], v[11:12]
	s_delay_alu instid0(VALU_DEP_4)
	v_fma_f64 v[10:11], v[95:96], v[23:24], v[9:10]
	s_and_not1_b32 exec_lo, exec_lo, s2
	s_cbranch_execnz .LBB69_15
; %bb.16:
	s_or_b32 exec_lo, exec_lo, s2
.LBB69_17:
	s_delay_alu instid0(SALU_CYCLE_1)
	s_or_b32 exec_lo, exec_lo, s3
.LBB69_18:
	v_mbcnt_lo_u32_b32 v22, -1, 0
	s_delay_alu instid0(VALU_DEP_1) | instskip(NEXT) | instid1(VALU_DEP_1)
	v_xor_b32_e32 v8, 8, v22
	v_cmp_gt_i32_e32 vcc_lo, 32, v8
	v_cndmask_b32_e32 v8, v22, v8, vcc_lo
	s_delay_alu instid0(VALU_DEP_1)
	v_lshlrev_b32_e32 v21, 2, v8
	ds_bpermute_b32 v8, v21, v6
	ds_bpermute_b32 v9, v21, v7
	;; [unrolled: 1-line block ×4, first 2 shown]
	s_waitcnt lgkmcnt(2)
	v_add_f64 v[6:7], v[6:7], v[8:9]
	s_waitcnt lgkmcnt(0)
	v_add_f64 v[8:9], v[14:15], v[16:17]
	v_xor_b32_e32 v14, 4, v22
	s_delay_alu instid0(VALU_DEP_1)
	v_cmp_gt_i32_e32 vcc_lo, 32, v14
	v_cndmask_b32_e32 v14, v22, v14, vcc_lo
	ds_bpermute_b32 v18, v21, v12
	ds_bpermute_b32 v19, v21, v13
	;; [unrolled: 1-line block ×4, first 2 shown]
	s_waitcnt lgkmcnt(2)
	v_add_f64 v[12:13], v[12:13], v[18:19]
	s_waitcnt lgkmcnt(0)
	v_add_f64 v[10:11], v[10:11], v[20:21]
	v_lshlrev_b32_e32 v21, 2, v14
	ds_bpermute_b32 v14, v21, v6
	ds_bpermute_b32 v15, v21, v7
	;; [unrolled: 1-line block ×4, first 2 shown]
	s_waitcnt lgkmcnt(2)
	v_add_f64 v[6:7], v[6:7], v[14:15]
	s_waitcnt lgkmcnt(0)
	v_add_f64 v[8:9], v[8:9], v[16:17]
	ds_bpermute_b32 v18, v21, v12
	ds_bpermute_b32 v19, v21, v13
	;; [unrolled: 1-line block ×4, first 2 shown]
	s_waitcnt lgkmcnt(2)
	v_add_f64 v[12:13], v[12:13], v[18:19]
	s_waitcnt lgkmcnt(0)
	v_add_f64 v[14:15], v[10:11], v[20:21]
	v_xor_b32_e32 v10, 2, v22
	s_delay_alu instid0(VALU_DEP_1) | instskip(SKIP_1) | instid1(VALU_DEP_1)
	v_cmp_gt_i32_e32 vcc_lo, 32, v10
	v_cndmask_b32_e32 v10, v22, v10, vcc_lo
	v_lshlrev_b32_e32 v21, 2, v10
	ds_bpermute_b32 v10, v21, v6
	ds_bpermute_b32 v11, v21, v7
	;; [unrolled: 1-line block ×4, first 2 shown]
	s_waitcnt lgkmcnt(2)
	v_add_f64 v[10:11], v[6:7], v[10:11]
	s_waitcnt lgkmcnt(0)
	v_add_f64 v[6:7], v[12:13], v[18:19]
	v_xor_b32_e32 v12, 1, v22
	s_delay_alu instid0(VALU_DEP_1)
	v_cmp_gt_i32_e32 vcc_lo, 32, v12
	v_cndmask_b32_e32 v12, v22, v12, vcc_lo
	ds_bpermute_b32 v16, v21, v8
	ds_bpermute_b32 v17, v21, v9
	;; [unrolled: 1-line block ×4, first 2 shown]
	v_cmp_eq_u32_e32 vcc_lo, 15, v0
	s_waitcnt lgkmcnt(2)
	v_add_f64 v[8:9], v[8:9], v[16:17]
	v_lshlrev_b32_e32 v17, 2, v12
	s_waitcnt lgkmcnt(0)
	v_add_f64 v[14:15], v[14:15], v[20:21]
	ds_bpermute_b32 v12, v17, v10
	ds_bpermute_b32 v13, v17, v11
	;; [unrolled: 1-line block ×8, first 2 shown]
	s_and_b32 exec_lo, exec_lo, vcc_lo
	s_cbranch_execz .LBB69_23
; %bb.19:
	s_waitcnt lgkmcnt(6)
	v_add_f64 v[12:13], v[10:11], v[12:13]
	s_waitcnt lgkmcnt(2)
	v_add_f64 v[10:11], v[8:9], v[20:21]
	v_add_f64 v[8:9], v[6:7], v[18:19]
	s_waitcnt lgkmcnt(0)
	v_add_f64 v[6:7], v[14:15], v[16:17]
	s_load_b64 s[0:1], s[0:1], 0x38
	s_mov_b32 s2, exec_lo
	v_cmpx_eq_f64_e32 0, v[3:4]
	s_xor_b32 s2, exec_lo, s2
	s_cbranch_execz .LBB69_21
; %bb.20:
	v_mul_f64 v[12:13], v[1:2], v[12:13]
	v_mul_f64 v[14:15], v[1:2], v[10:11]
	;; [unrolled: 1-line block ×4, first 2 shown]
	v_lshlrev_b32_e32 v0, 2, v5
                                        ; implicit-def: $vgpr5
                                        ; implicit-def: $vgpr3_vgpr4
                                        ; implicit-def: $vgpr6_vgpr7
	s_delay_alu instid0(VALU_DEP_1) | instskip(NEXT) | instid1(VALU_DEP_1)
	v_ashrrev_i32_e32 v1, 31, v0
	v_lshlrev_b64 v[0:1], 3, v[0:1]
	s_waitcnt lgkmcnt(0)
	s_delay_alu instid0(VALU_DEP_1) | instskip(NEXT) | instid1(VALU_DEP_2)
	v_add_co_u32 v0, vcc_lo, s0, v0
	v_add_co_ci_u32_e32 v1, vcc_lo, s1, v1, vcc_lo
	s_clause 0x1
	global_store_b128 v[0:1], v[12:15], off
	global_store_b128 v[0:1], v[8:11], off offset:16
                                        ; implicit-def: $vgpr1_vgpr2
                                        ; implicit-def: $vgpr12_vgpr13
                                        ; implicit-def: $vgpr10_vgpr11
                                        ; implicit-def: $vgpr8_vgpr9
.LBB69_21:
	s_and_not1_saveexec_b32 s2, s2
	s_cbranch_execz .LBB69_23
; %bb.22:
	v_lshlrev_b32_e32 v14, 2, v5
	v_mul_f64 v[12:13], v[1:2], v[12:13]
	v_mul_f64 v[10:11], v[1:2], v[10:11]
	;; [unrolled: 1-line block ×4, first 2 shown]
	v_ashrrev_i32_e32 v15, 31, v14
	s_delay_alu instid0(VALU_DEP_1) | instskip(SKIP_1) | instid1(VALU_DEP_1)
	v_lshlrev_b64 v[14:15], 3, v[14:15]
	s_waitcnt lgkmcnt(0)
	v_add_co_u32 v22, vcc_lo, s0, v14
	s_delay_alu instid0(VALU_DEP_2)
	v_add_co_ci_u32_e32 v23, vcc_lo, s1, v15, vcc_lo
	s_clause 0x1
	global_load_b128 v[14:17], v[22:23], off
	global_load_b128 v[18:21], v[22:23], off offset:16
	s_waitcnt vmcnt(1)
	v_fma_f64 v[5:6], v[3:4], v[14:15], v[12:13]
	v_fma_f64 v[7:8], v[3:4], v[16:17], v[10:11]
	s_waitcnt vmcnt(0)
	v_fma_f64 v[0:1], v[3:4], v[18:19], v[24:25]
	v_fma_f64 v[2:3], v[3:4], v[20:21], v[26:27]
	s_clause 0x1
	global_store_b128 v[22:23], v[5:8], off
	global_store_b128 v[22:23], v[0:3], off offset:16
.LBB69_23:
	s_nop 0
	s_sendmsg sendmsg(MSG_DEALLOC_VGPRS)
	s_endpgm
	.section	.rodata,"a",@progbits
	.p2align	6, 0x0
	.amdhsa_kernel _ZN9rocsparseL19gebsrmvn_4xn_kernelILj128ELj8ELj16EdEEvi20rocsparse_direction_NS_24const_host_device_scalarIT2_EEPKiS6_PKS3_S8_S4_PS3_21rocsparse_index_base_b
		.amdhsa_group_segment_fixed_size 0
		.amdhsa_private_segment_fixed_size 0
		.amdhsa_kernarg_size 72
		.amdhsa_user_sgpr_count 15
		.amdhsa_user_sgpr_dispatch_ptr 0
		.amdhsa_user_sgpr_queue_ptr 0
		.amdhsa_user_sgpr_kernarg_segment_ptr 1
		.amdhsa_user_sgpr_dispatch_id 0
		.amdhsa_user_sgpr_private_segment_size 0
		.amdhsa_wavefront_size32 1
		.amdhsa_uses_dynamic_stack 0
		.amdhsa_enable_private_segment 0
		.amdhsa_system_sgpr_workgroup_id_x 1
		.amdhsa_system_sgpr_workgroup_id_y 0
		.amdhsa_system_sgpr_workgroup_id_z 0
		.amdhsa_system_sgpr_workgroup_info 0
		.amdhsa_system_vgpr_workitem_id 0
		.amdhsa_next_free_vgpr 101
		.amdhsa_next_free_sgpr 16
		.amdhsa_reserve_vcc 1
		.amdhsa_float_round_mode_32 0
		.amdhsa_float_round_mode_16_64 0
		.amdhsa_float_denorm_mode_32 3
		.amdhsa_float_denorm_mode_16_64 3
		.amdhsa_dx10_clamp 1
		.amdhsa_ieee_mode 1
		.amdhsa_fp16_overflow 0
		.amdhsa_workgroup_processor_mode 1
		.amdhsa_memory_ordered 1
		.amdhsa_forward_progress 0
		.amdhsa_shared_vgpr_count 0
		.amdhsa_exception_fp_ieee_invalid_op 0
		.amdhsa_exception_fp_denorm_src 0
		.amdhsa_exception_fp_ieee_div_zero 0
		.amdhsa_exception_fp_ieee_overflow 0
		.amdhsa_exception_fp_ieee_underflow 0
		.amdhsa_exception_fp_ieee_inexact 0
		.amdhsa_exception_int_div_zero 0
	.end_amdhsa_kernel
	.section	.text._ZN9rocsparseL19gebsrmvn_4xn_kernelILj128ELj8ELj16EdEEvi20rocsparse_direction_NS_24const_host_device_scalarIT2_EEPKiS6_PKS3_S8_S4_PS3_21rocsparse_index_base_b,"axG",@progbits,_ZN9rocsparseL19gebsrmvn_4xn_kernelILj128ELj8ELj16EdEEvi20rocsparse_direction_NS_24const_host_device_scalarIT2_EEPKiS6_PKS3_S8_S4_PS3_21rocsparse_index_base_b,comdat
.Lfunc_end69:
	.size	_ZN9rocsparseL19gebsrmvn_4xn_kernelILj128ELj8ELj16EdEEvi20rocsparse_direction_NS_24const_host_device_scalarIT2_EEPKiS6_PKS3_S8_S4_PS3_21rocsparse_index_base_b, .Lfunc_end69-_ZN9rocsparseL19gebsrmvn_4xn_kernelILj128ELj8ELj16EdEEvi20rocsparse_direction_NS_24const_host_device_scalarIT2_EEPKiS6_PKS3_S8_S4_PS3_21rocsparse_index_base_b
                                        ; -- End function
	.section	.AMDGPU.csdata,"",@progbits
; Kernel info:
; codeLenInByte = 2640
; NumSgprs: 18
; NumVgprs: 101
; ScratchSize: 0
; MemoryBound: 1
; FloatMode: 240
; IeeeMode: 1
; LDSByteSize: 0 bytes/workgroup (compile time only)
; SGPRBlocks: 2
; VGPRBlocks: 12
; NumSGPRsForWavesPerEU: 18
; NumVGPRsForWavesPerEU: 101
; Occupancy: 12
; WaveLimiterHint : 1
; COMPUTE_PGM_RSRC2:SCRATCH_EN: 0
; COMPUTE_PGM_RSRC2:USER_SGPR: 15
; COMPUTE_PGM_RSRC2:TRAP_HANDLER: 0
; COMPUTE_PGM_RSRC2:TGID_X_EN: 1
; COMPUTE_PGM_RSRC2:TGID_Y_EN: 0
; COMPUTE_PGM_RSRC2:TGID_Z_EN: 0
; COMPUTE_PGM_RSRC2:TIDIG_COMP_CNT: 0
	.section	.text._ZN9rocsparseL19gebsrmvn_4xn_kernelILj128ELj8ELj32EdEEvi20rocsparse_direction_NS_24const_host_device_scalarIT2_EEPKiS6_PKS3_S8_S4_PS3_21rocsparse_index_base_b,"axG",@progbits,_ZN9rocsparseL19gebsrmvn_4xn_kernelILj128ELj8ELj32EdEEvi20rocsparse_direction_NS_24const_host_device_scalarIT2_EEPKiS6_PKS3_S8_S4_PS3_21rocsparse_index_base_b,comdat
	.globl	_ZN9rocsparseL19gebsrmvn_4xn_kernelILj128ELj8ELj32EdEEvi20rocsparse_direction_NS_24const_host_device_scalarIT2_EEPKiS6_PKS3_S8_S4_PS3_21rocsparse_index_base_b ; -- Begin function _ZN9rocsparseL19gebsrmvn_4xn_kernelILj128ELj8ELj32EdEEvi20rocsparse_direction_NS_24const_host_device_scalarIT2_EEPKiS6_PKS3_S8_S4_PS3_21rocsparse_index_base_b
	.p2align	8
	.type	_ZN9rocsparseL19gebsrmvn_4xn_kernelILj128ELj8ELj32EdEEvi20rocsparse_direction_NS_24const_host_device_scalarIT2_EEPKiS6_PKS3_S8_S4_PS3_21rocsparse_index_base_b,@function
_ZN9rocsparseL19gebsrmvn_4xn_kernelILj128ELj8ELj32EdEEvi20rocsparse_direction_NS_24const_host_device_scalarIT2_EEPKiS6_PKS3_S8_S4_PS3_21rocsparse_index_base_b: ; @_ZN9rocsparseL19gebsrmvn_4xn_kernelILj128ELj8ELj32EdEEvi20rocsparse_direction_NS_24const_host_device_scalarIT2_EEPKiS6_PKS3_S8_S4_PS3_21rocsparse_index_base_b
; %bb.0:
	s_clause 0x2
	s_load_b64 s[12:13], s[0:1], 0x40
	s_load_b64 s[4:5], s[0:1], 0x8
	;; [unrolled: 1-line block ×3, first 2 shown]
	s_waitcnt lgkmcnt(0)
	s_bitcmp1_b32 s13, 0
	v_dual_mov_b32 v1, s4 :: v_dual_mov_b32 v2, s5
	s_cselect_b32 s6, -1, 0
	s_delay_alu instid0(SALU_CYCLE_1)
	s_and_b32 vcc_lo, exec_lo, s6
	s_xor_b32 s6, s6, -1
	s_cbranch_vccnz .LBB70_2
; %bb.1:
	v_dual_mov_b32 v1, s4 :: v_dual_mov_b32 v2, s5
	flat_load_b64 v[1:2], v[1:2]
.LBB70_2:
	v_dual_mov_b32 v4, s3 :: v_dual_mov_b32 v3, s2
	s_and_not1_b32 vcc_lo, exec_lo, s6
	s_cbranch_vccnz .LBB70_4
; %bb.3:
	v_dual_mov_b32 v4, s3 :: v_dual_mov_b32 v3, s2
	flat_load_b64 v[3:4], v[3:4]
.LBB70_4:
	s_waitcnt vmcnt(0) lgkmcnt(0)
	v_cmp_neq_f64_e32 vcc_lo, 0, v[1:2]
	v_cmp_neq_f64_e64 s2, 1.0, v[3:4]
	s_delay_alu instid0(VALU_DEP_1) | instskip(NEXT) | instid1(SALU_CYCLE_1)
	s_or_b32 s2, vcc_lo, s2
	s_and_saveexec_b32 s3, s2
	s_cbranch_execz .LBB70_23
; %bb.5:
	s_load_b64 s[2:3], s[0:1], 0x0
	v_lshrrev_b32_e32 v5, 5, v0
	s_delay_alu instid0(VALU_DEP_1) | instskip(SKIP_1) | instid1(VALU_DEP_1)
	v_lshl_or_b32 v5, s15, 2, v5
	s_waitcnt lgkmcnt(0)
	v_cmp_gt_i32_e32 vcc_lo, s2, v5
	s_and_b32 exec_lo, exec_lo, vcc_lo
	s_cbranch_execz .LBB70_23
; %bb.6:
	s_load_b256 s[4:11], s[0:1], 0x10
	v_ashrrev_i32_e32 v6, 31, v5
	v_and_b32_e32 v0, 31, v0
	s_cmp_lg_u32 s3, 0
	s_delay_alu instid0(VALU_DEP_2) | instskip(SKIP_1) | instid1(VALU_DEP_1)
	v_lshlrev_b64 v[6:7], 2, v[5:6]
	s_waitcnt lgkmcnt(0)
	v_add_co_u32 v6, vcc_lo, s4, v6
	s_delay_alu instid0(VALU_DEP_2) | instskip(SKIP_4) | instid1(VALU_DEP_2)
	v_add_co_ci_u32_e32 v7, vcc_lo, s5, v7, vcc_lo
	global_load_b64 v[6:7], v[6:7], off
	s_waitcnt vmcnt(0)
	v_subrev_nc_u32_e32 v6, s12, v6
	v_subrev_nc_u32_e32 v20, s12, v7
	v_add_nc_u32_e32 v12, v6, v0
	s_delay_alu instid0(VALU_DEP_1)
	v_cmp_lt_i32_e64 s2, v12, v20
	s_cbranch_scc0 .LBB70_12
; %bb.7:
	v_mov_b32_e32 v6, 0
	v_mov_b32_e32 v7, 0
	s_delay_alu instid0(VALU_DEP_1)
	v_dual_mov_b32 v9, v7 :: v_dual_mov_b32 v8, v6
	v_dual_mov_b32 v11, v7 :: v_dual_mov_b32 v10, v6
	;; [unrolled: 1-line block ×3, first 2 shown]
	s_and_saveexec_b32 s3, s2
	s_cbranch_execz .LBB70_11
; %bb.8:
	v_dual_mov_b32 v6, 0 :: v_dual_mov_b32 v17, 0
	v_dual_mov_b32 v7, 0 :: v_dual_lshlrev_b32 v16, 5, v12
	v_mov_b32_e32 v18, v12
	s_mov_b32 s4, 0
	s_delay_alu instid0(VALU_DEP_2)
	v_dual_mov_b32 v9, v7 :: v_dual_mov_b32 v8, v6
	v_dual_mov_b32 v11, v7 :: v_dual_mov_b32 v10, v6
	;; [unrolled: 1-line block ×3, first 2 shown]
.LBB70_9:                               ; =>This Inner Loop Header: Depth=1
	v_ashrrev_i32_e32 v19, 31, v18
	s_delay_alu instid0(VALU_DEP_1) | instskip(SKIP_1) | instid1(VALU_DEP_2)
	v_lshlrev_b64 v[21:22], 2, v[18:19]
	v_add_nc_u32_e32 v18, 32, v18
	v_add_co_u32 v21, vcc_lo, s6, v21
	s_delay_alu instid0(VALU_DEP_3) | instskip(SKIP_3) | instid1(VALU_DEP_2)
	v_add_co_ci_u32_e32 v22, vcc_lo, s7, v22, vcc_lo
	global_load_b32 v13, v[21:22], off
	v_lshlrev_b64 v[21:22], 3, v[16:17]
	v_add_nc_u32_e32 v16, 0x400, v16
	v_add_co_u32 v97, vcc_lo, s8, v21
	s_delay_alu instid0(VALU_DEP_3) | instskip(SKIP_3) | instid1(VALU_DEP_1)
	v_add_co_ci_u32_e32 v98, vcc_lo, s9, v22, vcc_lo
	global_load_b128 v[21:24], v[97:98], off offset:16
	s_waitcnt vmcnt(1)
	v_subrev_nc_u32_e32 v13, s12, v13
	v_dual_mov_b32 v26, v17 :: v_dual_lshlrev_b32 v25, 3, v13
	s_delay_alu instid0(VALU_DEP_1) | instskip(NEXT) | instid1(VALU_DEP_1)
	v_lshlrev_b64 v[25:26], 3, v[25:26]
	v_add_co_u32 v89, vcc_lo, s10, v25
	s_delay_alu instid0(VALU_DEP_2)
	v_add_co_ci_u32_e32 v90, vcc_lo, s11, v26, vcc_lo
	v_cmp_ge_i32_e32 vcc_lo, v18, v20
	global_load_b128 v[25:28], v[97:98], off
	global_load_b128 v[29:32], v[89:90], off
	s_clause 0x3
	global_load_b128 v[33:36], v[97:98], off offset:32
	global_load_b128 v[37:40], v[97:98], off offset:48
	global_load_b128 v[41:44], v[97:98], off offset:64
	global_load_b128 v[45:48], v[97:98], off offset:80
	global_load_b128 v[49:52], v[89:90], off offset:16
	s_clause 0x3
	global_load_b128 v[53:56], v[97:98], off offset:96
	global_load_b128 v[57:60], v[97:98], off offset:112
	global_load_b128 v[61:64], v[97:98], off offset:144
	global_load_b128 v[65:68], v[97:98], off offset:128
	global_load_b128 v[69:72], v[89:90], off offset:32
	;; [unrolled: 6-line block ×3, first 2 shown]
	s_clause 0x1
	global_load_b128 v[93:96], v[97:98], off offset:224
	global_load_b128 v[97:100], v[97:98], off offset:240
	s_or_b32 s4, vcc_lo, s4
	s_waitcnt vmcnt(17)
	v_fma_f64 v[6:7], v[25:26], v[29:30], v[6:7]
	v_fma_f64 v[13:14], v[27:28], v[29:30], v[14:15]
	;; [unrolled: 1-line block ×4, first 2 shown]
	s_waitcnt vmcnt(16)
	s_delay_alu instid0(VALU_DEP_4) | instskip(NEXT) | instid1(VALU_DEP_4)
	v_fma_f64 v[6:7], v[33:34], v[31:32], v[6:7]
	v_fma_f64 v[13:14], v[35:36], v[31:32], v[13:14]
	s_waitcnt vmcnt(15)
	s_delay_alu instid0(VALU_DEP_4) | instskip(NEXT) | instid1(VALU_DEP_4)
	v_fma_f64 v[10:11], v[37:38], v[31:32], v[10:11]
	v_fma_f64 v[8:9], v[39:40], v[31:32], v[8:9]
	s_waitcnt vmcnt(12)
	s_delay_alu instid0(VALU_DEP_4) | instskip(NEXT) | instid1(VALU_DEP_4)
	v_fma_f64 v[6:7], v[41:42], v[49:50], v[6:7]
	v_fma_f64 v[13:14], v[43:44], v[49:50], v[13:14]
	s_delay_alu instid0(VALU_DEP_4) | instskip(NEXT) | instid1(VALU_DEP_4)
	v_fma_f64 v[10:11], v[45:46], v[49:50], v[10:11]
	v_fma_f64 v[8:9], v[47:48], v[49:50], v[8:9]
	s_waitcnt vmcnt(11)
	s_delay_alu instid0(VALU_DEP_4) | instskip(NEXT) | instid1(VALU_DEP_4)
	v_fma_f64 v[6:7], v[53:54], v[51:52], v[6:7]
	v_fma_f64 v[13:14], v[55:56], v[51:52], v[13:14]
	s_waitcnt vmcnt(10)
	s_delay_alu instid0(VALU_DEP_4) | instskip(NEXT) | instid1(VALU_DEP_4)
	v_fma_f64 v[10:11], v[57:58], v[51:52], v[10:11]
	v_fma_f64 v[8:9], v[59:60], v[51:52], v[8:9]
	s_waitcnt vmcnt(7)
	s_delay_alu instid0(VALU_DEP_4) | instskip(NEXT) | instid1(VALU_DEP_4)
	v_fma_f64 v[6:7], v[65:66], v[69:70], v[6:7]
	v_fma_f64 v[13:14], v[67:68], v[69:70], v[13:14]
	s_delay_alu instid0(VALU_DEP_4) | instskip(NEXT) | instid1(VALU_DEP_4)
	v_fma_f64 v[10:11], v[61:62], v[69:70], v[10:11]
	v_fma_f64 v[8:9], v[63:64], v[69:70], v[8:9]
	;; [unrolled: 15-line block ×3, first 2 shown]
	s_waitcnt vmcnt(1)
	s_delay_alu instid0(VALU_DEP_4) | instskip(NEXT) | instid1(VALU_DEP_4)
	v_fma_f64 v[6:7], v[93:94], v[91:92], v[6:7]
	v_fma_f64 v[14:15], v[95:96], v[91:92], v[13:14]
	s_waitcnt vmcnt(0)
	s_delay_alu instid0(VALU_DEP_4) | instskip(NEXT) | instid1(VALU_DEP_4)
	v_fma_f64 v[10:11], v[97:98], v[91:92], v[10:11]
	v_fma_f64 v[8:9], v[99:100], v[91:92], v[8:9]
	s_and_not1_b32 exec_lo, exec_lo, s4
	s_cbranch_execnz .LBB70_9
; %bb.10:
	s_or_b32 exec_lo, exec_lo, s4
.LBB70_11:
	s_delay_alu instid0(SALU_CYCLE_1)
	s_or_b32 exec_lo, exec_lo, s3
	s_cbranch_execz .LBB70_13
	s_branch .LBB70_18
.LBB70_12:
                                        ; implicit-def: $vgpr6_vgpr7
                                        ; implicit-def: $vgpr8_vgpr9
                                        ; implicit-def: $vgpr10_vgpr11
                                        ; implicit-def: $vgpr14_vgpr15
.LBB70_13:
	v_mov_b32_e32 v6, 0
	v_mov_b32_e32 v7, 0
	s_delay_alu instid0(VALU_DEP_1)
	v_dual_mov_b32 v9, v7 :: v_dual_mov_b32 v8, v6
	v_dual_mov_b32 v11, v7 :: v_dual_mov_b32 v10, v6
	;; [unrolled: 1-line block ×3, first 2 shown]
	s_and_saveexec_b32 s3, s2
	s_cbranch_execz .LBB70_17
; %bb.14:
	v_dual_mov_b32 v6, 0 :: v_dual_mov_b32 v17, 0
	v_dual_mov_b32 v7, 0 :: v_dual_lshlrev_b32 v16, 5, v12
	s_mov_b32 s2, 0
	s_delay_alu instid0(VALU_DEP_1)
	v_dual_mov_b32 v9, v7 :: v_dual_mov_b32 v8, v6
	v_dual_mov_b32 v11, v7 :: v_dual_mov_b32 v10, v6
	v_dual_mov_b32 v15, v7 :: v_dual_mov_b32 v14, v6
.LBB70_15:                              ; =>This Inner Loop Header: Depth=1
	v_ashrrev_i32_e32 v13, 31, v12
	s_delay_alu instid0(VALU_DEP_1) | instskip(SKIP_1) | instid1(VALU_DEP_2)
	v_lshlrev_b64 v[18:19], 2, v[12:13]
	v_add_nc_u32_e32 v12, 32, v12
	v_add_co_u32 v18, vcc_lo, s6, v18
	s_delay_alu instid0(VALU_DEP_3) | instskip(SKIP_3) | instid1(VALU_DEP_2)
	v_add_co_ci_u32_e32 v19, vcc_lo, s7, v19, vcc_lo
	global_load_b32 v13, v[18:19], off
	v_lshlrev_b64 v[18:19], 3, v[16:17]
	v_add_nc_u32_e32 v16, 0x400, v16
	v_add_co_u32 v18, vcc_lo, s8, v18
	s_delay_alu instid0(VALU_DEP_3)
	v_add_co_ci_u32_e32 v19, vcc_lo, s9, v19, vcc_lo
	s_clause 0x3
	global_load_b128 v[21:24], v[18:19], off
	global_load_b128 v[25:28], v[18:19], off offset:64
	global_load_b128 v[29:32], v[18:19], off offset:128
	;; [unrolled: 1-line block ×3, first 2 shown]
	s_waitcnt vmcnt(4)
	v_subrev_nc_u32_e32 v13, s12, v13
	s_delay_alu instid0(VALU_DEP_1) | instskip(NEXT) | instid1(VALU_DEP_1)
	v_dual_mov_b32 v38, v17 :: v_dual_lshlrev_b32 v37, 3, v13
	v_lshlrev_b64 v[37:38], 3, v[37:38]
	s_delay_alu instid0(VALU_DEP_1) | instskip(NEXT) | instid1(VALU_DEP_2)
	v_add_co_u32 v97, vcc_lo, s10, v37
	v_add_co_ci_u32_e32 v98, vcc_lo, s11, v38, vcc_lo
	v_cmp_ge_i32_e32 vcc_lo, v12, v20
	global_load_b128 v[37:40], v[97:98], off
	s_clause 0x3
	global_load_b128 v[41:44], v[18:19], off offset:16
	global_load_b128 v[45:48], v[18:19], off offset:80
	;; [unrolled: 1-line block ×5, first 2 shown]
	s_clause 0x5
	global_load_b128 v[61:64], v[18:19], off offset:48
	global_load_b128 v[65:68], v[18:19], off offset:32
	;; [unrolled: 1-line block ×7, first 2 shown]
	s_clause 0x1
	global_load_b128 v[89:92], v[18:19], off offset:176
	global_load_b128 v[93:96], v[18:19], off offset:240
	s_or_b32 s2, vcc_lo, s2
	s_waitcnt vmcnt(14)
	v_fma_f64 v[6:7], v[21:22], v[37:38], v[6:7]
	v_fma_f64 v[13:14], v[25:26], v[37:38], v[14:15]
	;; [unrolled: 1-line block ×4, first 2 shown]
	s_delay_alu instid0(VALU_DEP_4)
	v_fma_f64 v[6:7], v[23:24], v[39:40], v[6:7]
	global_load_b128 v[21:24], v[97:98], off offset:48
	v_fma_f64 v[13:14], v[27:28], v[39:40], v[13:14]
	v_fma_f64 v[10:11], v[31:32], v[39:40], v[10:11]
	;; [unrolled: 1-line block ×3, first 2 shown]
	s_waitcnt vmcnt(10)
	v_fma_f64 v[6:7], v[41:42], v[57:58], v[6:7]
	s_delay_alu instid0(VALU_DEP_4) | instskip(NEXT) | instid1(VALU_DEP_4)
	v_fma_f64 v[13:14], v[45:46], v[57:58], v[13:14]
	v_fma_f64 v[10:11], v[49:50], v[57:58], v[10:11]
	s_delay_alu instid0(VALU_DEP_4) | instskip(NEXT) | instid1(VALU_DEP_4)
	v_fma_f64 v[8:9], v[53:54], v[57:58], v[8:9]
	;; [unrolled: 3-line block ×3, first 2 shown]
	v_fma_f64 v[10:11], v[51:52], v[59:60], v[10:11]
	s_delay_alu instid0(VALU_DEP_4) | instskip(SKIP_1) | instid1(VALU_DEP_4)
	v_fma_f64 v[8:9], v[55:56], v[59:60], v[8:9]
	s_waitcnt vmcnt(3)
	v_fma_f64 v[6:7], v[65:66], v[85:86], v[6:7]
	s_delay_alu instid0(VALU_DEP_4) | instskip(NEXT) | instid1(VALU_DEP_4)
	v_fma_f64 v[13:14], v[73:74], v[85:86], v[13:14]
	v_fma_f64 v[10:11], v[81:82], v[85:86], v[10:11]
	s_delay_alu instid0(VALU_DEP_4) | instskip(NEXT) | instid1(VALU_DEP_4)
	v_fma_f64 v[8:9], v[77:78], v[85:86], v[8:9]
	;; [unrolled: 3-line block ×3, first 2 shown]
	v_fma_f64 v[10:11], v[83:84], v[87:88], v[10:11]
	s_delay_alu instid0(VALU_DEP_4) | instskip(SKIP_1) | instid1(VALU_DEP_4)
	v_fma_f64 v[8:9], v[79:80], v[87:88], v[8:9]
	s_waitcnt vmcnt(0)
	v_fma_f64 v[6:7], v[61:62], v[21:22], v[6:7]
	s_delay_alu instid0(VALU_DEP_4) | instskip(NEXT) | instid1(VALU_DEP_4)
	v_fma_f64 v[13:14], v[69:70], v[21:22], v[13:14]
	v_fma_f64 v[10:11], v[89:90], v[21:22], v[10:11]
	s_delay_alu instid0(VALU_DEP_4) | instskip(NEXT) | instid1(VALU_DEP_4)
	v_fma_f64 v[8:9], v[93:94], v[21:22], v[8:9]
	;; [unrolled: 3-line block ×3, first 2 shown]
	v_fma_f64 v[10:11], v[91:92], v[23:24], v[10:11]
	s_delay_alu instid0(VALU_DEP_4)
	v_fma_f64 v[8:9], v[95:96], v[23:24], v[8:9]
	s_and_not1_b32 exec_lo, exec_lo, s2
	s_cbranch_execnz .LBB70_15
; %bb.16:
	s_or_b32 exec_lo, exec_lo, s2
.LBB70_17:
	s_delay_alu instid0(SALU_CYCLE_1)
	s_or_b32 exec_lo, exec_lo, s3
.LBB70_18:
	v_mbcnt_lo_u32_b32 v24, -1, 0
	s_delay_alu instid0(VALU_DEP_1) | instskip(NEXT) | instid1(VALU_DEP_1)
	v_xor_b32_e32 v12, 16, v24
	v_cmp_gt_i32_e32 vcc_lo, 32, v12
	v_cndmask_b32_e32 v12, v24, v12, vcc_lo
	s_delay_alu instid0(VALU_DEP_1)
	v_lshlrev_b32_e32 v21, 2, v12
	ds_bpermute_b32 v12, v21, v6
	ds_bpermute_b32 v13, v21, v7
	;; [unrolled: 1-line block ×4, first 2 shown]
	s_waitcnt lgkmcnt(2)
	v_add_f64 v[6:7], v[6:7], v[12:13]
	s_waitcnt lgkmcnt(0)
	v_add_f64 v[12:13], v[14:15], v[16:17]
	v_xor_b32_e32 v14, 8, v24
	s_delay_alu instid0(VALU_DEP_1)
	v_cmp_gt_i32_e32 vcc_lo, 32, v14
	v_cndmask_b32_e32 v14, v24, v14, vcc_lo
	ds_bpermute_b32 v18, v21, v10
	ds_bpermute_b32 v19, v21, v11
	;; [unrolled: 1-line block ×4, first 2 shown]
	s_waitcnt lgkmcnt(2)
	v_add_f64 v[10:11], v[10:11], v[18:19]
	s_waitcnt lgkmcnt(0)
	v_add_f64 v[8:9], v[8:9], v[20:21]
	v_lshlrev_b32_e32 v21, 2, v14
	ds_bpermute_b32 v14, v21, v6
	ds_bpermute_b32 v15, v21, v7
	;; [unrolled: 1-line block ×4, first 2 shown]
	s_waitcnt lgkmcnt(2)
	v_add_f64 v[6:7], v[6:7], v[14:15]
	v_xor_b32_e32 v14, 4, v24
	s_waitcnt lgkmcnt(0)
	v_add_f64 v[12:13], v[12:13], v[16:17]
	s_delay_alu instid0(VALU_DEP_2)
	v_cmp_gt_i32_e32 vcc_lo, 32, v14
	ds_bpermute_b32 v18, v21, v10
	ds_bpermute_b32 v19, v21, v11
	;; [unrolled: 1-line block ×4, first 2 shown]
	v_cndmask_b32_e32 v14, v24, v14, vcc_lo
	s_waitcnt lgkmcnt(2)
	v_add_f64 v[10:11], v[10:11], v[18:19]
	s_waitcnt lgkmcnt(0)
	v_add_f64 v[8:9], v[8:9], v[20:21]
	v_lshlrev_b32_e32 v21, 2, v14
	ds_bpermute_b32 v14, v21, v6
	ds_bpermute_b32 v15, v21, v7
	;; [unrolled: 1-line block ×4, first 2 shown]
	s_waitcnt lgkmcnt(2)
	v_add_f64 v[6:7], v[6:7], v[14:15]
	s_waitcnt lgkmcnt(0)
	v_add_f64 v[12:13], v[12:13], v[16:17]
	ds_bpermute_b32 v18, v21, v10
	ds_bpermute_b32 v19, v21, v11
	;; [unrolled: 1-line block ×4, first 2 shown]
	s_waitcnt lgkmcnt(2)
	v_add_f64 v[14:15], v[10:11], v[18:19]
	s_waitcnt lgkmcnt(0)
	v_add_f64 v[16:17], v[8:9], v[20:21]
	v_xor_b32_e32 v8, 2, v24
	s_delay_alu instid0(VALU_DEP_1) | instskip(SKIP_1) | instid1(VALU_DEP_1)
	v_cmp_gt_i32_e32 vcc_lo, 32, v8
	v_cndmask_b32_e32 v8, v24, v8, vcc_lo
	v_lshlrev_b32_e32 v10, 2, v8
	ds_bpermute_b32 v8, v10, v6
	ds_bpermute_b32 v9, v10, v7
	;; [unrolled: 1-line block ×8, first 2 shown]
	s_waitcnt lgkmcnt(6)
	v_add_f64 v[10:11], v[6:7], v[8:9]
	s_waitcnt lgkmcnt(4)
	v_add_f64 v[8:9], v[12:13], v[18:19]
	v_xor_b32_e32 v12, 1, v24
	s_delay_alu instid0(VALU_DEP_1)
	v_cmp_gt_i32_e32 vcc_lo, 32, v12
	v_cndmask_b32_e32 v12, v24, v12, vcc_lo
	v_cmp_eq_u32_e32 vcc_lo, 31, v0
	s_waitcnt lgkmcnt(2)
	v_add_f64 v[6:7], v[14:15], v[20:21]
	s_waitcnt lgkmcnt(0)
	v_add_f64 v[14:15], v[16:17], v[22:23]
	v_lshlrev_b32_e32 v17, 2, v12
	ds_bpermute_b32 v12, v17, v10
	ds_bpermute_b32 v13, v17, v11
	;; [unrolled: 1-line block ×8, first 2 shown]
	s_and_b32 exec_lo, exec_lo, vcc_lo
	s_cbranch_execz .LBB70_23
; %bb.19:
	s_waitcnt lgkmcnt(6)
	v_add_f64 v[12:13], v[10:11], v[12:13]
	s_waitcnt lgkmcnt(4)
	v_add_f64 v[10:11], v[8:9], v[20:21]
	;; [unrolled: 2-line block ×4, first 2 shown]
	s_load_b64 s[0:1], s[0:1], 0x38
	s_mov_b32 s2, exec_lo
	v_cmpx_eq_f64_e32 0, v[3:4]
	s_xor_b32 s2, exec_lo, s2
	s_cbranch_execz .LBB70_21
; %bb.20:
	v_mul_f64 v[12:13], v[1:2], v[12:13]
	v_mul_f64 v[14:15], v[1:2], v[10:11]
	;; [unrolled: 1-line block ×4, first 2 shown]
	v_lshlrev_b32_e32 v0, 2, v5
                                        ; implicit-def: $vgpr5
                                        ; implicit-def: $vgpr3_vgpr4
                                        ; implicit-def: $vgpr6_vgpr7
	s_delay_alu instid0(VALU_DEP_1) | instskip(NEXT) | instid1(VALU_DEP_1)
	v_ashrrev_i32_e32 v1, 31, v0
	v_lshlrev_b64 v[0:1], 3, v[0:1]
	s_waitcnt lgkmcnt(0)
	s_delay_alu instid0(VALU_DEP_1) | instskip(NEXT) | instid1(VALU_DEP_2)
	v_add_co_u32 v0, vcc_lo, s0, v0
	v_add_co_ci_u32_e32 v1, vcc_lo, s1, v1, vcc_lo
	s_clause 0x1
	global_store_b128 v[0:1], v[12:15], off
	global_store_b128 v[0:1], v[8:11], off offset:16
                                        ; implicit-def: $vgpr1_vgpr2
                                        ; implicit-def: $vgpr12_vgpr13
                                        ; implicit-def: $vgpr10_vgpr11
                                        ; implicit-def: $vgpr8_vgpr9
.LBB70_21:
	s_and_not1_saveexec_b32 s2, s2
	s_cbranch_execz .LBB70_23
; %bb.22:
	v_lshlrev_b32_e32 v14, 2, v5
	v_mul_f64 v[12:13], v[1:2], v[12:13]
	v_mul_f64 v[10:11], v[1:2], v[10:11]
	;; [unrolled: 1-line block ×4, first 2 shown]
	v_ashrrev_i32_e32 v15, 31, v14
	s_delay_alu instid0(VALU_DEP_1) | instskip(SKIP_1) | instid1(VALU_DEP_1)
	v_lshlrev_b64 v[14:15], 3, v[14:15]
	s_waitcnt lgkmcnt(0)
	v_add_co_u32 v22, vcc_lo, s0, v14
	s_delay_alu instid0(VALU_DEP_2)
	v_add_co_ci_u32_e32 v23, vcc_lo, s1, v15, vcc_lo
	s_clause 0x1
	global_load_b128 v[14:17], v[22:23], off
	global_load_b128 v[18:21], v[22:23], off offset:16
	s_waitcnt vmcnt(1)
	v_fma_f64 v[5:6], v[3:4], v[14:15], v[12:13]
	v_fma_f64 v[7:8], v[3:4], v[16:17], v[10:11]
	s_waitcnt vmcnt(0)
	v_fma_f64 v[0:1], v[3:4], v[18:19], v[24:25]
	v_fma_f64 v[2:3], v[3:4], v[20:21], v[26:27]
	s_clause 0x1
	global_store_b128 v[22:23], v[5:8], off
	global_store_b128 v[22:23], v[0:3], off offset:16
.LBB70_23:
	s_nop 0
	s_sendmsg sendmsg(MSG_DEALLOC_VGPRS)
	s_endpgm
	.section	.rodata,"a",@progbits
	.p2align	6, 0x0
	.amdhsa_kernel _ZN9rocsparseL19gebsrmvn_4xn_kernelILj128ELj8ELj32EdEEvi20rocsparse_direction_NS_24const_host_device_scalarIT2_EEPKiS6_PKS3_S8_S4_PS3_21rocsparse_index_base_b
		.amdhsa_group_segment_fixed_size 0
		.amdhsa_private_segment_fixed_size 0
		.amdhsa_kernarg_size 72
		.amdhsa_user_sgpr_count 15
		.amdhsa_user_sgpr_dispatch_ptr 0
		.amdhsa_user_sgpr_queue_ptr 0
		.amdhsa_user_sgpr_kernarg_segment_ptr 1
		.amdhsa_user_sgpr_dispatch_id 0
		.amdhsa_user_sgpr_private_segment_size 0
		.amdhsa_wavefront_size32 1
		.amdhsa_uses_dynamic_stack 0
		.amdhsa_enable_private_segment 0
		.amdhsa_system_sgpr_workgroup_id_x 1
		.amdhsa_system_sgpr_workgroup_id_y 0
		.amdhsa_system_sgpr_workgroup_id_z 0
		.amdhsa_system_sgpr_workgroup_info 0
		.amdhsa_system_vgpr_workitem_id 0
		.amdhsa_next_free_vgpr 101
		.amdhsa_next_free_sgpr 16
		.amdhsa_reserve_vcc 1
		.amdhsa_float_round_mode_32 0
		.amdhsa_float_round_mode_16_64 0
		.amdhsa_float_denorm_mode_32 3
		.amdhsa_float_denorm_mode_16_64 3
		.amdhsa_dx10_clamp 1
		.amdhsa_ieee_mode 1
		.amdhsa_fp16_overflow 0
		.amdhsa_workgroup_processor_mode 1
		.amdhsa_memory_ordered 1
		.amdhsa_forward_progress 0
		.amdhsa_shared_vgpr_count 0
		.amdhsa_exception_fp_ieee_invalid_op 0
		.amdhsa_exception_fp_denorm_src 0
		.amdhsa_exception_fp_ieee_div_zero 0
		.amdhsa_exception_fp_ieee_overflow 0
		.amdhsa_exception_fp_ieee_underflow 0
		.amdhsa_exception_fp_ieee_inexact 0
		.amdhsa_exception_int_div_zero 0
	.end_amdhsa_kernel
	.section	.text._ZN9rocsparseL19gebsrmvn_4xn_kernelILj128ELj8ELj32EdEEvi20rocsparse_direction_NS_24const_host_device_scalarIT2_EEPKiS6_PKS3_S8_S4_PS3_21rocsparse_index_base_b,"axG",@progbits,_ZN9rocsparseL19gebsrmvn_4xn_kernelILj128ELj8ELj32EdEEvi20rocsparse_direction_NS_24const_host_device_scalarIT2_EEPKiS6_PKS3_S8_S4_PS3_21rocsparse_index_base_b,comdat
.Lfunc_end70:
	.size	_ZN9rocsparseL19gebsrmvn_4xn_kernelILj128ELj8ELj32EdEEvi20rocsparse_direction_NS_24const_host_device_scalarIT2_EEPKiS6_PKS3_S8_S4_PS3_21rocsparse_index_base_b, .Lfunc_end70-_ZN9rocsparseL19gebsrmvn_4xn_kernelILj128ELj8ELj32EdEEvi20rocsparse_direction_NS_24const_host_device_scalarIT2_EEPKiS6_PKS3_S8_S4_PS3_21rocsparse_index_base_b
                                        ; -- End function
	.section	.AMDGPU.csdata,"",@progbits
; Kernel info:
; codeLenInByte = 2776
; NumSgprs: 18
; NumVgprs: 101
; ScratchSize: 0
; MemoryBound: 1
; FloatMode: 240
; IeeeMode: 1
; LDSByteSize: 0 bytes/workgroup (compile time only)
; SGPRBlocks: 2
; VGPRBlocks: 12
; NumSGPRsForWavesPerEU: 18
; NumVGPRsForWavesPerEU: 101
; Occupancy: 12
; WaveLimiterHint : 1
; COMPUTE_PGM_RSRC2:SCRATCH_EN: 0
; COMPUTE_PGM_RSRC2:USER_SGPR: 15
; COMPUTE_PGM_RSRC2:TRAP_HANDLER: 0
; COMPUTE_PGM_RSRC2:TGID_X_EN: 1
; COMPUTE_PGM_RSRC2:TGID_Y_EN: 0
; COMPUTE_PGM_RSRC2:TGID_Z_EN: 0
; COMPUTE_PGM_RSRC2:TIDIG_COMP_CNT: 0
	.section	.text._ZN9rocsparseL19gebsrmvn_4xn_kernelILj128ELj8ELj64EdEEvi20rocsparse_direction_NS_24const_host_device_scalarIT2_EEPKiS6_PKS3_S8_S4_PS3_21rocsparse_index_base_b,"axG",@progbits,_ZN9rocsparseL19gebsrmvn_4xn_kernelILj128ELj8ELj64EdEEvi20rocsparse_direction_NS_24const_host_device_scalarIT2_EEPKiS6_PKS3_S8_S4_PS3_21rocsparse_index_base_b,comdat
	.globl	_ZN9rocsparseL19gebsrmvn_4xn_kernelILj128ELj8ELj64EdEEvi20rocsparse_direction_NS_24const_host_device_scalarIT2_EEPKiS6_PKS3_S8_S4_PS3_21rocsparse_index_base_b ; -- Begin function _ZN9rocsparseL19gebsrmvn_4xn_kernelILj128ELj8ELj64EdEEvi20rocsparse_direction_NS_24const_host_device_scalarIT2_EEPKiS6_PKS3_S8_S4_PS3_21rocsparse_index_base_b
	.p2align	8
	.type	_ZN9rocsparseL19gebsrmvn_4xn_kernelILj128ELj8ELj64EdEEvi20rocsparse_direction_NS_24const_host_device_scalarIT2_EEPKiS6_PKS3_S8_S4_PS3_21rocsparse_index_base_b,@function
_ZN9rocsparseL19gebsrmvn_4xn_kernelILj128ELj8ELj64EdEEvi20rocsparse_direction_NS_24const_host_device_scalarIT2_EEPKiS6_PKS3_S8_S4_PS3_21rocsparse_index_base_b: ; @_ZN9rocsparseL19gebsrmvn_4xn_kernelILj128ELj8ELj64EdEEvi20rocsparse_direction_NS_24const_host_device_scalarIT2_EEPKiS6_PKS3_S8_S4_PS3_21rocsparse_index_base_b
; %bb.0:
	s_clause 0x2
	s_load_b64 s[12:13], s[0:1], 0x40
	s_load_b64 s[4:5], s[0:1], 0x8
	s_load_b64 s[2:3], s[0:1], 0x30
	s_waitcnt lgkmcnt(0)
	s_bitcmp1_b32 s13, 0
	v_dual_mov_b32 v1, s4 :: v_dual_mov_b32 v2, s5
	s_cselect_b32 s6, -1, 0
	s_delay_alu instid0(SALU_CYCLE_1)
	s_and_b32 vcc_lo, exec_lo, s6
	s_xor_b32 s6, s6, -1
	s_cbranch_vccnz .LBB71_2
; %bb.1:
	v_dual_mov_b32 v1, s4 :: v_dual_mov_b32 v2, s5
	flat_load_b64 v[1:2], v[1:2]
.LBB71_2:
	v_dual_mov_b32 v4, s3 :: v_dual_mov_b32 v3, s2
	s_and_not1_b32 vcc_lo, exec_lo, s6
	s_cbranch_vccnz .LBB71_4
; %bb.3:
	v_dual_mov_b32 v4, s3 :: v_dual_mov_b32 v3, s2
	flat_load_b64 v[3:4], v[3:4]
.LBB71_4:
	s_waitcnt vmcnt(0) lgkmcnt(0)
	v_cmp_neq_f64_e32 vcc_lo, 0, v[1:2]
	v_cmp_neq_f64_e64 s2, 1.0, v[3:4]
	s_delay_alu instid0(VALU_DEP_1) | instskip(NEXT) | instid1(SALU_CYCLE_1)
	s_or_b32 s2, vcc_lo, s2
	s_and_saveexec_b32 s3, s2
	s_cbranch_execz .LBB71_23
; %bb.5:
	s_load_b64 s[2:3], s[0:1], 0x0
	v_lshrrev_b32_e32 v5, 6, v0
	s_delay_alu instid0(VALU_DEP_1) | instskip(SKIP_1) | instid1(VALU_DEP_1)
	v_lshl_or_b32 v5, s15, 1, v5
	s_waitcnt lgkmcnt(0)
	v_cmp_gt_i32_e32 vcc_lo, s2, v5
	s_and_b32 exec_lo, exec_lo, vcc_lo
	s_cbranch_execz .LBB71_23
; %bb.6:
	s_load_b256 s[4:11], s[0:1], 0x10
	v_ashrrev_i32_e32 v6, 31, v5
	v_and_b32_e32 v0, 63, v0
	s_cmp_lg_u32 s3, 0
	s_delay_alu instid0(VALU_DEP_2) | instskip(SKIP_1) | instid1(VALU_DEP_1)
	v_lshlrev_b64 v[6:7], 2, v[5:6]
	s_waitcnt lgkmcnt(0)
	v_add_co_u32 v6, vcc_lo, s4, v6
	s_delay_alu instid0(VALU_DEP_2) | instskip(SKIP_4) | instid1(VALU_DEP_2)
	v_add_co_ci_u32_e32 v7, vcc_lo, s5, v7, vcc_lo
	global_load_b64 v[6:7], v[6:7], off
	s_waitcnt vmcnt(0)
	v_subrev_nc_u32_e32 v6, s12, v6
	v_subrev_nc_u32_e32 v19, s12, v7
	v_add_nc_u32_e32 v14, v6, v0
	s_delay_alu instid0(VALU_DEP_1)
	v_cmp_lt_i32_e64 s2, v14, v19
	s_cbranch_scc0 .LBB71_12
; %bb.7:
	v_mov_b32_e32 v6, 0
	v_mov_b32_e32 v7, 0
	s_delay_alu instid0(VALU_DEP_1)
	v_dual_mov_b32 v9, v7 :: v_dual_mov_b32 v8, v6
	v_dual_mov_b32 v11, v7 :: v_dual_mov_b32 v10, v6
	;; [unrolled: 1-line block ×3, first 2 shown]
	s_and_saveexec_b32 s3, s2
	s_cbranch_execz .LBB71_11
; %bb.8:
	v_dual_mov_b32 v6, 0 :: v_dual_lshlrev_b32 v15, 5, v14
	v_dual_mov_b32 v7, 0 :: v_dual_mov_b32 v16, 0
	v_mov_b32_e32 v17, v14
	s_mov_b32 s4, 0
	s_delay_alu instid0(VALU_DEP_2)
	v_dual_mov_b32 v9, v7 :: v_dual_mov_b32 v8, v6
	v_dual_mov_b32 v11, v7 :: v_dual_mov_b32 v10, v6
	;; [unrolled: 1-line block ×3, first 2 shown]
.LBB71_9:                               ; =>This Inner Loop Header: Depth=1
	v_ashrrev_i32_e32 v18, 31, v17
	s_delay_alu instid0(VALU_DEP_1) | instskip(SKIP_1) | instid1(VALU_DEP_2)
	v_lshlrev_b64 v[20:21], 2, v[17:18]
	v_add_nc_u32_e32 v17, 64, v17
	v_add_co_u32 v20, vcc_lo, s6, v20
	s_delay_alu instid0(VALU_DEP_3) | instskip(SKIP_3) | instid1(VALU_DEP_2)
	v_add_co_ci_u32_e32 v21, vcc_lo, s7, v21, vcc_lo
	global_load_b32 v18, v[20:21], off
	v_lshlrev_b64 v[20:21], 3, v[15:16]
	v_add_nc_u32_e32 v15, 0x800, v15
	v_add_co_u32 v96, vcc_lo, s8, v20
	s_delay_alu instid0(VALU_DEP_3) | instskip(SKIP_3) | instid1(VALU_DEP_1)
	v_add_co_ci_u32_e32 v97, vcc_lo, s9, v21, vcc_lo
	global_load_b128 v[20:23], v[96:97], off offset:16
	s_waitcnt vmcnt(1)
	v_subrev_nc_u32_e32 v18, s12, v18
	v_dual_mov_b32 v25, v16 :: v_dual_lshlrev_b32 v24, 3, v18
	s_delay_alu instid0(VALU_DEP_1) | instskip(NEXT) | instid1(VALU_DEP_1)
	v_lshlrev_b64 v[24:25], 3, v[24:25]
	v_add_co_u32 v88, vcc_lo, s10, v24
	s_delay_alu instid0(VALU_DEP_2)
	v_add_co_ci_u32_e32 v89, vcc_lo, s11, v25, vcc_lo
	v_cmp_ge_i32_e32 vcc_lo, v17, v19
	global_load_b128 v[24:27], v[96:97], off
	global_load_b128 v[28:31], v[88:89], off
	s_clause 0x3
	global_load_b128 v[32:35], v[96:97], off offset:32
	global_load_b128 v[36:39], v[96:97], off offset:48
	global_load_b128 v[40:43], v[96:97], off offset:64
	global_load_b128 v[44:47], v[96:97], off offset:80
	global_load_b128 v[48:51], v[88:89], off offset:16
	s_clause 0x3
	global_load_b128 v[52:55], v[96:97], off offset:96
	global_load_b128 v[56:59], v[96:97], off offset:112
	global_load_b128 v[60:63], v[96:97], off offset:144
	global_load_b128 v[64:67], v[96:97], off offset:128
	global_load_b128 v[68:71], v[88:89], off offset:32
	;; [unrolled: 6-line block ×3, first 2 shown]
	s_clause 0x1
	global_load_b128 v[92:95], v[96:97], off offset:224
	global_load_b128 v[96:99], v[96:97], off offset:240
	s_or_b32 s4, vcc_lo, s4
	s_waitcnt vmcnt(17)
	v_fma_f64 v[6:7], v[24:25], v[28:29], v[6:7]
	v_fma_f64 v[12:13], v[26:27], v[28:29], v[12:13]
	;; [unrolled: 1-line block ×4, first 2 shown]
	s_waitcnt vmcnt(16)
	s_delay_alu instid0(VALU_DEP_4) | instskip(NEXT) | instid1(VALU_DEP_4)
	v_fma_f64 v[6:7], v[32:33], v[30:31], v[6:7]
	v_fma_f64 v[12:13], v[34:35], v[30:31], v[12:13]
	s_waitcnt vmcnt(15)
	s_delay_alu instid0(VALU_DEP_4) | instskip(NEXT) | instid1(VALU_DEP_4)
	v_fma_f64 v[10:11], v[36:37], v[30:31], v[10:11]
	v_fma_f64 v[8:9], v[38:39], v[30:31], v[8:9]
	s_waitcnt vmcnt(12)
	s_delay_alu instid0(VALU_DEP_4) | instskip(NEXT) | instid1(VALU_DEP_4)
	v_fma_f64 v[6:7], v[40:41], v[48:49], v[6:7]
	v_fma_f64 v[12:13], v[42:43], v[48:49], v[12:13]
	s_delay_alu instid0(VALU_DEP_4) | instskip(NEXT) | instid1(VALU_DEP_4)
	v_fma_f64 v[10:11], v[44:45], v[48:49], v[10:11]
	v_fma_f64 v[8:9], v[46:47], v[48:49], v[8:9]
	s_waitcnt vmcnt(11)
	s_delay_alu instid0(VALU_DEP_4) | instskip(NEXT) | instid1(VALU_DEP_4)
	v_fma_f64 v[6:7], v[52:53], v[50:51], v[6:7]
	v_fma_f64 v[12:13], v[54:55], v[50:51], v[12:13]
	s_waitcnt vmcnt(10)
	s_delay_alu instid0(VALU_DEP_4) | instskip(NEXT) | instid1(VALU_DEP_4)
	v_fma_f64 v[10:11], v[56:57], v[50:51], v[10:11]
	v_fma_f64 v[8:9], v[58:59], v[50:51], v[8:9]
	s_waitcnt vmcnt(7)
	s_delay_alu instid0(VALU_DEP_4) | instskip(NEXT) | instid1(VALU_DEP_4)
	v_fma_f64 v[6:7], v[64:65], v[68:69], v[6:7]
	v_fma_f64 v[12:13], v[66:67], v[68:69], v[12:13]
	s_delay_alu instid0(VALU_DEP_4) | instskip(NEXT) | instid1(VALU_DEP_4)
	v_fma_f64 v[10:11], v[60:61], v[68:69], v[10:11]
	v_fma_f64 v[8:9], v[62:63], v[68:69], v[8:9]
	;; [unrolled: 15-line block ×3, first 2 shown]
	s_waitcnt vmcnt(1)
	s_delay_alu instid0(VALU_DEP_4) | instskip(NEXT) | instid1(VALU_DEP_4)
	v_fma_f64 v[6:7], v[92:93], v[90:91], v[6:7]
	v_fma_f64 v[12:13], v[94:95], v[90:91], v[12:13]
	s_waitcnt vmcnt(0)
	s_delay_alu instid0(VALU_DEP_4) | instskip(NEXT) | instid1(VALU_DEP_4)
	v_fma_f64 v[10:11], v[96:97], v[90:91], v[10:11]
	v_fma_f64 v[8:9], v[98:99], v[90:91], v[8:9]
	s_and_not1_b32 exec_lo, exec_lo, s4
	s_cbranch_execnz .LBB71_9
; %bb.10:
	s_or_b32 exec_lo, exec_lo, s4
.LBB71_11:
	s_delay_alu instid0(SALU_CYCLE_1)
	s_or_b32 exec_lo, exec_lo, s3
	s_cbranch_execz .LBB71_13
	s_branch .LBB71_18
.LBB71_12:
                                        ; implicit-def: $vgpr6_vgpr7
                                        ; implicit-def: $vgpr8_vgpr9
                                        ; implicit-def: $vgpr10_vgpr11
                                        ; implicit-def: $vgpr12_vgpr13
.LBB71_13:
	v_mov_b32_e32 v6, 0
	v_mov_b32_e32 v7, 0
	s_delay_alu instid0(VALU_DEP_1)
	v_dual_mov_b32 v9, v7 :: v_dual_mov_b32 v8, v6
	v_dual_mov_b32 v11, v7 :: v_dual_mov_b32 v10, v6
	;; [unrolled: 1-line block ×3, first 2 shown]
	s_and_saveexec_b32 s3, s2
	s_cbranch_execz .LBB71_17
; %bb.14:
	v_dual_mov_b32 v6, 0 :: v_dual_mov_b32 v17, 0
	v_dual_mov_b32 v7, 0 :: v_dual_lshlrev_b32 v16, 5, v14
	s_mov_b32 s2, 0
	s_delay_alu instid0(VALU_DEP_1)
	v_dual_mov_b32 v9, v7 :: v_dual_mov_b32 v8, v6
	v_dual_mov_b32 v11, v7 :: v_dual_mov_b32 v10, v6
	;; [unrolled: 1-line block ×3, first 2 shown]
.LBB71_15:                              ; =>This Inner Loop Header: Depth=1
	v_ashrrev_i32_e32 v15, 31, v14
	s_delay_alu instid0(VALU_DEP_1) | instskip(SKIP_1) | instid1(VALU_DEP_2)
	v_lshlrev_b64 v[20:21], 2, v[14:15]
	v_add_nc_u32_e32 v14, 64, v14
	v_add_co_u32 v20, vcc_lo, s6, v20
	s_delay_alu instid0(VALU_DEP_3) | instskip(SKIP_3) | instid1(VALU_DEP_2)
	v_add_co_ci_u32_e32 v21, vcc_lo, s7, v21, vcc_lo
	global_load_b32 v15, v[20:21], off
	v_lshlrev_b64 v[20:21], 3, v[16:17]
	v_add_nc_u32_e32 v16, 0x800, v16
	v_add_co_u32 v92, vcc_lo, s8, v20
	s_delay_alu instid0(VALU_DEP_3)
	v_add_co_ci_u32_e32 v93, vcc_lo, s9, v21, vcc_lo
	s_clause 0x3
	global_load_b128 v[20:23], v[92:93], off
	global_load_b128 v[24:27], v[92:93], off offset:64
	global_load_b128 v[28:31], v[92:93], off offset:128
	global_load_b128 v[32:35], v[92:93], off offset:192
	s_waitcnt vmcnt(4)
	v_subrev_nc_u32_e32 v15, s12, v15
	s_delay_alu instid0(VALU_DEP_1) | instskip(NEXT) | instid1(VALU_DEP_1)
	v_dual_mov_b32 v37, v17 :: v_dual_lshlrev_b32 v36, 3, v15
	v_lshlrev_b64 v[36:37], 3, v[36:37]
	s_delay_alu instid0(VALU_DEP_1) | instskip(NEXT) | instid1(VALU_DEP_2)
	v_add_co_u32 v96, vcc_lo, s10, v36
	v_add_co_ci_u32_e32 v97, vcc_lo, s11, v37, vcc_lo
	v_cmp_ge_i32_e32 vcc_lo, v14, v19
	global_load_b128 v[36:39], v[96:97], off
	s_clause 0x3
	global_load_b128 v[40:43], v[92:93], off offset:16
	global_load_b128 v[44:47], v[92:93], off offset:80
	;; [unrolled: 1-line block ×5, first 2 shown]
	s_clause 0x5
	global_load_b128 v[60:63], v[92:93], off offset:48
	global_load_b128 v[64:67], v[92:93], off offset:32
	;; [unrolled: 1-line block ×7, first 2 shown]
	s_clause 0x1
	global_load_b128 v[88:91], v[92:93], off offset:176
	global_load_b128 v[92:95], v[92:93], off offset:240
	s_or_b32 s2, vcc_lo, s2
	s_waitcnt vmcnt(14)
	v_fma_f64 v[6:7], v[20:21], v[36:37], v[6:7]
	v_fma_f64 v[12:13], v[24:25], v[36:37], v[12:13]
	;; [unrolled: 1-line block ×4, first 2 shown]
	s_delay_alu instid0(VALU_DEP_4)
	v_fma_f64 v[6:7], v[22:23], v[38:39], v[6:7]
	global_load_b128 v[20:23], v[96:97], off offset:48
	v_fma_f64 v[12:13], v[26:27], v[38:39], v[12:13]
	v_fma_f64 v[10:11], v[30:31], v[38:39], v[10:11]
	;; [unrolled: 1-line block ×3, first 2 shown]
	s_waitcnt vmcnt(10)
	v_fma_f64 v[6:7], v[40:41], v[56:57], v[6:7]
	s_delay_alu instid0(VALU_DEP_4) | instskip(NEXT) | instid1(VALU_DEP_4)
	v_fma_f64 v[12:13], v[44:45], v[56:57], v[12:13]
	v_fma_f64 v[10:11], v[48:49], v[56:57], v[10:11]
	s_delay_alu instid0(VALU_DEP_4) | instskip(NEXT) | instid1(VALU_DEP_4)
	v_fma_f64 v[8:9], v[52:53], v[56:57], v[8:9]
	;; [unrolled: 3-line block ×3, first 2 shown]
	v_fma_f64 v[10:11], v[50:51], v[58:59], v[10:11]
	s_delay_alu instid0(VALU_DEP_4) | instskip(SKIP_1) | instid1(VALU_DEP_4)
	v_fma_f64 v[8:9], v[54:55], v[58:59], v[8:9]
	s_waitcnt vmcnt(3)
	v_fma_f64 v[6:7], v[64:65], v[84:85], v[6:7]
	s_delay_alu instid0(VALU_DEP_4) | instskip(NEXT) | instid1(VALU_DEP_4)
	v_fma_f64 v[12:13], v[72:73], v[84:85], v[12:13]
	v_fma_f64 v[10:11], v[80:81], v[84:85], v[10:11]
	s_delay_alu instid0(VALU_DEP_4) | instskip(NEXT) | instid1(VALU_DEP_4)
	v_fma_f64 v[8:9], v[76:77], v[84:85], v[8:9]
	;; [unrolled: 3-line block ×3, first 2 shown]
	v_fma_f64 v[10:11], v[82:83], v[86:87], v[10:11]
	s_delay_alu instid0(VALU_DEP_4) | instskip(SKIP_1) | instid1(VALU_DEP_4)
	v_fma_f64 v[8:9], v[78:79], v[86:87], v[8:9]
	s_waitcnt vmcnt(0)
	v_fma_f64 v[6:7], v[60:61], v[20:21], v[6:7]
	s_delay_alu instid0(VALU_DEP_4) | instskip(NEXT) | instid1(VALU_DEP_4)
	v_fma_f64 v[12:13], v[68:69], v[20:21], v[12:13]
	v_fma_f64 v[10:11], v[88:89], v[20:21], v[10:11]
	s_delay_alu instid0(VALU_DEP_4) | instskip(NEXT) | instid1(VALU_DEP_4)
	v_fma_f64 v[8:9], v[92:93], v[20:21], v[8:9]
	;; [unrolled: 3-line block ×3, first 2 shown]
	v_fma_f64 v[10:11], v[90:91], v[22:23], v[10:11]
	s_delay_alu instid0(VALU_DEP_4)
	v_fma_f64 v[8:9], v[94:95], v[22:23], v[8:9]
	s_and_not1_b32 exec_lo, exec_lo, s2
	s_cbranch_execnz .LBB71_15
; %bb.16:
	s_or_b32 exec_lo, exec_lo, s2
.LBB71_17:
	s_delay_alu instid0(SALU_CYCLE_1)
	s_or_b32 exec_lo, exec_lo, s3
.LBB71_18:
	v_mbcnt_lo_u32_b32 v24, -1, 0
	s_delay_alu instid0(VALU_DEP_1) | instskip(NEXT) | instid1(VALU_DEP_1)
	v_or_b32_e32 v14, 32, v24
	v_cmp_gt_i32_e32 vcc_lo, 32, v14
	v_cndmask_b32_e32 v14, v24, v14, vcc_lo
	s_delay_alu instid0(VALU_DEP_1)
	v_lshlrev_b32_e32 v21, 2, v14
	ds_bpermute_b32 v14, v21, v6
	ds_bpermute_b32 v15, v21, v7
	ds_bpermute_b32 v16, v21, v12
	ds_bpermute_b32 v17, v21, v13
	ds_bpermute_b32 v18, v21, v10
	ds_bpermute_b32 v19, v21, v11
	ds_bpermute_b32 v20, v21, v8
	ds_bpermute_b32 v21, v21, v9
	s_waitcnt lgkmcnt(6)
	v_add_f64 v[6:7], v[6:7], v[14:15]
	v_xor_b32_e32 v14, 16, v24
	s_waitcnt lgkmcnt(4)
	v_add_f64 v[12:13], v[12:13], v[16:17]
	s_waitcnt lgkmcnt(2)
	v_add_f64 v[10:11], v[10:11], v[18:19]
	s_waitcnt lgkmcnt(0)
	v_add_f64 v[8:9], v[8:9], v[20:21]
	v_cmp_gt_i32_e32 vcc_lo, 32, v14
	v_cndmask_b32_e32 v14, v24, v14, vcc_lo
	s_delay_alu instid0(VALU_DEP_1)
	v_lshlrev_b32_e32 v21, 2, v14
	ds_bpermute_b32 v14, v21, v6
	ds_bpermute_b32 v15, v21, v7
	ds_bpermute_b32 v16, v21, v12
	ds_bpermute_b32 v17, v21, v13
	ds_bpermute_b32 v18, v21, v10
	ds_bpermute_b32 v19, v21, v11
	ds_bpermute_b32 v20, v21, v8
	ds_bpermute_b32 v21, v21, v9
	s_waitcnt lgkmcnt(6)
	v_add_f64 v[6:7], v[6:7], v[14:15]
	v_xor_b32_e32 v14, 8, v24
	s_waitcnt lgkmcnt(4)
	v_add_f64 v[12:13], v[12:13], v[16:17]
	s_waitcnt lgkmcnt(2)
	v_add_f64 v[10:11], v[10:11], v[18:19]
	s_waitcnt lgkmcnt(0)
	v_add_f64 v[8:9], v[8:9], v[20:21]
	;; [unrolled: 21-line block ×3, first 2 shown]
	v_cmp_gt_i32_e32 vcc_lo, 32, v14
	v_cndmask_b32_e32 v14, v24, v14, vcc_lo
	s_delay_alu instid0(VALU_DEP_1)
	v_lshlrev_b32_e32 v21, 2, v14
	ds_bpermute_b32 v14, v21, v6
	ds_bpermute_b32 v15, v21, v7
	;; [unrolled: 1-line block ×8, first 2 shown]
	s_waitcnt lgkmcnt(6)
	v_add_f64 v[6:7], v[6:7], v[14:15]
	s_waitcnt lgkmcnt(4)
	v_add_f64 v[12:13], v[12:13], v[16:17]
	s_waitcnt lgkmcnt(2)
	v_add_f64 v[14:15], v[10:11], v[18:19]
	s_waitcnt lgkmcnt(0)
	v_add_f64 v[16:17], v[8:9], v[20:21]
	v_xor_b32_e32 v8, 2, v24
	s_delay_alu instid0(VALU_DEP_1) | instskip(SKIP_1) | instid1(VALU_DEP_1)
	v_cmp_gt_i32_e32 vcc_lo, 32, v8
	v_cndmask_b32_e32 v8, v24, v8, vcc_lo
	v_lshlrev_b32_e32 v10, 2, v8
	ds_bpermute_b32 v8, v10, v6
	ds_bpermute_b32 v9, v10, v7
	ds_bpermute_b32 v18, v10, v12
	ds_bpermute_b32 v19, v10, v13
	ds_bpermute_b32 v20, v10, v14
	ds_bpermute_b32 v21, v10, v15
	ds_bpermute_b32 v22, v10, v16
	ds_bpermute_b32 v23, v10, v17
	s_waitcnt lgkmcnt(6)
	v_add_f64 v[10:11], v[6:7], v[8:9]
	s_waitcnt lgkmcnt(4)
	v_add_f64 v[8:9], v[12:13], v[18:19]
	v_xor_b32_e32 v12, 1, v24
	s_waitcnt lgkmcnt(2)
	v_add_f64 v[6:7], v[14:15], v[20:21]
	s_waitcnt lgkmcnt(0)
	v_add_f64 v[14:15], v[16:17], v[22:23]
	v_cmp_gt_i32_e32 vcc_lo, 32, v12
	v_cndmask_b32_e32 v12, v24, v12, vcc_lo
	v_cmp_eq_u32_e32 vcc_lo, 63, v0
	s_delay_alu instid0(VALU_DEP_2)
	v_lshlrev_b32_e32 v17, 2, v12
	ds_bpermute_b32 v12, v17, v10
	ds_bpermute_b32 v13, v17, v11
	;; [unrolled: 1-line block ×8, first 2 shown]
	s_and_b32 exec_lo, exec_lo, vcc_lo
	s_cbranch_execz .LBB71_23
; %bb.19:
	s_waitcnt lgkmcnt(6)
	v_add_f64 v[12:13], v[10:11], v[12:13]
	s_waitcnt lgkmcnt(4)
	v_add_f64 v[10:11], v[8:9], v[20:21]
	;; [unrolled: 2-line block ×4, first 2 shown]
	s_load_b64 s[0:1], s[0:1], 0x38
	s_mov_b32 s2, exec_lo
	v_cmpx_eq_f64_e32 0, v[3:4]
	s_xor_b32 s2, exec_lo, s2
	s_cbranch_execz .LBB71_21
; %bb.20:
	v_mul_f64 v[12:13], v[1:2], v[12:13]
	v_mul_f64 v[14:15], v[1:2], v[10:11]
	;; [unrolled: 1-line block ×4, first 2 shown]
	v_lshlrev_b32_e32 v0, 2, v5
                                        ; implicit-def: $vgpr5
                                        ; implicit-def: $vgpr3_vgpr4
                                        ; implicit-def: $vgpr6_vgpr7
	s_delay_alu instid0(VALU_DEP_1) | instskip(NEXT) | instid1(VALU_DEP_1)
	v_ashrrev_i32_e32 v1, 31, v0
	v_lshlrev_b64 v[0:1], 3, v[0:1]
	s_waitcnt lgkmcnt(0)
	s_delay_alu instid0(VALU_DEP_1) | instskip(NEXT) | instid1(VALU_DEP_2)
	v_add_co_u32 v0, vcc_lo, s0, v0
	v_add_co_ci_u32_e32 v1, vcc_lo, s1, v1, vcc_lo
	s_clause 0x1
	global_store_b128 v[0:1], v[12:15], off
	global_store_b128 v[0:1], v[8:11], off offset:16
                                        ; implicit-def: $vgpr1_vgpr2
                                        ; implicit-def: $vgpr12_vgpr13
                                        ; implicit-def: $vgpr10_vgpr11
                                        ; implicit-def: $vgpr8_vgpr9
.LBB71_21:
	s_and_not1_saveexec_b32 s2, s2
	s_cbranch_execz .LBB71_23
; %bb.22:
	v_lshlrev_b32_e32 v14, 2, v5
	v_mul_f64 v[12:13], v[1:2], v[12:13]
	v_mul_f64 v[10:11], v[1:2], v[10:11]
	;; [unrolled: 1-line block ×4, first 2 shown]
	v_ashrrev_i32_e32 v15, 31, v14
	s_delay_alu instid0(VALU_DEP_1) | instskip(SKIP_1) | instid1(VALU_DEP_1)
	v_lshlrev_b64 v[14:15], 3, v[14:15]
	s_waitcnt lgkmcnt(0)
	v_add_co_u32 v22, vcc_lo, s0, v14
	s_delay_alu instid0(VALU_DEP_2)
	v_add_co_ci_u32_e32 v23, vcc_lo, s1, v15, vcc_lo
	s_clause 0x1
	global_load_b128 v[14:17], v[22:23], off
	global_load_b128 v[18:21], v[22:23], off offset:16
	s_waitcnt vmcnt(1)
	v_fma_f64 v[5:6], v[3:4], v[14:15], v[12:13]
	v_fma_f64 v[7:8], v[3:4], v[16:17], v[10:11]
	s_waitcnt vmcnt(0)
	v_fma_f64 v[0:1], v[3:4], v[18:19], v[24:25]
	v_fma_f64 v[2:3], v[3:4], v[20:21], v[26:27]
	s_clause 0x1
	global_store_b128 v[22:23], v[5:8], off
	global_store_b128 v[22:23], v[0:3], off offset:16
.LBB71_23:
	s_nop 0
	s_sendmsg sendmsg(MSG_DEALLOC_VGPRS)
	s_endpgm
	.section	.rodata,"a",@progbits
	.p2align	6, 0x0
	.amdhsa_kernel _ZN9rocsparseL19gebsrmvn_4xn_kernelILj128ELj8ELj64EdEEvi20rocsparse_direction_NS_24const_host_device_scalarIT2_EEPKiS6_PKS3_S8_S4_PS3_21rocsparse_index_base_b
		.amdhsa_group_segment_fixed_size 0
		.amdhsa_private_segment_fixed_size 0
		.amdhsa_kernarg_size 72
		.amdhsa_user_sgpr_count 15
		.amdhsa_user_sgpr_dispatch_ptr 0
		.amdhsa_user_sgpr_queue_ptr 0
		.amdhsa_user_sgpr_kernarg_segment_ptr 1
		.amdhsa_user_sgpr_dispatch_id 0
		.amdhsa_user_sgpr_private_segment_size 0
		.amdhsa_wavefront_size32 1
		.amdhsa_uses_dynamic_stack 0
		.amdhsa_enable_private_segment 0
		.amdhsa_system_sgpr_workgroup_id_x 1
		.amdhsa_system_sgpr_workgroup_id_y 0
		.amdhsa_system_sgpr_workgroup_id_z 0
		.amdhsa_system_sgpr_workgroup_info 0
		.amdhsa_system_vgpr_workitem_id 0
		.amdhsa_next_free_vgpr 100
		.amdhsa_next_free_sgpr 16
		.amdhsa_reserve_vcc 1
		.amdhsa_float_round_mode_32 0
		.amdhsa_float_round_mode_16_64 0
		.amdhsa_float_denorm_mode_32 3
		.amdhsa_float_denorm_mode_16_64 3
		.amdhsa_dx10_clamp 1
		.amdhsa_ieee_mode 1
		.amdhsa_fp16_overflow 0
		.amdhsa_workgroup_processor_mode 1
		.amdhsa_memory_ordered 1
		.amdhsa_forward_progress 0
		.amdhsa_shared_vgpr_count 0
		.amdhsa_exception_fp_ieee_invalid_op 0
		.amdhsa_exception_fp_denorm_src 0
		.amdhsa_exception_fp_ieee_div_zero 0
		.amdhsa_exception_fp_ieee_overflow 0
		.amdhsa_exception_fp_ieee_underflow 0
		.amdhsa_exception_fp_ieee_inexact 0
		.amdhsa_exception_int_div_zero 0
	.end_amdhsa_kernel
	.section	.text._ZN9rocsparseL19gebsrmvn_4xn_kernelILj128ELj8ELj64EdEEvi20rocsparse_direction_NS_24const_host_device_scalarIT2_EEPKiS6_PKS3_S8_S4_PS3_21rocsparse_index_base_b,"axG",@progbits,_ZN9rocsparseL19gebsrmvn_4xn_kernelILj128ELj8ELj64EdEEvi20rocsparse_direction_NS_24const_host_device_scalarIT2_EEPKiS6_PKS3_S8_S4_PS3_21rocsparse_index_base_b,comdat
.Lfunc_end71:
	.size	_ZN9rocsparseL19gebsrmvn_4xn_kernelILj128ELj8ELj64EdEEvi20rocsparse_direction_NS_24const_host_device_scalarIT2_EEPKiS6_PKS3_S8_S4_PS3_21rocsparse_index_base_b, .Lfunc_end71-_ZN9rocsparseL19gebsrmvn_4xn_kernelILj128ELj8ELj64EdEEvi20rocsparse_direction_NS_24const_host_device_scalarIT2_EEPKiS6_PKS3_S8_S4_PS3_21rocsparse_index_base_b
                                        ; -- End function
	.section	.AMDGPU.csdata,"",@progbits
; Kernel info:
; codeLenInByte = 2908
; NumSgprs: 18
; NumVgprs: 100
; ScratchSize: 0
; MemoryBound: 1
; FloatMode: 240
; IeeeMode: 1
; LDSByteSize: 0 bytes/workgroup (compile time only)
; SGPRBlocks: 2
; VGPRBlocks: 12
; NumSGPRsForWavesPerEU: 18
; NumVGPRsForWavesPerEU: 100
; Occupancy: 12
; WaveLimiterHint : 1
; COMPUTE_PGM_RSRC2:SCRATCH_EN: 0
; COMPUTE_PGM_RSRC2:USER_SGPR: 15
; COMPUTE_PGM_RSRC2:TRAP_HANDLER: 0
; COMPUTE_PGM_RSRC2:TGID_X_EN: 1
; COMPUTE_PGM_RSRC2:TGID_Y_EN: 0
; COMPUTE_PGM_RSRC2:TGID_Z_EN: 0
; COMPUTE_PGM_RSRC2:TIDIG_COMP_CNT: 0
	.section	.text._ZN9rocsparseL23gebsrmvn_general_kernelILj64ELj16EdEEvi20rocsparse_direction_NS_24const_host_device_scalarIT1_EEPKiS6_PKS3_iiS8_S4_PS3_21rocsparse_index_base_b,"axG",@progbits,_ZN9rocsparseL23gebsrmvn_general_kernelILj64ELj16EdEEvi20rocsparse_direction_NS_24const_host_device_scalarIT1_EEPKiS6_PKS3_iiS8_S4_PS3_21rocsparse_index_base_b,comdat
	.globl	_ZN9rocsparseL23gebsrmvn_general_kernelILj64ELj16EdEEvi20rocsparse_direction_NS_24const_host_device_scalarIT1_EEPKiS6_PKS3_iiS8_S4_PS3_21rocsparse_index_base_b ; -- Begin function _ZN9rocsparseL23gebsrmvn_general_kernelILj64ELj16EdEEvi20rocsparse_direction_NS_24const_host_device_scalarIT1_EEPKiS6_PKS3_iiS8_S4_PS3_21rocsparse_index_base_b
	.p2align	8
	.type	_ZN9rocsparseL23gebsrmvn_general_kernelILj64ELj16EdEEvi20rocsparse_direction_NS_24const_host_device_scalarIT1_EEPKiS6_PKS3_iiS8_S4_PS3_21rocsparse_index_base_b,@function
_ZN9rocsparseL23gebsrmvn_general_kernelILj64ELj16EdEEvi20rocsparse_direction_NS_24const_host_device_scalarIT1_EEPKiS6_PKS3_iiS8_S4_PS3_21rocsparse_index_base_b: ; @_ZN9rocsparseL23gebsrmvn_general_kernelILj64ELj16EdEEvi20rocsparse_direction_NS_24const_host_device_scalarIT1_EEPKiS6_PKS3_iiS8_S4_PS3_21rocsparse_index_base_b
; %bb.0:
	s_clause 0x2
	s_load_b64 s[8:9], s[0:1], 0x48
	s_load_b64 s[4:5], s[0:1], 0x8
	;; [unrolled: 1-line block ×3, first 2 shown]
	s_mov_b32 s16, s15
	s_waitcnt lgkmcnt(0)
	s_bitcmp1_b32 s9, 0
	v_dual_mov_b32 v1, s4 :: v_dual_mov_b32 v2, s5
	s_cselect_b32 s6, -1, 0
	s_delay_alu instid0(SALU_CYCLE_1)
	s_and_b32 vcc_lo, exec_lo, s6
	s_xor_b32 s6, s6, -1
	s_cbranch_vccnz .LBB72_2
; %bb.1:
	v_dual_mov_b32 v1, s4 :: v_dual_mov_b32 v2, s5
	flat_load_b64 v[1:2], v[1:2]
.LBB72_2:
	v_dual_mov_b32 v4, s3 :: v_dual_mov_b32 v3, s2
	s_and_not1_b32 vcc_lo, exec_lo, s6
	s_cbranch_vccnz .LBB72_4
; %bb.3:
	v_dual_mov_b32 v4, s3 :: v_dual_mov_b32 v3, s2
	flat_load_b64 v[3:4], v[3:4]
.LBB72_4:
	s_waitcnt vmcnt(0) lgkmcnt(0)
	v_cmp_neq_f64_e32 vcc_lo, 0, v[1:2]
	v_cmp_neq_f64_e64 s2, 1.0, v[3:4]
	s_delay_alu instid0(VALU_DEP_1) | instskip(NEXT) | instid1(SALU_CYCLE_1)
	s_or_b32 s2, vcc_lo, s2
	s_and_saveexec_b32 s3, s2
	s_cbranch_execz .LBB72_24
; %bb.5:
	s_load_b64 s[10:11], s[0:1], 0x28
	v_lshrrev_b32_e32 v5, 4, v0
	s_waitcnt lgkmcnt(0)
	s_delay_alu instid0(VALU_DEP_1)
	v_cmp_gt_i32_e32 vcc_lo, s10, v5
	s_and_b32 exec_lo, exec_lo, vcc_lo
	s_cbranch_execz .LBB72_24
; %bb.6:
	s_load_b128 s[4:7], s[0:1], 0x10
	s_ashr_i32 s17, s16, 31
	v_mbcnt_lo_u32_b32 v8, -1, 0
	s_lshl_b64 s[2:3], s[16:17], 2
	s_load_b32 s17, s[0:1], 0x4
	s_mul_i32 s23, s11, s10
	s_delay_alu instid0(VALU_DEP_1) | instskip(SKIP_3) | instid1(VALU_DEP_4)
	v_xor_b32_e32 v6, 8, v8
	v_xor_b32_e32 v7, 4, v8
	;; [unrolled: 1-line block ×4, first 2 shown]
	v_cmp_gt_i32_e32 vcc_lo, 32, v6
	v_dual_cndmask_b32 v11, v8, v6 :: v_dual_and_b32 v0, 15, v0
	v_cmp_gt_i32_e32 vcc_lo, 32, v7
	s_waitcnt lgkmcnt(0)
	s_add_u32 s2, s4, s2
	s_addc_u32 s3, s5, s3
	v_cndmask_b32_e32 v12, v8, v7, vcc_lo
	s_load_b64 s[20:21], s[2:3], 0x0
	v_cmp_eq_f64_e64 s2, 0, v[3:4]
	s_clause 0x2
	s_load_b64 s[4:5], s[0:1], 0x20
	s_load_b64 s[12:13], s[0:1], 0x30
	;; [unrolled: 1-line block ×3, first 2 shown]
	v_cmp_gt_i32_e32 vcc_lo, 32, v9
	v_cmp_gt_i32_e64 s0, s11, v0
	v_cmp_eq_u32_e64 s1, 15, v0
	s_mov_b32 s3, 0
	s_waitcnt lgkmcnt(0)
	s_sub_i32 s9, s20, s8
	s_sub_i32 s18, s21, s8
	v_mad_u64_u32 v[6:7], null, s10, s9, v[5:6]
	v_cndmask_b32_e32 v7, v8, v9, vcc_lo
	v_cmp_gt_i32_e32 vcc_lo, 32, v10
	s_cmp_lt_i32 s20, s21
	s_mul_i32 s21, s16, s10
	s_cselect_b32 s19, -1, 0
	s_cmp_lg_u32 s17, 0
	v_cndmask_b32_e32 v8, v8, v10, vcc_lo
	v_mul_lo_u32 v13, s11, v6
	v_lshlrev_b32_e32 v10, 2, v11
	v_lshlrev_b32_e32 v11, 2, v12
	;; [unrolled: 1-line block ×4, first 2 shown]
	s_cselect_b32 s20, -1, 0
	s_lshl_b32 s22, s11, 2
	s_branch .LBB72_8
.LBB72_7:                               ;   in Loop: Header=BB72_8 Depth=1
	s_or_b32 exec_lo, exec_lo, s16
	v_add_nc_u32_e32 v5, 4, v5
	v_add_nc_u32_e32 v13, s22, v13
	s_delay_alu instid0(VALU_DEP_2) | instskip(SKIP_1) | instid1(SALU_CYCLE_1)
	v_cmp_le_i32_e32 vcc_lo, s10, v5
	s_or_b32 s3, vcc_lo, s3
	s_and_not1_b32 exec_lo, exec_lo, s3
	s_cbranch_execz .LBB72_24
.LBB72_8:                               ; =>This Loop Header: Depth=1
                                        ;     Child Loop BB72_12 Depth 2
                                        ;       Child Loop BB72_15 Depth 3
	v_mov_b32_e32 v6, 0
	v_mov_b32_e32 v7, 0
	s_and_not1_b32 vcc_lo, exec_lo, s19
	s_cbranch_vccnz .LBB72_19
; %bb.9:                                ;   in Loop: Header=BB72_8 Depth=1
	v_dual_mov_b32 v6, 0 :: v_dual_mov_b32 v15, v13
	v_mov_b32_e32 v7, 0
	s_mov_b32 s16, s9
	s_branch .LBB72_12
.LBB72_10:                              ;   in Loop: Header=BB72_12 Depth=2
	s_set_inst_prefetch_distance 0x2
	s_or_b32 exec_lo, exec_lo, s25
.LBB72_11:                              ;   in Loop: Header=BB72_12 Depth=2
	s_delay_alu instid0(SALU_CYCLE_1) | instskip(SKIP_2) | instid1(SALU_CYCLE_1)
	s_or_b32 exec_lo, exec_lo, s24
	v_add_nc_u32_e32 v15, s23, v15
	s_add_i32 s16, s16, 1
	s_cmp_ge_i32 s16, s18
	s_cbranch_scc1 .LBB72_19
.LBB72_12:                              ;   Parent Loop BB72_8 Depth=1
                                        ; =>  This Loop Header: Depth=2
                                        ;       Child Loop BB72_15 Depth 3
	s_and_saveexec_b32 s24, s0
	s_cbranch_execz .LBB72_11
; %bb.13:                               ;   in Loop: Header=BB72_12 Depth=2
	s_ashr_i32 s17, s16, 31
	v_mov_b32_e32 v16, v0
	s_lshl_b64 s[26:27], s[16:17], 2
	s_mov_b32 s25, 0
	s_add_u32 s26, s6, s26
	s_addc_u32 s27, s7, s27
	s_load_b32 s17, s[26:27], 0x0
	s_waitcnt lgkmcnt(0)
	s_sub_i32 s26, s17, s8
	s_mul_i32 s17, s16, s11
	s_mul_i32 s26, s26, s11
	s_set_inst_prefetch_distance 0x1
	s_branch .LBB72_15
	.p2align	6
.LBB72_14:                              ;   in Loop: Header=BB72_15 Depth=3
	v_add_nc_u32_e32 v17, s26, v16
	s_delay_alu instid0(VALU_DEP_2) | instskip(SKIP_1) | instid1(VALU_DEP_3)
	v_ashrrev_i32_e32 v9, 31, v8
	v_add_nc_u32_e32 v16, 16, v16
	v_ashrrev_i32_e32 v18, 31, v17
	s_delay_alu instid0(VALU_DEP_3) | instskip(NEXT) | instid1(VALU_DEP_2)
	v_lshlrev_b64 v[8:9], 3, v[8:9]
	v_lshlrev_b64 v[17:18], 3, v[17:18]
	s_delay_alu instid0(VALU_DEP_2) | instskip(NEXT) | instid1(VALU_DEP_3)
	v_add_co_u32 v8, vcc_lo, s4, v8
	v_add_co_ci_u32_e32 v9, vcc_lo, s5, v9, vcc_lo
	s_delay_alu instid0(VALU_DEP_3) | instskip(NEXT) | instid1(VALU_DEP_4)
	v_add_co_u32 v17, vcc_lo, s12, v17
	v_add_co_ci_u32_e32 v18, vcc_lo, s13, v18, vcc_lo
	v_cmp_le_i32_e32 vcc_lo, s11, v16
	global_load_b64 v[8:9], v[8:9], off
	global_load_b64 v[17:18], v[17:18], off
	s_or_b32 s25, vcc_lo, s25
	s_waitcnt vmcnt(0)
	v_fma_f64 v[6:7], v[8:9], v[17:18], v[6:7]
	s_and_not1_b32 exec_lo, exec_lo, s25
	s_cbranch_execz .LBB72_10
.LBB72_15:                              ;   Parent Loop BB72_8 Depth=1
                                        ;     Parent Loop BB72_12 Depth=2
                                        ; =>    This Inner Loop Header: Depth=3
	s_and_b32 vcc_lo, exec_lo, s20
	s_cbranch_vccz .LBB72_17
; %bb.16:                               ;   in Loop: Header=BB72_15 Depth=3
	v_add_nc_u32_e32 v17, s17, v16
	s_delay_alu instid0(VALU_DEP_1)
	v_mad_u64_u32 v[8:9], null, v17, s10, v[5:6]
	s_cbranch_execnz .LBB72_14
	s_branch .LBB72_18
	.p2align	6
.LBB72_17:                              ;   in Loop: Header=BB72_15 Depth=3
                                        ; implicit-def: $vgpr8
.LBB72_18:                              ;   in Loop: Header=BB72_15 Depth=3
	v_add_nc_u32_e32 v8, v15, v16
	s_branch .LBB72_14
.LBB72_19:                              ;   in Loop: Header=BB72_8 Depth=1
	s_waitcnt lgkmcnt(1)
	ds_bpermute_b32 v8, v10, v6
	s_waitcnt lgkmcnt(1)
	ds_bpermute_b32 v9, v10, v7
	s_waitcnt lgkmcnt(0)
	v_add_f64 v[6:7], v[6:7], v[8:9]
	ds_bpermute_b32 v8, v11, v6
	ds_bpermute_b32 v9, v11, v7
	s_waitcnt lgkmcnt(0)
	v_add_f64 v[6:7], v[6:7], v[8:9]
	ds_bpermute_b32 v8, v12, v6
	;; [unrolled: 4-line block ×3, first 2 shown]
	ds_bpermute_b32 v9, v14, v7
	s_and_saveexec_b32 s16, s1
	s_cbranch_execz .LBB72_7
; %bb.20:                               ;   in Loop: Header=BB72_8 Depth=1
	s_waitcnt lgkmcnt(0)
	v_add_f64 v[6:7], v[6:7], v[8:9]
	v_add_nc_u32_e32 v8, s21, v5
	s_delay_alu instid0(VALU_DEP_1) | instskip(NEXT) | instid1(VALU_DEP_3)
	v_ashrrev_i32_e32 v9, 31, v8
	v_mul_f64 v[6:7], v[1:2], v[6:7]
	s_and_saveexec_b32 s17, s2
	s_delay_alu instid0(SALU_CYCLE_1)
	s_xor_b32 s17, exec_lo, s17
	s_cbranch_execz .LBB72_22
; %bb.21:                               ;   in Loop: Header=BB72_8 Depth=1
	v_lshlrev_b64 v[8:9], 3, v[8:9]
	s_delay_alu instid0(VALU_DEP_1) | instskip(NEXT) | instid1(VALU_DEP_2)
	v_add_co_u32 v8, vcc_lo, s14, v8
	v_add_co_ci_u32_e32 v9, vcc_lo, s15, v9, vcc_lo
	global_store_b64 v[8:9], v[6:7], off
                                        ; implicit-def: $vgpr8
                                        ; implicit-def: $vgpr6_vgpr7
.LBB72_22:                              ;   in Loop: Header=BB72_8 Depth=1
	s_and_not1_saveexec_b32 s17, s17
	s_cbranch_execz .LBB72_7
; %bb.23:                               ;   in Loop: Header=BB72_8 Depth=1
	v_lshlrev_b64 v[8:9], 3, v[8:9]
	s_delay_alu instid0(VALU_DEP_1) | instskip(NEXT) | instid1(VALU_DEP_2)
	v_add_co_u32 v8, vcc_lo, s14, v8
	v_add_co_ci_u32_e32 v9, vcc_lo, s15, v9, vcc_lo
	global_load_b64 v[15:16], v[8:9], off
	s_waitcnt vmcnt(0)
	v_fma_f64 v[6:7], v[3:4], v[15:16], v[6:7]
	global_store_b64 v[8:9], v[6:7], off
	s_branch .LBB72_7
.LBB72_24:
	s_nop 0
	s_sendmsg sendmsg(MSG_DEALLOC_VGPRS)
	s_endpgm
	.section	.rodata,"a",@progbits
	.p2align	6, 0x0
	.amdhsa_kernel _ZN9rocsparseL23gebsrmvn_general_kernelILj64ELj16EdEEvi20rocsparse_direction_NS_24const_host_device_scalarIT1_EEPKiS6_PKS3_iiS8_S4_PS3_21rocsparse_index_base_b
		.amdhsa_group_segment_fixed_size 0
		.amdhsa_private_segment_fixed_size 0
		.amdhsa_kernarg_size 80
		.amdhsa_user_sgpr_count 15
		.amdhsa_user_sgpr_dispatch_ptr 0
		.amdhsa_user_sgpr_queue_ptr 0
		.amdhsa_user_sgpr_kernarg_segment_ptr 1
		.amdhsa_user_sgpr_dispatch_id 0
		.amdhsa_user_sgpr_private_segment_size 0
		.amdhsa_wavefront_size32 1
		.amdhsa_uses_dynamic_stack 0
		.amdhsa_enable_private_segment 0
		.amdhsa_system_sgpr_workgroup_id_x 1
		.amdhsa_system_sgpr_workgroup_id_y 0
		.amdhsa_system_sgpr_workgroup_id_z 0
		.amdhsa_system_sgpr_workgroup_info 0
		.amdhsa_system_vgpr_workitem_id 0
		.amdhsa_next_free_vgpr 19
		.amdhsa_next_free_sgpr 28
		.amdhsa_reserve_vcc 1
		.amdhsa_float_round_mode_32 0
		.amdhsa_float_round_mode_16_64 0
		.amdhsa_float_denorm_mode_32 3
		.amdhsa_float_denorm_mode_16_64 3
		.amdhsa_dx10_clamp 1
		.amdhsa_ieee_mode 1
		.amdhsa_fp16_overflow 0
		.amdhsa_workgroup_processor_mode 1
		.amdhsa_memory_ordered 1
		.amdhsa_forward_progress 0
		.amdhsa_shared_vgpr_count 0
		.amdhsa_exception_fp_ieee_invalid_op 0
		.amdhsa_exception_fp_denorm_src 0
		.amdhsa_exception_fp_ieee_div_zero 0
		.amdhsa_exception_fp_ieee_overflow 0
		.amdhsa_exception_fp_ieee_underflow 0
		.amdhsa_exception_fp_ieee_inexact 0
		.amdhsa_exception_int_div_zero 0
	.end_amdhsa_kernel
	.section	.text._ZN9rocsparseL23gebsrmvn_general_kernelILj64ELj16EdEEvi20rocsparse_direction_NS_24const_host_device_scalarIT1_EEPKiS6_PKS3_iiS8_S4_PS3_21rocsparse_index_base_b,"axG",@progbits,_ZN9rocsparseL23gebsrmvn_general_kernelILj64ELj16EdEEvi20rocsparse_direction_NS_24const_host_device_scalarIT1_EEPKiS6_PKS3_iiS8_S4_PS3_21rocsparse_index_base_b,comdat
.Lfunc_end72:
	.size	_ZN9rocsparseL23gebsrmvn_general_kernelILj64ELj16EdEEvi20rocsparse_direction_NS_24const_host_device_scalarIT1_EEPKiS6_PKS3_iiS8_S4_PS3_21rocsparse_index_base_b, .Lfunc_end72-_ZN9rocsparseL23gebsrmvn_general_kernelILj64ELj16EdEEvi20rocsparse_direction_NS_24const_host_device_scalarIT1_EEPKiS6_PKS3_iiS8_S4_PS3_21rocsparse_index_base_b
                                        ; -- End function
	.section	.AMDGPU.csdata,"",@progbits
; Kernel info:
; codeLenInByte = 1012
; NumSgprs: 30
; NumVgprs: 19
; ScratchSize: 0
; MemoryBound: 0
; FloatMode: 240
; IeeeMode: 1
; LDSByteSize: 0 bytes/workgroup (compile time only)
; SGPRBlocks: 3
; VGPRBlocks: 2
; NumSGPRsForWavesPerEU: 30
; NumVGPRsForWavesPerEU: 19
; Occupancy: 16
; WaveLimiterHint : 1
; COMPUTE_PGM_RSRC2:SCRATCH_EN: 0
; COMPUTE_PGM_RSRC2:USER_SGPR: 15
; COMPUTE_PGM_RSRC2:TRAP_HANDLER: 0
; COMPUTE_PGM_RSRC2:TGID_X_EN: 1
; COMPUTE_PGM_RSRC2:TGID_Y_EN: 0
; COMPUTE_PGM_RSRC2:TGID_Z_EN: 0
; COMPUTE_PGM_RSRC2:TIDIG_COMP_CNT: 0
	.section	.text._ZN9rocsparseL23gebsrmvn_general_kernelILj128ELj32EdEEvi20rocsparse_direction_NS_24const_host_device_scalarIT1_EEPKiS6_PKS3_iiS8_S4_PS3_21rocsparse_index_base_b,"axG",@progbits,_ZN9rocsparseL23gebsrmvn_general_kernelILj128ELj32EdEEvi20rocsparse_direction_NS_24const_host_device_scalarIT1_EEPKiS6_PKS3_iiS8_S4_PS3_21rocsparse_index_base_b,comdat
	.globl	_ZN9rocsparseL23gebsrmvn_general_kernelILj128ELj32EdEEvi20rocsparse_direction_NS_24const_host_device_scalarIT1_EEPKiS6_PKS3_iiS8_S4_PS3_21rocsparse_index_base_b ; -- Begin function _ZN9rocsparseL23gebsrmvn_general_kernelILj128ELj32EdEEvi20rocsparse_direction_NS_24const_host_device_scalarIT1_EEPKiS6_PKS3_iiS8_S4_PS3_21rocsparse_index_base_b
	.p2align	8
	.type	_ZN9rocsparseL23gebsrmvn_general_kernelILj128ELj32EdEEvi20rocsparse_direction_NS_24const_host_device_scalarIT1_EEPKiS6_PKS3_iiS8_S4_PS3_21rocsparse_index_base_b,@function
_ZN9rocsparseL23gebsrmvn_general_kernelILj128ELj32EdEEvi20rocsparse_direction_NS_24const_host_device_scalarIT1_EEPKiS6_PKS3_iiS8_S4_PS3_21rocsparse_index_base_b: ; @_ZN9rocsparseL23gebsrmvn_general_kernelILj128ELj32EdEEvi20rocsparse_direction_NS_24const_host_device_scalarIT1_EEPKiS6_PKS3_iiS8_S4_PS3_21rocsparse_index_base_b
; %bb.0:
	s_clause 0x2
	s_load_b64 s[8:9], s[0:1], 0x48
	s_load_b64 s[4:5], s[0:1], 0x8
	;; [unrolled: 1-line block ×3, first 2 shown]
	s_mov_b32 s16, s15
	s_waitcnt lgkmcnt(0)
	s_bitcmp1_b32 s9, 0
	v_dual_mov_b32 v1, s4 :: v_dual_mov_b32 v2, s5
	s_cselect_b32 s6, -1, 0
	s_delay_alu instid0(SALU_CYCLE_1)
	s_and_b32 vcc_lo, exec_lo, s6
	s_xor_b32 s6, s6, -1
	s_cbranch_vccnz .LBB73_2
; %bb.1:
	v_dual_mov_b32 v1, s4 :: v_dual_mov_b32 v2, s5
	flat_load_b64 v[1:2], v[1:2]
.LBB73_2:
	v_dual_mov_b32 v4, s3 :: v_dual_mov_b32 v3, s2
	s_and_not1_b32 vcc_lo, exec_lo, s6
	s_cbranch_vccnz .LBB73_4
; %bb.3:
	v_dual_mov_b32 v4, s3 :: v_dual_mov_b32 v3, s2
	flat_load_b64 v[3:4], v[3:4]
.LBB73_4:
	s_waitcnt vmcnt(0) lgkmcnt(0)
	v_cmp_neq_f64_e32 vcc_lo, 0, v[1:2]
	v_cmp_neq_f64_e64 s2, 1.0, v[3:4]
	s_delay_alu instid0(VALU_DEP_1) | instskip(NEXT) | instid1(SALU_CYCLE_1)
	s_or_b32 s2, vcc_lo, s2
	s_and_saveexec_b32 s3, s2
	s_cbranch_execz .LBB73_24
; %bb.5:
	s_load_b64 s[10:11], s[0:1], 0x28
	v_lshrrev_b32_e32 v5, 5, v0
	s_waitcnt lgkmcnt(0)
	s_delay_alu instid0(VALU_DEP_1)
	v_cmp_gt_i32_e32 vcc_lo, s10, v5
	s_and_b32 exec_lo, exec_lo, vcc_lo
	s_cbranch_execz .LBB73_24
; %bb.6:
	s_load_b128 s[4:7], s[0:1], 0x10
	v_mbcnt_lo_u32_b32 v8, -1, 0
	s_ashr_i32 s17, s16, 31
	s_mul_i32 s23, s11, s10
	s_lshl_b64 s[2:3], s[16:17], 2
	s_load_b32 s17, s[0:1], 0x4
	v_xor_b32_e32 v6, 16, v8
	v_xor_b32_e32 v7, 8, v8
	;; [unrolled: 1-line block ×5, first 2 shown]
	v_cmp_gt_i32_e32 vcc_lo, 32, v6
	v_cndmask_b32_e32 v12, v8, v6, vcc_lo
	v_cmp_gt_i32_e32 vcc_lo, 32, v7
	v_and_b32_e32 v0, 31, v0
	s_waitcnt lgkmcnt(0)
	s_add_u32 s2, s4, s2
	s_addc_u32 s3, s5, s3
	v_cndmask_b32_e32 v13, v8, v7, vcc_lo
	s_load_b64 s[20:21], s[2:3], 0x0
	s_clause 0x2
	s_load_b64 s[4:5], s[0:1], 0x20
	s_load_b64 s[12:13], s[0:1], 0x30
	;; [unrolled: 1-line block ×3, first 2 shown]
	v_cmp_eq_f64_e64 s0, 0, v[3:4]
	v_cmp_gt_i32_e32 vcc_lo, 32, v9
	v_cmp_gt_i32_e64 s1, s11, v0
	v_cmp_eq_u32_e64 s2, 31, v0
	s_mov_b32 s3, 0
	v_cndmask_b32_e32 v9, v8, v9, vcc_lo
	v_cmp_gt_i32_e32 vcc_lo, 32, v10
	v_cndmask_b32_e32 v14, v8, v10, vcc_lo
	v_cmp_gt_i32_e32 vcc_lo, 32, v11
	s_waitcnt lgkmcnt(0)
	s_sub_i32 s9, s20, s8
	s_sub_i32 s18, s21, s8
	v_mad_u64_u32 v[6:7], null, s10, s9, v[5:6]
	v_cndmask_b32_e32 v7, v8, v11, vcc_lo
	v_lshlrev_b32_e32 v11, 2, v13
	v_lshlrev_b32_e32 v10, 2, v12
	;; [unrolled: 1-line block ×3, first 2 shown]
	s_cmp_lt_i32 s20, s21
	v_lshlrev_b32_e32 v15, 2, v7
	v_lshlrev_b32_e32 v13, 2, v14
	v_mul_lo_u32 v14, s11, v6
	s_cselect_b32 s19, -1, 0
	s_cmp_lg_u32 s17, 0
	s_mul_i32 s21, s16, s10
	s_cselect_b32 s20, -1, 0
	s_lshl_b32 s22, s11, 2
	s_branch .LBB73_8
.LBB73_7:                               ;   in Loop: Header=BB73_8 Depth=1
	s_or_b32 exec_lo, exec_lo, s16
	v_add_nc_u32_e32 v5, 4, v5
	v_add_nc_u32_e32 v14, s22, v14
	s_delay_alu instid0(VALU_DEP_2) | instskip(SKIP_1) | instid1(SALU_CYCLE_1)
	v_cmp_le_i32_e32 vcc_lo, s10, v5
	s_or_b32 s3, vcc_lo, s3
	s_and_not1_b32 exec_lo, exec_lo, s3
	s_cbranch_execz .LBB73_24
.LBB73_8:                               ; =>This Loop Header: Depth=1
                                        ;     Child Loop BB73_12 Depth 2
                                        ;       Child Loop BB73_15 Depth 3
	v_mov_b32_e32 v6, 0
	v_mov_b32_e32 v7, 0
	s_and_not1_b32 vcc_lo, exec_lo, s19
	s_cbranch_vccnz .LBB73_19
; %bb.9:                                ;   in Loop: Header=BB73_8 Depth=1
	v_mov_b32_e32 v6, 0
	v_dual_mov_b32 v7, 0 :: v_dual_mov_b32 v16, v14
	s_mov_b32 s16, s9
	s_branch .LBB73_12
.LBB73_10:                              ;   in Loop: Header=BB73_12 Depth=2
	s_set_inst_prefetch_distance 0x2
	s_or_b32 exec_lo, exec_lo, s25
.LBB73_11:                              ;   in Loop: Header=BB73_12 Depth=2
	s_delay_alu instid0(SALU_CYCLE_1) | instskip(SKIP_2) | instid1(SALU_CYCLE_1)
	s_or_b32 exec_lo, exec_lo, s24
	v_add_nc_u32_e32 v16, s23, v16
	s_add_i32 s16, s16, 1
	s_cmp_ge_i32 s16, s18
	s_cbranch_scc1 .LBB73_19
.LBB73_12:                              ;   Parent Loop BB73_8 Depth=1
                                        ; =>  This Loop Header: Depth=2
                                        ;       Child Loop BB73_15 Depth 3
	s_and_saveexec_b32 s24, s1
	s_cbranch_execz .LBB73_11
; %bb.13:                               ;   in Loop: Header=BB73_12 Depth=2
	s_ashr_i32 s17, s16, 31
	v_mov_b32_e32 v17, v0
	s_lshl_b64 s[26:27], s[16:17], 2
	s_mov_b32 s25, 0
	s_add_u32 s26, s6, s26
	s_addc_u32 s27, s7, s27
	s_load_b32 s17, s[26:27], 0x0
	s_waitcnt lgkmcnt(0)
	s_sub_i32 s26, s17, s8
	s_mul_i32 s17, s16, s11
	s_mul_i32 s26, s26, s11
	s_set_inst_prefetch_distance 0x1
	s_branch .LBB73_15
	.p2align	6
.LBB73_14:                              ;   in Loop: Header=BB73_15 Depth=3
	v_add_nc_u32_e32 v18, s26, v17
	s_delay_alu instid0(VALU_DEP_2) | instskip(SKIP_1) | instid1(VALU_DEP_3)
	v_ashrrev_i32_e32 v9, 31, v8
	v_add_nc_u32_e32 v17, 32, v17
	v_ashrrev_i32_e32 v19, 31, v18
	s_delay_alu instid0(VALU_DEP_3) | instskip(NEXT) | instid1(VALU_DEP_2)
	v_lshlrev_b64 v[8:9], 3, v[8:9]
	v_lshlrev_b64 v[18:19], 3, v[18:19]
	s_delay_alu instid0(VALU_DEP_2) | instskip(NEXT) | instid1(VALU_DEP_3)
	v_add_co_u32 v8, vcc_lo, s4, v8
	v_add_co_ci_u32_e32 v9, vcc_lo, s5, v9, vcc_lo
	s_delay_alu instid0(VALU_DEP_3) | instskip(NEXT) | instid1(VALU_DEP_4)
	v_add_co_u32 v18, vcc_lo, s12, v18
	v_add_co_ci_u32_e32 v19, vcc_lo, s13, v19, vcc_lo
	v_cmp_le_i32_e32 vcc_lo, s11, v17
	global_load_b64 v[8:9], v[8:9], off
	global_load_b64 v[18:19], v[18:19], off
	s_or_b32 s25, vcc_lo, s25
	s_waitcnt vmcnt(0)
	v_fma_f64 v[6:7], v[8:9], v[18:19], v[6:7]
	s_and_not1_b32 exec_lo, exec_lo, s25
	s_cbranch_execz .LBB73_10
.LBB73_15:                              ;   Parent Loop BB73_8 Depth=1
                                        ;     Parent Loop BB73_12 Depth=2
                                        ; =>    This Inner Loop Header: Depth=3
	s_and_b32 vcc_lo, exec_lo, s20
	s_cbranch_vccz .LBB73_17
; %bb.16:                               ;   in Loop: Header=BB73_15 Depth=3
	v_add_nc_u32_e32 v18, s17, v17
	s_delay_alu instid0(VALU_DEP_1)
	v_mad_u64_u32 v[8:9], null, v18, s10, v[5:6]
	s_cbranch_execnz .LBB73_14
	s_branch .LBB73_18
	.p2align	6
.LBB73_17:                              ;   in Loop: Header=BB73_15 Depth=3
                                        ; implicit-def: $vgpr8
.LBB73_18:                              ;   in Loop: Header=BB73_15 Depth=3
	v_add_nc_u32_e32 v8, v16, v17
	s_branch .LBB73_14
.LBB73_19:                              ;   in Loop: Header=BB73_8 Depth=1
	s_waitcnt lgkmcnt(1)
	ds_bpermute_b32 v8, v10, v6
	s_waitcnt lgkmcnt(1)
	ds_bpermute_b32 v9, v10, v7
	s_waitcnt lgkmcnt(0)
	v_add_f64 v[6:7], v[6:7], v[8:9]
	ds_bpermute_b32 v8, v11, v6
	ds_bpermute_b32 v9, v11, v7
	s_waitcnt lgkmcnt(0)
	v_add_f64 v[6:7], v[6:7], v[8:9]
	ds_bpermute_b32 v8, v12, v6
	;; [unrolled: 4-line block ×4, first 2 shown]
	ds_bpermute_b32 v9, v15, v7
	s_and_saveexec_b32 s16, s2
	s_cbranch_execz .LBB73_7
; %bb.20:                               ;   in Loop: Header=BB73_8 Depth=1
	s_waitcnt lgkmcnt(0)
	v_add_f64 v[6:7], v[6:7], v[8:9]
	v_add_nc_u32_e32 v8, s21, v5
	s_delay_alu instid0(VALU_DEP_1) | instskip(NEXT) | instid1(VALU_DEP_3)
	v_ashrrev_i32_e32 v9, 31, v8
	v_mul_f64 v[6:7], v[1:2], v[6:7]
	s_and_saveexec_b32 s17, s0
	s_delay_alu instid0(SALU_CYCLE_1)
	s_xor_b32 s17, exec_lo, s17
	s_cbranch_execz .LBB73_22
; %bb.21:                               ;   in Loop: Header=BB73_8 Depth=1
	v_lshlrev_b64 v[8:9], 3, v[8:9]
	s_delay_alu instid0(VALU_DEP_1) | instskip(NEXT) | instid1(VALU_DEP_2)
	v_add_co_u32 v8, vcc_lo, s14, v8
	v_add_co_ci_u32_e32 v9, vcc_lo, s15, v9, vcc_lo
	global_store_b64 v[8:9], v[6:7], off
                                        ; implicit-def: $vgpr8
                                        ; implicit-def: $vgpr6_vgpr7
.LBB73_22:                              ;   in Loop: Header=BB73_8 Depth=1
	s_and_not1_saveexec_b32 s17, s17
	s_cbranch_execz .LBB73_7
; %bb.23:                               ;   in Loop: Header=BB73_8 Depth=1
	v_lshlrev_b64 v[8:9], 3, v[8:9]
	s_delay_alu instid0(VALU_DEP_1) | instskip(NEXT) | instid1(VALU_DEP_2)
	v_add_co_u32 v8, vcc_lo, s14, v8
	v_add_co_ci_u32_e32 v9, vcc_lo, s15, v9, vcc_lo
	global_load_b64 v[16:17], v[8:9], off
	s_waitcnt vmcnt(0)
	v_fma_f64 v[6:7], v[3:4], v[16:17], v[6:7]
	global_store_b64 v[8:9], v[6:7], off
	s_branch .LBB73_7
.LBB73_24:
	s_nop 0
	s_sendmsg sendmsg(MSG_DEALLOC_VGPRS)
	s_endpgm
	.section	.rodata,"a",@progbits
	.p2align	6, 0x0
	.amdhsa_kernel _ZN9rocsparseL23gebsrmvn_general_kernelILj128ELj32EdEEvi20rocsparse_direction_NS_24const_host_device_scalarIT1_EEPKiS6_PKS3_iiS8_S4_PS3_21rocsparse_index_base_b
		.amdhsa_group_segment_fixed_size 0
		.amdhsa_private_segment_fixed_size 0
		.amdhsa_kernarg_size 80
		.amdhsa_user_sgpr_count 15
		.amdhsa_user_sgpr_dispatch_ptr 0
		.amdhsa_user_sgpr_queue_ptr 0
		.amdhsa_user_sgpr_kernarg_segment_ptr 1
		.amdhsa_user_sgpr_dispatch_id 0
		.amdhsa_user_sgpr_private_segment_size 0
		.amdhsa_wavefront_size32 1
		.amdhsa_uses_dynamic_stack 0
		.amdhsa_enable_private_segment 0
		.amdhsa_system_sgpr_workgroup_id_x 1
		.amdhsa_system_sgpr_workgroup_id_y 0
		.amdhsa_system_sgpr_workgroup_id_z 0
		.amdhsa_system_sgpr_workgroup_info 0
		.amdhsa_system_vgpr_workitem_id 0
		.amdhsa_next_free_vgpr 20
		.amdhsa_next_free_sgpr 28
		.amdhsa_reserve_vcc 1
		.amdhsa_float_round_mode_32 0
		.amdhsa_float_round_mode_16_64 0
		.amdhsa_float_denorm_mode_32 3
		.amdhsa_float_denorm_mode_16_64 3
		.amdhsa_dx10_clamp 1
		.amdhsa_ieee_mode 1
		.amdhsa_fp16_overflow 0
		.amdhsa_workgroup_processor_mode 1
		.amdhsa_memory_ordered 1
		.amdhsa_forward_progress 0
		.amdhsa_shared_vgpr_count 0
		.amdhsa_exception_fp_ieee_invalid_op 0
		.amdhsa_exception_fp_denorm_src 0
		.amdhsa_exception_fp_ieee_div_zero 0
		.amdhsa_exception_fp_ieee_overflow 0
		.amdhsa_exception_fp_ieee_underflow 0
		.amdhsa_exception_fp_ieee_inexact 0
		.amdhsa_exception_int_div_zero 0
	.end_amdhsa_kernel
	.section	.text._ZN9rocsparseL23gebsrmvn_general_kernelILj128ELj32EdEEvi20rocsparse_direction_NS_24const_host_device_scalarIT1_EEPKiS6_PKS3_iiS8_S4_PS3_21rocsparse_index_base_b,"axG",@progbits,_ZN9rocsparseL23gebsrmvn_general_kernelILj128ELj32EdEEvi20rocsparse_direction_NS_24const_host_device_scalarIT1_EEPKiS6_PKS3_iiS8_S4_PS3_21rocsparse_index_base_b,comdat
.Lfunc_end73:
	.size	_ZN9rocsparseL23gebsrmvn_general_kernelILj128ELj32EdEEvi20rocsparse_direction_NS_24const_host_device_scalarIT1_EEPKiS6_PKS3_iiS8_S4_PS3_21rocsparse_index_base_b, .Lfunc_end73-_ZN9rocsparseL23gebsrmvn_general_kernelILj128ELj32EdEEvi20rocsparse_direction_NS_24const_host_device_scalarIT1_EEPKiS6_PKS3_iiS8_S4_PS3_21rocsparse_index_base_b
                                        ; -- End function
	.section	.AMDGPU.csdata,"",@progbits
; Kernel info:
; codeLenInByte = 1052
; NumSgprs: 30
; NumVgprs: 20
; ScratchSize: 0
; MemoryBound: 0
; FloatMode: 240
; IeeeMode: 1
; LDSByteSize: 0 bytes/workgroup (compile time only)
; SGPRBlocks: 3
; VGPRBlocks: 2
; NumSGPRsForWavesPerEU: 30
; NumVGPRsForWavesPerEU: 20
; Occupancy: 16
; WaveLimiterHint : 1
; COMPUTE_PGM_RSRC2:SCRATCH_EN: 0
; COMPUTE_PGM_RSRC2:USER_SGPR: 15
; COMPUTE_PGM_RSRC2:TRAP_HANDLER: 0
; COMPUTE_PGM_RSRC2:TGID_X_EN: 1
; COMPUTE_PGM_RSRC2:TGID_Y_EN: 0
; COMPUTE_PGM_RSRC2:TGID_Z_EN: 0
; COMPUTE_PGM_RSRC2:TIDIG_COMP_CNT: 0
	.section	.text._ZN9rocsparseL19gebsrmvn_4xn_kernelILj128ELj1ELj4E21rocsparse_complex_numIfEEEvi20rocsparse_direction_NS_24const_host_device_scalarIT2_EEPKiS8_PKS5_SA_S6_PS5_21rocsparse_index_base_b,"axG",@progbits,_ZN9rocsparseL19gebsrmvn_4xn_kernelILj128ELj1ELj4E21rocsparse_complex_numIfEEEvi20rocsparse_direction_NS_24const_host_device_scalarIT2_EEPKiS8_PKS5_SA_S6_PS5_21rocsparse_index_base_b,comdat
	.globl	_ZN9rocsparseL19gebsrmvn_4xn_kernelILj128ELj1ELj4E21rocsparse_complex_numIfEEEvi20rocsparse_direction_NS_24const_host_device_scalarIT2_EEPKiS8_PKS5_SA_S6_PS5_21rocsparse_index_base_b ; -- Begin function _ZN9rocsparseL19gebsrmvn_4xn_kernelILj128ELj1ELj4E21rocsparse_complex_numIfEEEvi20rocsparse_direction_NS_24const_host_device_scalarIT2_EEPKiS8_PKS5_SA_S6_PS5_21rocsparse_index_base_b
	.p2align	8
	.type	_ZN9rocsparseL19gebsrmvn_4xn_kernelILj128ELj1ELj4E21rocsparse_complex_numIfEEEvi20rocsparse_direction_NS_24const_host_device_scalarIT2_EEPKiS8_PKS5_SA_S6_PS5_21rocsparse_index_base_b,@function
_ZN9rocsparseL19gebsrmvn_4xn_kernelILj128ELj1ELj4E21rocsparse_complex_numIfEEEvi20rocsparse_direction_NS_24const_host_device_scalarIT2_EEPKiS8_PKS5_SA_S6_PS5_21rocsparse_index_base_b: ; @_ZN9rocsparseL19gebsrmvn_4xn_kernelILj128ELj1ELj4E21rocsparse_complex_numIfEEEvi20rocsparse_direction_NS_24const_host_device_scalarIT2_EEPKiS8_PKS5_SA_S6_PS5_21rocsparse_index_base_b
; %bb.0:
	s_clause 0x2
	s_load_b64 s[12:13], s[0:1], 0x40
	s_load_b64 s[4:5], s[0:1], 0x8
	;; [unrolled: 1-line block ×3, first 2 shown]
	s_waitcnt lgkmcnt(0)
	s_bitcmp1_b32 s13, 0
	v_mov_b32_e32 v7, s4
	s_cselect_b32 s6, -1, 0
	s_delay_alu instid0(SALU_CYCLE_1)
	s_and_b32 vcc_lo, exec_lo, s6
	s_xor_b32 s6, s6, -1
	s_cbranch_vccz .LBB74_15
; %bb.1:
	v_cndmask_b32_e64 v1, 0, 1, s6
	v_mov_b32_e32 v8, s5
	s_and_not1_b32 vcc_lo, exec_lo, s6
	s_cbranch_vccz .LBB74_16
.LBB74_2:
	s_delay_alu instid0(VALU_DEP_2)
	v_cmp_ne_u32_e32 vcc_lo, 1, v1
	v_mov_b32_e32 v9, s2
	s_cbranch_vccz .LBB74_17
.LBB74_3:
	v_cmp_ne_u32_e32 vcc_lo, 1, v1
	v_mov_b32_e32 v10, s3
	s_cbranch_vccnz .LBB74_5
.LBB74_4:
	v_dual_mov_b32 v1, s2 :: v_dual_mov_b32 v2, s3
	flat_load_b32 v10, v[1:2] offset:4
.LBB74_5:
	s_waitcnt vmcnt(0) lgkmcnt(0)
	v_cmp_eq_f32_e32 vcc_lo, 0, v7
	v_cmp_eq_f32_e64 s2, 0, v8
	s_delay_alu instid0(VALU_DEP_1)
	s_and_b32 s4, vcc_lo, s2
	s_mov_b32 s2, -1
	s_and_saveexec_b32 s3, s4
; %bb.6:
	v_cmp_neq_f32_e32 vcc_lo, 1.0, v9
	v_cmp_neq_f32_e64 s2, 0, v10
	s_delay_alu instid0(VALU_DEP_1) | instskip(NEXT) | instid1(SALU_CYCLE_1)
	s_or_b32 s2, vcc_lo, s2
	s_or_not1_b32 s2, s2, exec_lo
; %bb.7:
	s_or_b32 exec_lo, exec_lo, s3
	s_and_saveexec_b32 s3, s2
	s_cbranch_execz .LBB74_29
; %bb.8:
	s_load_b64 s[2:3], s[0:1], 0x0
	v_lshrrev_b32_e32 v1, 2, v0
	s_delay_alu instid0(VALU_DEP_1) | instskip(SKIP_1) | instid1(VALU_DEP_1)
	v_lshl_or_b32 v1, s15, 5, v1
	s_waitcnt lgkmcnt(0)
	v_cmp_gt_i32_e32 vcc_lo, s2, v1
	s_and_b32 exec_lo, exec_lo, vcc_lo
	s_cbranch_execz .LBB74_29
; %bb.9:
	s_load_b256 s[4:11], s[0:1], 0x10
	v_ashrrev_i32_e32 v2, 31, v1
	v_and_b32_e32 v0, 3, v0
	s_cmp_lg_u32 s3, 0
	s_delay_alu instid0(VALU_DEP_2) | instskip(SKIP_1) | instid1(VALU_DEP_1)
	v_lshlrev_b64 v[2:3], 2, v[1:2]
	s_waitcnt lgkmcnt(0)
	v_add_co_u32 v2, vcc_lo, s4, v2
	s_delay_alu instid0(VALU_DEP_2) | instskip(SKIP_4) | instid1(VALU_DEP_2)
	v_add_co_ci_u32_e32 v3, vcc_lo, s5, v3, vcc_lo
	global_load_b64 v[2:3], v[2:3], off
	s_waitcnt vmcnt(0)
	v_subrev_nc_u32_e32 v2, s12, v2
	v_subrev_nc_u32_e32 v19, s12, v3
	v_add_nc_u32_e32 v2, v2, v0
	s_delay_alu instid0(VALU_DEP_1)
	v_cmp_lt_i32_e64 s2, v2, v19
	s_cbranch_scc0 .LBB74_18
; %bb.10:
	v_dual_mov_b32 v11, 0 :: v_dual_mov_b32 v12, 0
	v_dual_mov_b32 v13, 0 :: v_dual_mov_b32 v14, 0
	;; [unrolled: 1-line block ×4, first 2 shown]
	s_mov_b32 s3, 0
	s_and_saveexec_b32 s4, s2
	s_cbranch_execz .LBB74_14
; %bb.11:
	v_dual_mov_b32 v4, 0 :: v_dual_lshlrev_b32 v3, 2, v2
	v_mov_b32_e32 v5, v2
	s_mov_b32 s5, 0
	s_delay_alu instid0(VALU_DEP_2)
	v_mov_b32_e32 v12, v4
	v_mov_b32_e32 v11, v4
	;; [unrolled: 1-line block ×8, first 2 shown]
.LBB74_12:                              ; =>This Inner Loop Header: Depth=1
	v_ashrrev_i32_e32 v6, 31, v5
	s_delay_alu instid0(VALU_DEP_1) | instskip(NEXT) | instid1(VALU_DEP_1)
	v_lshlrev_b64 v[20:21], 2, v[5:6]
	v_add_co_u32 v20, vcc_lo, s6, v20
	s_delay_alu instid0(VALU_DEP_2) | instskip(SKIP_2) | instid1(VALU_DEP_1)
	v_add_co_ci_u32_e32 v21, vcc_lo, s7, v21, vcc_lo
	global_load_b32 v6, v[20:21], off
	v_lshlrev_b64 v[20:21], 3, v[3:4]
	v_add_co_u32 v24, vcc_lo, s8, v20
	s_delay_alu instid0(VALU_DEP_2)
	v_add_co_ci_u32_e32 v25, vcc_lo, s9, v21, vcc_lo
	s_clause 0x1
	global_load_b128 v[20:23], v[24:25], off offset:16
	global_load_b128 v[24:27], v[24:25], off
	v_mov_b32_e32 v29, v4
	s_waitcnt vmcnt(2)
	v_subrev_nc_u32_e32 v28, s12, v6
	s_delay_alu instid0(VALU_DEP_1) | instskip(NEXT) | instid1(VALU_DEP_1)
	v_lshlrev_b64 v[28:29], 3, v[28:29]
	v_add_co_u32 v28, vcc_lo, s10, v28
	s_delay_alu instid0(VALU_DEP_2)
	v_add_co_ci_u32_e32 v29, vcc_lo, s11, v29, vcc_lo
	global_load_b64 v[28:29], v[28:29], off
	v_add_nc_u32_e32 v3, 16, v3
	s_waitcnt vmcnt(0)
	v_dual_fmac_f32 v12, v22, v28 :: v_dual_add_nc_u32 v5, 4, v5
	v_fmac_f32_e32 v16, v21, v28
	v_fmac_f32_e32 v11, v25, v28
	;; [unrolled: 1-line block ×6, first 2 shown]
	v_dual_fmac_f32 v14, v23, v28 :: v_dual_fmac_f32 v11, v24, v29
	v_fmac_f32_e32 v15, v20, v28
	v_cmp_ge_i32_e32 vcc_lo, v5, v19
	v_fma_f32 v17, -v27, v29, v17
	s_delay_alu instid0(VALU_DEP_4)
	v_fmac_f32_e32 v14, v22, v29
	v_fmac_f32_e32 v18, v26, v29
	v_fma_f32 v13, -v25, v29, v13
	v_fma_f32 v15, -v21, v29, v15
	;; [unrolled: 1-line block ×3, first 2 shown]
	s_or_b32 s5, vcc_lo, s5
	s_delay_alu instid0(SALU_CYCLE_1)
	s_and_not1_b32 exec_lo, exec_lo, s5
	s_cbranch_execnz .LBB74_12
; %bb.13:
	s_or_b32 exec_lo, exec_lo, s5
.LBB74_14:
	s_delay_alu instid0(SALU_CYCLE_1) | instskip(NEXT) | instid1(SALU_CYCLE_1)
	s_or_b32 exec_lo, exec_lo, s4
	s_and_not1_b32 vcc_lo, exec_lo, s3
	s_cbranch_vccz .LBB74_19
	s_branch .LBB74_24
.LBB74_15:
	v_dual_mov_b32 v1, s4 :: v_dual_mov_b32 v2, s5
	flat_load_b32 v7, v[1:2]
	v_cndmask_b32_e64 v1, 0, 1, s6
	v_mov_b32_e32 v8, s5
	s_and_not1_b32 vcc_lo, exec_lo, s6
	s_cbranch_vccnz .LBB74_2
.LBB74_16:
	v_dual_mov_b32 v2, s4 :: v_dual_mov_b32 v3, s5
	flat_load_b32 v8, v[2:3] offset:4
	v_cmp_ne_u32_e32 vcc_lo, 1, v1
	v_mov_b32_e32 v9, s2
	s_cbranch_vccnz .LBB74_3
.LBB74_17:
	v_dual_mov_b32 v2, s2 :: v_dual_mov_b32 v3, s3
	flat_load_b32 v9, v[2:3]
	v_cmp_ne_u32_e32 vcc_lo, 1, v1
	v_mov_b32_e32 v10, s3
	s_cbranch_vccz .LBB74_4
	s_branch .LBB74_5
.LBB74_18:
                                        ; implicit-def: $vgpr11
                                        ; implicit-def: $vgpr13
                                        ; implicit-def: $vgpr12
                                        ; implicit-def: $vgpr14
                                        ; implicit-def: $vgpr15
                                        ; implicit-def: $vgpr16
                                        ; implicit-def: $vgpr17
                                        ; implicit-def: $vgpr18
.LBB74_19:
	v_dual_mov_b32 v11, 0 :: v_dual_mov_b32 v12, 0
	v_dual_mov_b32 v13, 0 :: v_dual_mov_b32 v14, 0
	;; [unrolled: 1-line block ×4, first 2 shown]
	s_and_saveexec_b32 s3, s2
	s_cbranch_execz .LBB74_23
; %bb.20:
	v_dual_mov_b32 v5, 0 :: v_dual_lshlrev_b32 v4, 2, v2
	s_mov_b32 s2, 0
	s_delay_alu instid0(VALU_DEP_1)
	v_mov_b32_e32 v11, v5
	v_mov_b32_e32 v13, v5
	;; [unrolled: 1-line block ×8, first 2 shown]
.LBB74_21:                              ; =>This Inner Loop Header: Depth=1
	v_ashrrev_i32_e32 v3, 31, v2
	v_mov_b32_e32 v29, v5
	s_delay_alu instid0(VALU_DEP_2) | instskip(NEXT) | instid1(VALU_DEP_1)
	v_lshlrev_b64 v[20:21], 2, v[2:3]
	v_add_co_u32 v20, vcc_lo, s6, v20
	s_delay_alu instid0(VALU_DEP_2) | instskip(SKIP_3) | instid1(VALU_DEP_2)
	v_add_co_ci_u32_e32 v21, vcc_lo, s7, v21, vcc_lo
	global_load_b32 v3, v[20:21], off
	v_lshlrev_b64 v[20:21], 3, v[4:5]
	v_add_nc_u32_e32 v4, 16, v4
	v_add_co_u32 v24, vcc_lo, s8, v20
	s_delay_alu instid0(VALU_DEP_3)
	v_add_co_ci_u32_e32 v25, vcc_lo, s9, v21, vcc_lo
	s_clause 0x1
	global_load_b128 v[20:23], v[24:25], off offset:16
	global_load_b128 v[24:27], v[24:25], off
	s_waitcnt vmcnt(2)
	v_subrev_nc_u32_e32 v28, s12, v3
	s_delay_alu instid0(VALU_DEP_1) | instskip(NEXT) | instid1(VALU_DEP_1)
	v_lshlrev_b64 v[28:29], 3, v[28:29]
	v_add_co_u32 v28, vcc_lo, s10, v28
	s_delay_alu instid0(VALU_DEP_2)
	v_add_co_ci_u32_e32 v29, vcc_lo, s11, v29, vcc_lo
	global_load_b64 v[28:29], v[28:29], off
	s_waitcnt vmcnt(0)
	v_dual_fmac_f32 v13, v24, v28 :: v_dual_add_nc_u32 v2, 4, v2
	v_fmac_f32_e32 v18, v27, v28
	v_fmac_f32_e32 v11, v25, v28
	;; [unrolled: 1-line block ×7, first 2 shown]
	v_cmp_ge_i32_e32 vcc_lo, v2, v19
	v_fma_f32 v13, -v25, v29, v13
	v_fmac_f32_e32 v18, v26, v29
	v_fmac_f32_e32 v14, v22, v29
	;; [unrolled: 1-line block ×3, first 2 shown]
	v_fma_f32 v15, -v21, v29, v15
	v_fmac_f32_e32 v16, v20, v29
	v_fma_f32 v17, -v27, v29, v17
	v_fma_f32 v12, -v23, v29, v12
	s_or_b32 s2, vcc_lo, s2
	s_delay_alu instid0(SALU_CYCLE_1)
	s_and_not1_b32 exec_lo, exec_lo, s2
	s_cbranch_execnz .LBB74_21
; %bb.22:
	s_or_b32 exec_lo, exec_lo, s2
.LBB74_23:
	s_delay_alu instid0(SALU_CYCLE_1)
	s_or_b32 exec_lo, exec_lo, s3
.LBB74_24:
	v_mbcnt_lo_u32_b32 v2, -1, 0
	s_delay_alu instid0(VALU_DEP_1) | instskip(NEXT) | instid1(VALU_DEP_1)
	v_xor_b32_e32 v3, 2, v2
	v_cmp_gt_i32_e32 vcc_lo, 32, v3
	v_cndmask_b32_e32 v3, v2, v3, vcc_lo
	s_delay_alu instid0(VALU_DEP_1)
	v_lshlrev_b32_e32 v3, 2, v3
	ds_bpermute_b32 v5, v3, v11
	s_waitcnt lgkmcnt(0)
	v_add_f32_e32 v6, v11, v5
	ds_bpermute_b32 v4, v3, v13
	ds_bpermute_b32 v19, v3, v17
	;; [unrolled: 1-line block ×7, first 2 shown]
	v_xor_b32_e32 v3, 1, v2
	s_delay_alu instid0(VALU_DEP_1)
	v_cmp_gt_i32_e32 vcc_lo, 32, v3
	v_cndmask_b32_e32 v2, v2, v3, vcc_lo
	v_cmp_eq_u32_e32 vcc_lo, 3, v0
	s_waitcnt lgkmcnt(5)
	v_add_f32_e32 v11, v17, v19
	s_waitcnt lgkmcnt(2)
	v_dual_add_f32 v15, v15, v21 :: v_dual_add_f32 v16, v16, v22
	v_dual_add_f32 v2, v13, v4 :: v_dual_lshlrev_b32 v25, 2, v2
	v_add_f32_e32 v13, v18, v20
	s_waitcnt lgkmcnt(1)
	v_add_f32_e32 v3, v12, v23
	s_waitcnt lgkmcnt(0)
	v_add_f32_e32 v5, v14, v24
	ds_bpermute_b32 v12, v25, v6
	ds_bpermute_b32 v4, v25, v2
	;; [unrolled: 1-line block ×8, first 2 shown]
	s_and_b32 exec_lo, exec_lo, vcc_lo
	s_cbranch_execz .LBB74_29
; %bb.25:
	s_load_b64 s[2:3], s[0:1], 0x38
	v_cmp_eq_f32_e32 vcc_lo, 0, v9
	v_cmp_eq_f32_e64 s0, 0, v10
	s_waitcnt lgkmcnt(0)
	v_add_f32_e32 v4, v2, v4
	v_dual_add_f32 v12, v6, v12 :: v_dual_add_f32 v3, v3, v14
	v_dual_add_f32 v0, v11, v18 :: v_dual_add_f32 v5, v5, v17
	;; [unrolled: 1-line block ×3, first 2 shown]
	v_add_f32_e32 v6, v16, v21
	s_and_b32 s0, vcc_lo, s0
	s_delay_alu instid0(SALU_CYCLE_1) | instskip(NEXT) | instid1(SALU_CYCLE_1)
	s_and_saveexec_b32 s1, s0
	s_xor_b32 s0, exec_lo, s1
	s_cbranch_execz .LBB74_27
; %bb.26:
	v_dual_mul_f32 v14, v12, v7 :: v_dual_lshlrev_b32 v17, 2, v1
	v_mul_f32_e64 v15, v11, -v8
	v_mul_f32_e64 v13, v12, -v8
	v_mul_f32_e32 v16, v11, v7
	s_delay_alu instid0(VALU_DEP_4) | instskip(SKIP_1) | instid1(VALU_DEP_4)
	v_ashrrev_i32_e32 v18, 31, v17
	v_mul_f32_e64 v9, v6, -v8
	v_dual_mul_f32 v10, v6, v7 :: v_dual_fmac_f32 v13, v7, v4
	v_mul_f32_e64 v11, v5, -v8
	s_delay_alu instid0(VALU_DEP_4) | instskip(SKIP_2) | instid1(VALU_DEP_4)
	v_lshlrev_b64 v[17:18], 3, v[17:18]
	v_dual_fmac_f32 v15, v7, v0 :: v_dual_mul_f32 v12, v5, v7
	v_dual_fmac_f32 v14, v8, v4 :: v_dual_fmac_f32 v9, v7, v2
	v_dual_fmac_f32 v16, v8, v0 :: v_dual_fmac_f32 v11, v7, v3
	s_delay_alu instid0(VALU_DEP_4)
	v_add_co_u32 v17, vcc_lo, s2, v17
	v_add_co_ci_u32_e32 v18, vcc_lo, s3, v18, vcc_lo
	v_fmac_f32_e32 v10, v8, v2
	v_fmac_f32_e32 v12, v8, v3
	s_clause 0x1
	global_store_b128 v[17:18], v[13:16], off
	global_store_b128 v[17:18], v[9:12], off offset:16
                                        ; implicit-def: $vgpr7
                                        ; implicit-def: $vgpr8
                                        ; implicit-def: $vgpr9
                                        ; implicit-def: $vgpr10
                                        ; implicit-def: $vgpr1
                                        ; implicit-def: $vgpr4
                                        ; implicit-def: $vgpr12
                                        ; implicit-def: $vgpr0
                                        ; implicit-def: $vgpr11
                                        ; implicit-def: $vgpr2
                                        ; implicit-def: $vgpr6
                                        ; implicit-def: $vgpr3
                                        ; implicit-def: $vgpr5
.LBB74_27:
	s_and_not1_saveexec_b32 s0, s0
	s_cbranch_execz .LBB74_29
; %bb.28:
	v_dual_mul_f32 v22, v12, v7 :: v_dual_lshlrev_b32 v13, 2, v1
	v_mul_f32_e64 v1, v12, -v8
	v_mul_f32_e64 v12, v11, -v8
	v_mul_f32_e32 v26, v6, v7
	s_delay_alu instid0(VALU_DEP_4) | instskip(NEXT) | instid1(VALU_DEP_4)
	v_ashrrev_i32_e32 v14, 31, v13
	v_fmac_f32_e32 v1, v7, v4
	s_delay_alu instid0(VALU_DEP_4) | instskip(NEXT) | instid1(VALU_DEP_4)
	v_fmac_f32_e32 v12, v7, v0
	v_fmac_f32_e32 v26, v8, v2
	s_delay_alu instid0(VALU_DEP_4) | instskip(NEXT) | instid1(VALU_DEP_1)
	v_lshlrev_b64 v[13:14], 3, v[13:14]
	v_add_co_u32 v29, vcc_lo, s2, v13
	s_delay_alu instid0(VALU_DEP_2)
	v_add_co_ci_u32_e32 v30, vcc_lo, s3, v14, vcc_lo
	s_clause 0x1
	global_load_b128 v[13:16], v[29:30], off
	global_load_b128 v[17:20], v[29:30], off offset:16
	v_mul_f32_e32 v24, v11, v7
	v_mul_f32_e64 v11, v6, -v8
	v_mul_f32_e64 v6, v5, -v8
	s_delay_alu instid0(VALU_DEP_2) | instskip(SKIP_1) | instid1(VALU_DEP_3)
	v_dual_mul_f32 v28, v5, v7 :: v_dual_fmac_f32 v11, v7, v2
	v_fmac_f32_e32 v22, v8, v4
	v_fmac_f32_e32 v6, v7, v3
	s_waitcnt vmcnt(1)
	s_delay_alu instid0(VALU_DEP_3)
	v_dual_fmac_f32 v28, v8, v3 :: v_dual_fmac_f32 v1, v9, v13
	s_waitcnt vmcnt(0)
	v_dual_fmac_f32 v11, v9, v17 :: v_dual_fmac_f32 v24, v8, v0
	v_fmac_f32_e32 v22, v10, v13
	v_fmac_f32_e32 v12, v9, v15
	;; [unrolled: 1-line block ×6, first 2 shown]
	v_fma_f32 v21, -v10, v14, v1
	v_fmac_f32_e32 v22, v9, v14
	v_fma_f32 v23, -v10, v16, v12
	v_fmac_f32_e32 v24, v9, v16
	;; [unrolled: 2-line block ×4, first 2 shown]
	s_clause 0x1
	global_store_b128 v[29:30], v[21:24], off
	global_store_b128 v[29:30], v[25:28], off offset:16
.LBB74_29:
	s_nop 0
	s_sendmsg sendmsg(MSG_DEALLOC_VGPRS)
	s_endpgm
	.section	.rodata,"a",@progbits
	.p2align	6, 0x0
	.amdhsa_kernel _ZN9rocsparseL19gebsrmvn_4xn_kernelILj128ELj1ELj4E21rocsparse_complex_numIfEEEvi20rocsparse_direction_NS_24const_host_device_scalarIT2_EEPKiS8_PKS5_SA_S6_PS5_21rocsparse_index_base_b
		.amdhsa_group_segment_fixed_size 0
		.amdhsa_private_segment_fixed_size 0
		.amdhsa_kernarg_size 72
		.amdhsa_user_sgpr_count 15
		.amdhsa_user_sgpr_dispatch_ptr 0
		.amdhsa_user_sgpr_queue_ptr 0
		.amdhsa_user_sgpr_kernarg_segment_ptr 1
		.amdhsa_user_sgpr_dispatch_id 0
		.amdhsa_user_sgpr_private_segment_size 0
		.amdhsa_wavefront_size32 1
		.amdhsa_uses_dynamic_stack 0
		.amdhsa_enable_private_segment 0
		.amdhsa_system_sgpr_workgroup_id_x 1
		.amdhsa_system_sgpr_workgroup_id_y 0
		.amdhsa_system_sgpr_workgroup_id_z 0
		.amdhsa_system_sgpr_workgroup_info 0
		.amdhsa_system_vgpr_workitem_id 0
		.amdhsa_next_free_vgpr 31
		.amdhsa_next_free_sgpr 16
		.amdhsa_reserve_vcc 1
		.amdhsa_float_round_mode_32 0
		.amdhsa_float_round_mode_16_64 0
		.amdhsa_float_denorm_mode_32 3
		.amdhsa_float_denorm_mode_16_64 3
		.amdhsa_dx10_clamp 1
		.amdhsa_ieee_mode 1
		.amdhsa_fp16_overflow 0
		.amdhsa_workgroup_processor_mode 1
		.amdhsa_memory_ordered 1
		.amdhsa_forward_progress 0
		.amdhsa_shared_vgpr_count 0
		.amdhsa_exception_fp_ieee_invalid_op 0
		.amdhsa_exception_fp_denorm_src 0
		.amdhsa_exception_fp_ieee_div_zero 0
		.amdhsa_exception_fp_ieee_overflow 0
		.amdhsa_exception_fp_ieee_underflow 0
		.amdhsa_exception_fp_ieee_inexact 0
		.amdhsa_exception_int_div_zero 0
	.end_amdhsa_kernel
	.section	.text._ZN9rocsparseL19gebsrmvn_4xn_kernelILj128ELj1ELj4E21rocsparse_complex_numIfEEEvi20rocsparse_direction_NS_24const_host_device_scalarIT2_EEPKiS8_PKS5_SA_S6_PS5_21rocsparse_index_base_b,"axG",@progbits,_ZN9rocsparseL19gebsrmvn_4xn_kernelILj128ELj1ELj4E21rocsparse_complex_numIfEEEvi20rocsparse_direction_NS_24const_host_device_scalarIT2_EEPKiS8_PKS5_SA_S6_PS5_21rocsparse_index_base_b,comdat
.Lfunc_end74:
	.size	_ZN9rocsparseL19gebsrmvn_4xn_kernelILj128ELj1ELj4E21rocsparse_complex_numIfEEEvi20rocsparse_direction_NS_24const_host_device_scalarIT2_EEPKiS8_PKS5_SA_S6_PS5_21rocsparse_index_base_b, .Lfunc_end74-_ZN9rocsparseL19gebsrmvn_4xn_kernelILj128ELj1ELj4E21rocsparse_complex_numIfEEEvi20rocsparse_direction_NS_24const_host_device_scalarIT2_EEPKiS8_PKS5_SA_S6_PS5_21rocsparse_index_base_b
                                        ; -- End function
	.section	.AMDGPU.csdata,"",@progbits
; Kernel info:
; codeLenInByte = 1872
; NumSgprs: 18
; NumVgprs: 31
; ScratchSize: 0
; MemoryBound: 0
; FloatMode: 240
; IeeeMode: 1
; LDSByteSize: 0 bytes/workgroup (compile time only)
; SGPRBlocks: 2
; VGPRBlocks: 3
; NumSGPRsForWavesPerEU: 18
; NumVGPRsForWavesPerEU: 31
; Occupancy: 16
; WaveLimiterHint : 1
; COMPUTE_PGM_RSRC2:SCRATCH_EN: 0
; COMPUTE_PGM_RSRC2:USER_SGPR: 15
; COMPUTE_PGM_RSRC2:TRAP_HANDLER: 0
; COMPUTE_PGM_RSRC2:TGID_X_EN: 1
; COMPUTE_PGM_RSRC2:TGID_Y_EN: 0
; COMPUTE_PGM_RSRC2:TGID_Z_EN: 0
; COMPUTE_PGM_RSRC2:TIDIG_COMP_CNT: 0
	.section	.text._ZN9rocsparseL19gebsrmvn_4xn_kernelILj128ELj1ELj8E21rocsparse_complex_numIfEEEvi20rocsparse_direction_NS_24const_host_device_scalarIT2_EEPKiS8_PKS5_SA_S6_PS5_21rocsparse_index_base_b,"axG",@progbits,_ZN9rocsparseL19gebsrmvn_4xn_kernelILj128ELj1ELj8E21rocsparse_complex_numIfEEEvi20rocsparse_direction_NS_24const_host_device_scalarIT2_EEPKiS8_PKS5_SA_S6_PS5_21rocsparse_index_base_b,comdat
	.globl	_ZN9rocsparseL19gebsrmvn_4xn_kernelILj128ELj1ELj8E21rocsparse_complex_numIfEEEvi20rocsparse_direction_NS_24const_host_device_scalarIT2_EEPKiS8_PKS5_SA_S6_PS5_21rocsparse_index_base_b ; -- Begin function _ZN9rocsparseL19gebsrmvn_4xn_kernelILj128ELj1ELj8E21rocsparse_complex_numIfEEEvi20rocsparse_direction_NS_24const_host_device_scalarIT2_EEPKiS8_PKS5_SA_S6_PS5_21rocsparse_index_base_b
	.p2align	8
	.type	_ZN9rocsparseL19gebsrmvn_4xn_kernelILj128ELj1ELj8E21rocsparse_complex_numIfEEEvi20rocsparse_direction_NS_24const_host_device_scalarIT2_EEPKiS8_PKS5_SA_S6_PS5_21rocsparse_index_base_b,@function
_ZN9rocsparseL19gebsrmvn_4xn_kernelILj128ELj1ELj8E21rocsparse_complex_numIfEEEvi20rocsparse_direction_NS_24const_host_device_scalarIT2_EEPKiS8_PKS5_SA_S6_PS5_21rocsparse_index_base_b: ; @_ZN9rocsparseL19gebsrmvn_4xn_kernelILj128ELj1ELj8E21rocsparse_complex_numIfEEEvi20rocsparse_direction_NS_24const_host_device_scalarIT2_EEPKiS8_PKS5_SA_S6_PS5_21rocsparse_index_base_b
; %bb.0:
	s_clause 0x2
	s_load_b64 s[12:13], s[0:1], 0x40
	s_load_b64 s[4:5], s[0:1], 0x8
	;; [unrolled: 1-line block ×3, first 2 shown]
	s_waitcnt lgkmcnt(0)
	s_bitcmp1_b32 s13, 0
	v_mov_b32_e32 v7, s4
	s_cselect_b32 s6, -1, 0
	s_delay_alu instid0(SALU_CYCLE_1)
	s_and_b32 vcc_lo, exec_lo, s6
	s_xor_b32 s6, s6, -1
	s_cbranch_vccz .LBB75_15
; %bb.1:
	v_cndmask_b32_e64 v1, 0, 1, s6
	v_mov_b32_e32 v8, s5
	s_and_not1_b32 vcc_lo, exec_lo, s6
	s_cbranch_vccz .LBB75_16
.LBB75_2:
	s_delay_alu instid0(VALU_DEP_2)
	v_cmp_ne_u32_e32 vcc_lo, 1, v1
	v_mov_b32_e32 v9, s2
	s_cbranch_vccz .LBB75_17
.LBB75_3:
	v_cmp_ne_u32_e32 vcc_lo, 1, v1
	v_mov_b32_e32 v10, s3
	s_cbranch_vccnz .LBB75_5
.LBB75_4:
	v_dual_mov_b32 v1, s2 :: v_dual_mov_b32 v2, s3
	flat_load_b32 v10, v[1:2] offset:4
.LBB75_5:
	s_waitcnt vmcnt(0) lgkmcnt(0)
	v_cmp_eq_f32_e32 vcc_lo, 0, v7
	v_cmp_eq_f32_e64 s2, 0, v8
	s_delay_alu instid0(VALU_DEP_1)
	s_and_b32 s4, vcc_lo, s2
	s_mov_b32 s2, -1
	s_and_saveexec_b32 s3, s4
; %bb.6:
	v_cmp_neq_f32_e32 vcc_lo, 1.0, v9
	v_cmp_neq_f32_e64 s2, 0, v10
	s_delay_alu instid0(VALU_DEP_1) | instskip(NEXT) | instid1(SALU_CYCLE_1)
	s_or_b32 s2, vcc_lo, s2
	s_or_not1_b32 s2, s2, exec_lo
; %bb.7:
	s_or_b32 exec_lo, exec_lo, s3
	s_and_saveexec_b32 s3, s2
	s_cbranch_execz .LBB75_29
; %bb.8:
	s_load_b64 s[2:3], s[0:1], 0x0
	v_lshrrev_b32_e32 v1, 3, v0
	s_delay_alu instid0(VALU_DEP_1) | instskip(SKIP_1) | instid1(VALU_DEP_1)
	v_lshl_or_b32 v1, s15, 4, v1
	s_waitcnt lgkmcnt(0)
	v_cmp_gt_i32_e32 vcc_lo, s2, v1
	s_and_b32 exec_lo, exec_lo, vcc_lo
	s_cbranch_execz .LBB75_29
; %bb.9:
	s_load_b256 s[4:11], s[0:1], 0x10
	v_ashrrev_i32_e32 v2, 31, v1
	v_and_b32_e32 v0, 7, v0
	s_cmp_lg_u32 s3, 0
	s_delay_alu instid0(VALU_DEP_2) | instskip(SKIP_1) | instid1(VALU_DEP_1)
	v_lshlrev_b64 v[2:3], 2, v[1:2]
	s_waitcnt lgkmcnt(0)
	v_add_co_u32 v2, vcc_lo, s4, v2
	s_delay_alu instid0(VALU_DEP_2) | instskip(SKIP_4) | instid1(VALU_DEP_2)
	v_add_co_ci_u32_e32 v3, vcc_lo, s5, v3, vcc_lo
	global_load_b64 v[2:3], v[2:3], off
	s_waitcnt vmcnt(0)
	v_subrev_nc_u32_e32 v2, s12, v2
	v_subrev_nc_u32_e32 v19, s12, v3
	v_add_nc_u32_e32 v2, v2, v0
	s_delay_alu instid0(VALU_DEP_1)
	v_cmp_lt_i32_e64 s2, v2, v19
	s_cbranch_scc0 .LBB75_18
; %bb.10:
	v_dual_mov_b32 v11, 0 :: v_dual_mov_b32 v12, 0
	v_dual_mov_b32 v13, 0 :: v_dual_mov_b32 v14, 0
	;; [unrolled: 1-line block ×4, first 2 shown]
	s_mov_b32 s3, 0
	s_and_saveexec_b32 s4, s2
	s_cbranch_execz .LBB75_14
; %bb.11:
	v_dual_mov_b32 v4, 0 :: v_dual_lshlrev_b32 v3, 2, v2
	v_mov_b32_e32 v5, v2
	s_mov_b32 s5, 0
	s_delay_alu instid0(VALU_DEP_2)
	v_mov_b32_e32 v12, v4
	v_mov_b32_e32 v11, v4
	;; [unrolled: 1-line block ×8, first 2 shown]
.LBB75_12:                              ; =>This Inner Loop Header: Depth=1
	v_ashrrev_i32_e32 v6, 31, v5
	s_delay_alu instid0(VALU_DEP_1) | instskip(NEXT) | instid1(VALU_DEP_1)
	v_lshlrev_b64 v[20:21], 2, v[5:6]
	v_add_co_u32 v20, vcc_lo, s6, v20
	s_delay_alu instid0(VALU_DEP_2) | instskip(SKIP_2) | instid1(VALU_DEP_1)
	v_add_co_ci_u32_e32 v21, vcc_lo, s7, v21, vcc_lo
	global_load_b32 v6, v[20:21], off
	v_lshlrev_b64 v[20:21], 3, v[3:4]
	v_add_co_u32 v24, vcc_lo, s8, v20
	s_delay_alu instid0(VALU_DEP_2)
	v_add_co_ci_u32_e32 v25, vcc_lo, s9, v21, vcc_lo
	s_clause 0x1
	global_load_b128 v[20:23], v[24:25], off offset:16
	global_load_b128 v[24:27], v[24:25], off
	v_mov_b32_e32 v29, v4
	s_waitcnt vmcnt(2)
	v_subrev_nc_u32_e32 v28, s12, v6
	s_delay_alu instid0(VALU_DEP_1) | instskip(NEXT) | instid1(VALU_DEP_1)
	v_lshlrev_b64 v[28:29], 3, v[28:29]
	v_add_co_u32 v28, vcc_lo, s10, v28
	s_delay_alu instid0(VALU_DEP_2)
	v_add_co_ci_u32_e32 v29, vcc_lo, s11, v29, vcc_lo
	global_load_b64 v[28:29], v[28:29], off
	v_add_nc_u32_e32 v3, 32, v3
	s_waitcnt vmcnt(0)
	v_dual_fmac_f32 v12, v22, v28 :: v_dual_add_nc_u32 v5, 8, v5
	v_fmac_f32_e32 v16, v21, v28
	v_fmac_f32_e32 v11, v25, v28
	v_fmac_f32_e32 v17, v26, v28
	v_fmac_f32_e32 v18, v27, v28
	v_fmac_f32_e32 v13, v24, v28
	v_fmac_f32_e32 v16, v20, v29
	v_dual_fmac_f32 v14, v23, v28 :: v_dual_fmac_f32 v11, v24, v29
	v_fmac_f32_e32 v15, v20, v28
	v_cmp_ge_i32_e32 vcc_lo, v5, v19
	v_fma_f32 v17, -v27, v29, v17
	s_delay_alu instid0(VALU_DEP_4)
	v_fmac_f32_e32 v14, v22, v29
	v_fmac_f32_e32 v18, v26, v29
	v_fma_f32 v13, -v25, v29, v13
	v_fma_f32 v15, -v21, v29, v15
	v_fma_f32 v12, -v23, v29, v12
	s_or_b32 s5, vcc_lo, s5
	s_delay_alu instid0(SALU_CYCLE_1)
	s_and_not1_b32 exec_lo, exec_lo, s5
	s_cbranch_execnz .LBB75_12
; %bb.13:
	s_or_b32 exec_lo, exec_lo, s5
.LBB75_14:
	s_delay_alu instid0(SALU_CYCLE_1) | instskip(NEXT) | instid1(SALU_CYCLE_1)
	s_or_b32 exec_lo, exec_lo, s4
	s_and_not1_b32 vcc_lo, exec_lo, s3
	s_cbranch_vccz .LBB75_19
	s_branch .LBB75_24
.LBB75_15:
	v_dual_mov_b32 v1, s4 :: v_dual_mov_b32 v2, s5
	flat_load_b32 v7, v[1:2]
	v_cndmask_b32_e64 v1, 0, 1, s6
	v_mov_b32_e32 v8, s5
	s_and_not1_b32 vcc_lo, exec_lo, s6
	s_cbranch_vccnz .LBB75_2
.LBB75_16:
	v_dual_mov_b32 v2, s4 :: v_dual_mov_b32 v3, s5
	flat_load_b32 v8, v[2:3] offset:4
	v_cmp_ne_u32_e32 vcc_lo, 1, v1
	v_mov_b32_e32 v9, s2
	s_cbranch_vccnz .LBB75_3
.LBB75_17:
	v_dual_mov_b32 v2, s2 :: v_dual_mov_b32 v3, s3
	flat_load_b32 v9, v[2:3]
	v_cmp_ne_u32_e32 vcc_lo, 1, v1
	v_mov_b32_e32 v10, s3
	s_cbranch_vccz .LBB75_4
	s_branch .LBB75_5
.LBB75_18:
                                        ; implicit-def: $vgpr11
                                        ; implicit-def: $vgpr13
                                        ; implicit-def: $vgpr12
                                        ; implicit-def: $vgpr14
                                        ; implicit-def: $vgpr15
                                        ; implicit-def: $vgpr16
                                        ; implicit-def: $vgpr17
                                        ; implicit-def: $vgpr18
.LBB75_19:
	v_dual_mov_b32 v11, 0 :: v_dual_mov_b32 v12, 0
	v_dual_mov_b32 v13, 0 :: v_dual_mov_b32 v14, 0
	;; [unrolled: 1-line block ×4, first 2 shown]
	s_and_saveexec_b32 s3, s2
	s_cbranch_execz .LBB75_23
; %bb.20:
	v_dual_mov_b32 v5, 0 :: v_dual_lshlrev_b32 v4, 2, v2
	s_mov_b32 s2, 0
	s_delay_alu instid0(VALU_DEP_1)
	v_mov_b32_e32 v11, v5
	v_mov_b32_e32 v13, v5
	;; [unrolled: 1-line block ×8, first 2 shown]
.LBB75_21:                              ; =>This Inner Loop Header: Depth=1
	v_ashrrev_i32_e32 v3, 31, v2
	v_mov_b32_e32 v29, v5
	s_delay_alu instid0(VALU_DEP_2) | instskip(NEXT) | instid1(VALU_DEP_1)
	v_lshlrev_b64 v[20:21], 2, v[2:3]
	v_add_co_u32 v20, vcc_lo, s6, v20
	s_delay_alu instid0(VALU_DEP_2) | instskip(SKIP_3) | instid1(VALU_DEP_2)
	v_add_co_ci_u32_e32 v21, vcc_lo, s7, v21, vcc_lo
	global_load_b32 v3, v[20:21], off
	v_lshlrev_b64 v[20:21], 3, v[4:5]
	v_add_nc_u32_e32 v4, 32, v4
	v_add_co_u32 v24, vcc_lo, s8, v20
	s_delay_alu instid0(VALU_DEP_3)
	v_add_co_ci_u32_e32 v25, vcc_lo, s9, v21, vcc_lo
	s_clause 0x1
	global_load_b128 v[20:23], v[24:25], off offset:16
	global_load_b128 v[24:27], v[24:25], off
	s_waitcnt vmcnt(2)
	v_subrev_nc_u32_e32 v28, s12, v3
	s_delay_alu instid0(VALU_DEP_1) | instskip(NEXT) | instid1(VALU_DEP_1)
	v_lshlrev_b64 v[28:29], 3, v[28:29]
	v_add_co_u32 v28, vcc_lo, s10, v28
	s_delay_alu instid0(VALU_DEP_2)
	v_add_co_ci_u32_e32 v29, vcc_lo, s11, v29, vcc_lo
	global_load_b64 v[28:29], v[28:29], off
	s_waitcnt vmcnt(0)
	v_dual_fmac_f32 v13, v24, v28 :: v_dual_add_nc_u32 v2, 8, v2
	v_fmac_f32_e32 v18, v27, v28
	v_fmac_f32_e32 v11, v25, v28
	;; [unrolled: 1-line block ×7, first 2 shown]
	v_cmp_ge_i32_e32 vcc_lo, v2, v19
	v_fma_f32 v13, -v25, v29, v13
	v_fmac_f32_e32 v18, v26, v29
	v_fmac_f32_e32 v14, v22, v29
	v_fmac_f32_e32 v11, v24, v29
	v_fma_f32 v15, -v21, v29, v15
	v_fmac_f32_e32 v16, v20, v29
	v_fma_f32 v17, -v27, v29, v17
	v_fma_f32 v12, -v23, v29, v12
	s_or_b32 s2, vcc_lo, s2
	s_delay_alu instid0(SALU_CYCLE_1)
	s_and_not1_b32 exec_lo, exec_lo, s2
	s_cbranch_execnz .LBB75_21
; %bb.22:
	s_or_b32 exec_lo, exec_lo, s2
.LBB75_23:
	s_delay_alu instid0(SALU_CYCLE_1)
	s_or_b32 exec_lo, exec_lo, s3
.LBB75_24:
	v_mbcnt_lo_u32_b32 v2, -1, 0
	s_delay_alu instid0(VALU_DEP_1) | instskip(SKIP_1) | instid1(VALU_DEP_2)
	v_xor_b32_e32 v3, 4, v2
	v_xor_b32_e32 v23, 2, v2
	v_cmp_gt_i32_e32 vcc_lo, 32, v3
	v_cndmask_b32_e32 v3, v2, v3, vcc_lo
	s_delay_alu instid0(VALU_DEP_3) | instskip(NEXT) | instid1(VALU_DEP_2)
	v_cmp_gt_i32_e32 vcc_lo, 32, v23
	v_lshlrev_b32_e32 v3, 2, v3
	ds_bpermute_b32 v21, v3, v16
	s_waitcnt lgkmcnt(0)
	v_add_f32_e32 v16, v16, v21
	ds_bpermute_b32 v5, v3, v11
	ds_bpermute_b32 v22, v3, v12
	;; [unrolled: 1-line block ×4, first 2 shown]
	v_cndmask_b32_e32 v23, v2, v23, vcc_lo
	ds_bpermute_b32 v19, v3, v18
	ds_bpermute_b32 v20, v3, v15
	;; [unrolled: 1-line block ×3, first 2 shown]
	s_waitcnt lgkmcnt(5)
	v_dual_add_f32 v5, v11, v5 :: v_dual_add_f32 v12, v12, v22
	s_waitcnt lgkmcnt(4)
	v_dual_add_f32 v4, v13, v4 :: v_dual_lshlrev_b32 v23, 2, v23
	s_waitcnt lgkmcnt(3)
	v_add_f32_e32 v11, v17, v6
	s_waitcnt lgkmcnt(2)
	v_add_f32_e32 v13, v18, v19
	;; [unrolled: 2-line block ×3, first 2 shown]
	ds_bpermute_b32 v6, v23, v5
	s_waitcnt lgkmcnt(0)
	v_dual_add_f32 v17, v14, v3 :: v_dual_add_f32 v6, v5, v6
	ds_bpermute_b32 v3, v23, v4
	ds_bpermute_b32 v14, v23, v11
	;; [unrolled: 1-line block ×7, first 2 shown]
	v_xor_b32_e32 v23, 1, v2
	s_delay_alu instid0(VALU_DEP_1) | instskip(SKIP_3) | instid1(VALU_DEP_2)
	v_cmp_gt_i32_e32 vcc_lo, 32, v23
	v_cndmask_b32_e32 v2, v2, v23, vcc_lo
	v_cmp_eq_u32_e32 vcc_lo, 7, v0
	s_waitcnt lgkmcnt(6)
	v_dual_add_f32 v2, v4, v3 :: v_dual_lshlrev_b32 v23, 2, v2
	s_waitcnt lgkmcnt(5)
	v_add_f32_e32 v11, v11, v14
	s_waitcnt lgkmcnt(3)
	v_dual_add_f32 v14, v15, v19 :: v_dual_add_f32 v13, v13, v18
	s_waitcnt lgkmcnt(2)
	v_add_f32_e32 v15, v16, v20
	s_waitcnt lgkmcnt(1)
	v_add_f32_e32 v3, v12, v21
	;; [unrolled: 2-line block ×3, first 2 shown]
	ds_bpermute_b32 v4, v23, v2
	ds_bpermute_b32 v12, v23, v6
	;; [unrolled: 1-line block ×8, first 2 shown]
	s_and_b32 exec_lo, exec_lo, vcc_lo
	s_cbranch_execz .LBB75_29
; %bb.25:
	s_load_b64 s[2:3], s[0:1], 0x38
	v_cmp_eq_f32_e32 vcc_lo, 0, v9
	v_cmp_eq_f32_e64 s0, 0, v10
	s_waitcnt lgkmcnt(0)
	v_add_f32_e32 v4, v2, v4
	v_dual_add_f32 v12, v6, v12 :: v_dual_add_f32 v5, v5, v17
	v_dual_add_f32 v0, v11, v18 :: v_dual_add_f32 v11, v13, v19
	v_add_f32_e32 v2, v14, v20
	v_add_f32_e32 v6, v15, v21
	;; [unrolled: 1-line block ×3, first 2 shown]
	s_and_b32 s0, vcc_lo, s0
	s_delay_alu instid0(SALU_CYCLE_1) | instskip(NEXT) | instid1(SALU_CYCLE_1)
	s_and_saveexec_b32 s1, s0
	s_xor_b32 s0, exec_lo, s1
	s_cbranch_execz .LBB75_27
; %bb.26:
	v_dual_mul_f32 v14, v12, v7 :: v_dual_lshlrev_b32 v17, 2, v1
	v_mul_f32_e64 v15, v11, -v8
	v_mul_f32_e64 v13, v12, -v8
	v_mul_f32_e32 v16, v11, v7
	s_delay_alu instid0(VALU_DEP_4) | instskip(SKIP_1) | instid1(VALU_DEP_4)
	v_ashrrev_i32_e32 v18, 31, v17
	v_mul_f32_e64 v9, v6, -v8
	v_dual_mul_f32 v10, v6, v7 :: v_dual_fmac_f32 v13, v7, v4
	v_mul_f32_e64 v11, v5, -v8
	s_delay_alu instid0(VALU_DEP_4) | instskip(SKIP_2) | instid1(VALU_DEP_4)
	v_lshlrev_b64 v[17:18], 3, v[17:18]
	v_dual_fmac_f32 v15, v7, v0 :: v_dual_mul_f32 v12, v5, v7
	v_dual_fmac_f32 v14, v8, v4 :: v_dual_fmac_f32 v9, v7, v2
	v_dual_fmac_f32 v16, v8, v0 :: v_dual_fmac_f32 v11, v7, v3
	s_delay_alu instid0(VALU_DEP_4)
	v_add_co_u32 v17, vcc_lo, s2, v17
	v_add_co_ci_u32_e32 v18, vcc_lo, s3, v18, vcc_lo
	v_fmac_f32_e32 v10, v8, v2
	v_fmac_f32_e32 v12, v8, v3
	s_clause 0x1
	global_store_b128 v[17:18], v[13:16], off
	global_store_b128 v[17:18], v[9:12], off offset:16
                                        ; implicit-def: $vgpr7
                                        ; implicit-def: $vgpr8
                                        ; implicit-def: $vgpr9
                                        ; implicit-def: $vgpr10
                                        ; implicit-def: $vgpr1
                                        ; implicit-def: $vgpr4
                                        ; implicit-def: $vgpr12
                                        ; implicit-def: $vgpr0
                                        ; implicit-def: $vgpr11
                                        ; implicit-def: $vgpr2
                                        ; implicit-def: $vgpr6
                                        ; implicit-def: $vgpr3
                                        ; implicit-def: $vgpr5
.LBB75_27:
	s_and_not1_saveexec_b32 s0, s0
	s_cbranch_execz .LBB75_29
; %bb.28:
	v_dual_mul_f32 v22, v12, v7 :: v_dual_lshlrev_b32 v13, 2, v1
	v_mul_f32_e64 v1, v12, -v8
	v_mul_f32_e64 v12, v11, -v8
	v_mul_f32_e32 v26, v6, v7
	s_delay_alu instid0(VALU_DEP_4) | instskip(NEXT) | instid1(VALU_DEP_4)
	v_ashrrev_i32_e32 v14, 31, v13
	v_fmac_f32_e32 v1, v7, v4
	s_delay_alu instid0(VALU_DEP_4) | instskip(NEXT) | instid1(VALU_DEP_4)
	v_fmac_f32_e32 v12, v7, v0
	v_fmac_f32_e32 v26, v8, v2
	s_delay_alu instid0(VALU_DEP_4) | instskip(NEXT) | instid1(VALU_DEP_1)
	v_lshlrev_b64 v[13:14], 3, v[13:14]
	v_add_co_u32 v29, vcc_lo, s2, v13
	s_delay_alu instid0(VALU_DEP_2)
	v_add_co_ci_u32_e32 v30, vcc_lo, s3, v14, vcc_lo
	s_clause 0x1
	global_load_b128 v[13:16], v[29:30], off
	global_load_b128 v[17:20], v[29:30], off offset:16
	v_mul_f32_e32 v24, v11, v7
	v_mul_f32_e64 v11, v6, -v8
	v_mul_f32_e64 v6, v5, -v8
	s_delay_alu instid0(VALU_DEP_2) | instskip(SKIP_1) | instid1(VALU_DEP_3)
	v_dual_mul_f32 v28, v5, v7 :: v_dual_fmac_f32 v11, v7, v2
	v_fmac_f32_e32 v22, v8, v4
	v_fmac_f32_e32 v6, v7, v3
	s_waitcnt vmcnt(1)
	s_delay_alu instid0(VALU_DEP_3)
	v_dual_fmac_f32 v28, v8, v3 :: v_dual_fmac_f32 v1, v9, v13
	s_waitcnt vmcnt(0)
	v_dual_fmac_f32 v11, v9, v17 :: v_dual_fmac_f32 v24, v8, v0
	v_fmac_f32_e32 v22, v10, v13
	v_fmac_f32_e32 v12, v9, v15
	;; [unrolled: 1-line block ×6, first 2 shown]
	v_fma_f32 v21, -v10, v14, v1
	v_fmac_f32_e32 v22, v9, v14
	v_fma_f32 v23, -v10, v16, v12
	v_fmac_f32_e32 v24, v9, v16
	;; [unrolled: 2-line block ×4, first 2 shown]
	s_clause 0x1
	global_store_b128 v[29:30], v[21:24], off
	global_store_b128 v[29:30], v[25:28], off offset:16
.LBB75_29:
	s_nop 0
	s_sendmsg sendmsg(MSG_DEALLOC_VGPRS)
	s_endpgm
	.section	.rodata,"a",@progbits
	.p2align	6, 0x0
	.amdhsa_kernel _ZN9rocsparseL19gebsrmvn_4xn_kernelILj128ELj1ELj8E21rocsparse_complex_numIfEEEvi20rocsparse_direction_NS_24const_host_device_scalarIT2_EEPKiS8_PKS5_SA_S6_PS5_21rocsparse_index_base_b
		.amdhsa_group_segment_fixed_size 0
		.amdhsa_private_segment_fixed_size 0
		.amdhsa_kernarg_size 72
		.amdhsa_user_sgpr_count 15
		.amdhsa_user_sgpr_dispatch_ptr 0
		.amdhsa_user_sgpr_queue_ptr 0
		.amdhsa_user_sgpr_kernarg_segment_ptr 1
		.amdhsa_user_sgpr_dispatch_id 0
		.amdhsa_user_sgpr_private_segment_size 0
		.amdhsa_wavefront_size32 1
		.amdhsa_uses_dynamic_stack 0
		.amdhsa_enable_private_segment 0
		.amdhsa_system_sgpr_workgroup_id_x 1
		.amdhsa_system_sgpr_workgroup_id_y 0
		.amdhsa_system_sgpr_workgroup_id_z 0
		.amdhsa_system_sgpr_workgroup_info 0
		.amdhsa_system_vgpr_workitem_id 0
		.amdhsa_next_free_vgpr 31
		.amdhsa_next_free_sgpr 16
		.amdhsa_reserve_vcc 1
		.amdhsa_float_round_mode_32 0
		.amdhsa_float_round_mode_16_64 0
		.amdhsa_float_denorm_mode_32 3
		.amdhsa_float_denorm_mode_16_64 3
		.amdhsa_dx10_clamp 1
		.amdhsa_ieee_mode 1
		.amdhsa_fp16_overflow 0
		.amdhsa_workgroup_processor_mode 1
		.amdhsa_memory_ordered 1
		.amdhsa_forward_progress 0
		.amdhsa_shared_vgpr_count 0
		.amdhsa_exception_fp_ieee_invalid_op 0
		.amdhsa_exception_fp_denorm_src 0
		.amdhsa_exception_fp_ieee_div_zero 0
		.amdhsa_exception_fp_ieee_overflow 0
		.amdhsa_exception_fp_ieee_underflow 0
		.amdhsa_exception_fp_ieee_inexact 0
		.amdhsa_exception_int_div_zero 0
	.end_amdhsa_kernel
	.section	.text._ZN9rocsparseL19gebsrmvn_4xn_kernelILj128ELj1ELj8E21rocsparse_complex_numIfEEEvi20rocsparse_direction_NS_24const_host_device_scalarIT2_EEPKiS8_PKS5_SA_S6_PS5_21rocsparse_index_base_b,"axG",@progbits,_ZN9rocsparseL19gebsrmvn_4xn_kernelILj128ELj1ELj8E21rocsparse_complex_numIfEEEvi20rocsparse_direction_NS_24const_host_device_scalarIT2_EEPKiS8_PKS5_SA_S6_PS5_21rocsparse_index_base_b,comdat
.Lfunc_end75:
	.size	_ZN9rocsparseL19gebsrmvn_4xn_kernelILj128ELj1ELj8E21rocsparse_complex_numIfEEEvi20rocsparse_direction_NS_24const_host_device_scalarIT2_EEPKiS8_PKS5_SA_S6_PS5_21rocsparse_index_base_b, .Lfunc_end75-_ZN9rocsparseL19gebsrmvn_4xn_kernelILj128ELj1ELj8E21rocsparse_complex_numIfEEEvi20rocsparse_direction_NS_24const_host_device_scalarIT2_EEPKiS8_PKS5_SA_S6_PS5_21rocsparse_index_base_b
                                        ; -- End function
	.section	.AMDGPU.csdata,"",@progbits
; Kernel info:
; codeLenInByte = 2016
; NumSgprs: 18
; NumVgprs: 31
; ScratchSize: 0
; MemoryBound: 0
; FloatMode: 240
; IeeeMode: 1
; LDSByteSize: 0 bytes/workgroup (compile time only)
; SGPRBlocks: 2
; VGPRBlocks: 3
; NumSGPRsForWavesPerEU: 18
; NumVGPRsForWavesPerEU: 31
; Occupancy: 16
; WaveLimiterHint : 1
; COMPUTE_PGM_RSRC2:SCRATCH_EN: 0
; COMPUTE_PGM_RSRC2:USER_SGPR: 15
; COMPUTE_PGM_RSRC2:TRAP_HANDLER: 0
; COMPUTE_PGM_RSRC2:TGID_X_EN: 1
; COMPUTE_PGM_RSRC2:TGID_Y_EN: 0
; COMPUTE_PGM_RSRC2:TGID_Z_EN: 0
; COMPUTE_PGM_RSRC2:TIDIG_COMP_CNT: 0
	.section	.text._ZN9rocsparseL19gebsrmvn_4xn_kernelILj128ELj1ELj16E21rocsparse_complex_numIfEEEvi20rocsparse_direction_NS_24const_host_device_scalarIT2_EEPKiS8_PKS5_SA_S6_PS5_21rocsparse_index_base_b,"axG",@progbits,_ZN9rocsparseL19gebsrmvn_4xn_kernelILj128ELj1ELj16E21rocsparse_complex_numIfEEEvi20rocsparse_direction_NS_24const_host_device_scalarIT2_EEPKiS8_PKS5_SA_S6_PS5_21rocsparse_index_base_b,comdat
	.globl	_ZN9rocsparseL19gebsrmvn_4xn_kernelILj128ELj1ELj16E21rocsparse_complex_numIfEEEvi20rocsparse_direction_NS_24const_host_device_scalarIT2_EEPKiS8_PKS5_SA_S6_PS5_21rocsparse_index_base_b ; -- Begin function _ZN9rocsparseL19gebsrmvn_4xn_kernelILj128ELj1ELj16E21rocsparse_complex_numIfEEEvi20rocsparse_direction_NS_24const_host_device_scalarIT2_EEPKiS8_PKS5_SA_S6_PS5_21rocsparse_index_base_b
	.p2align	8
	.type	_ZN9rocsparseL19gebsrmvn_4xn_kernelILj128ELj1ELj16E21rocsparse_complex_numIfEEEvi20rocsparse_direction_NS_24const_host_device_scalarIT2_EEPKiS8_PKS5_SA_S6_PS5_21rocsparse_index_base_b,@function
_ZN9rocsparseL19gebsrmvn_4xn_kernelILj128ELj1ELj16E21rocsparse_complex_numIfEEEvi20rocsparse_direction_NS_24const_host_device_scalarIT2_EEPKiS8_PKS5_SA_S6_PS5_21rocsparse_index_base_b: ; @_ZN9rocsparseL19gebsrmvn_4xn_kernelILj128ELj1ELj16E21rocsparse_complex_numIfEEEvi20rocsparse_direction_NS_24const_host_device_scalarIT2_EEPKiS8_PKS5_SA_S6_PS5_21rocsparse_index_base_b
; %bb.0:
	s_clause 0x2
	s_load_b64 s[12:13], s[0:1], 0x40
	s_load_b64 s[4:5], s[0:1], 0x8
	;; [unrolled: 1-line block ×3, first 2 shown]
	s_waitcnt lgkmcnt(0)
	s_bitcmp1_b32 s13, 0
	v_mov_b32_e32 v7, s4
	s_cselect_b32 s6, -1, 0
	s_delay_alu instid0(SALU_CYCLE_1)
	s_and_b32 vcc_lo, exec_lo, s6
	s_xor_b32 s6, s6, -1
	s_cbranch_vccz .LBB76_15
; %bb.1:
	v_cndmask_b32_e64 v1, 0, 1, s6
	v_mov_b32_e32 v8, s5
	s_and_not1_b32 vcc_lo, exec_lo, s6
	s_cbranch_vccz .LBB76_16
.LBB76_2:
	s_delay_alu instid0(VALU_DEP_2)
	v_cmp_ne_u32_e32 vcc_lo, 1, v1
	v_mov_b32_e32 v9, s2
	s_cbranch_vccz .LBB76_17
.LBB76_3:
	v_cmp_ne_u32_e32 vcc_lo, 1, v1
	v_mov_b32_e32 v10, s3
	s_cbranch_vccnz .LBB76_5
.LBB76_4:
	v_dual_mov_b32 v1, s2 :: v_dual_mov_b32 v2, s3
	flat_load_b32 v10, v[1:2] offset:4
.LBB76_5:
	s_waitcnt vmcnt(0) lgkmcnt(0)
	v_cmp_eq_f32_e32 vcc_lo, 0, v7
	v_cmp_eq_f32_e64 s2, 0, v8
	s_delay_alu instid0(VALU_DEP_1)
	s_and_b32 s4, vcc_lo, s2
	s_mov_b32 s2, -1
	s_and_saveexec_b32 s3, s4
; %bb.6:
	v_cmp_neq_f32_e32 vcc_lo, 1.0, v9
	v_cmp_neq_f32_e64 s2, 0, v10
	s_delay_alu instid0(VALU_DEP_1) | instskip(NEXT) | instid1(SALU_CYCLE_1)
	s_or_b32 s2, vcc_lo, s2
	s_or_not1_b32 s2, s2, exec_lo
; %bb.7:
	s_or_b32 exec_lo, exec_lo, s3
	s_and_saveexec_b32 s3, s2
	s_cbranch_execz .LBB76_29
; %bb.8:
	s_load_b64 s[2:3], s[0:1], 0x0
	v_lshrrev_b32_e32 v1, 4, v0
	s_delay_alu instid0(VALU_DEP_1) | instskip(SKIP_1) | instid1(VALU_DEP_1)
	v_lshl_or_b32 v1, s15, 3, v1
	s_waitcnt lgkmcnt(0)
	v_cmp_gt_i32_e32 vcc_lo, s2, v1
	s_and_b32 exec_lo, exec_lo, vcc_lo
	s_cbranch_execz .LBB76_29
; %bb.9:
	s_load_b256 s[4:11], s[0:1], 0x10
	v_ashrrev_i32_e32 v2, 31, v1
	v_and_b32_e32 v0, 15, v0
	s_cmp_lg_u32 s3, 0
	s_delay_alu instid0(VALU_DEP_2) | instskip(SKIP_1) | instid1(VALU_DEP_1)
	v_lshlrev_b64 v[2:3], 2, v[1:2]
	s_waitcnt lgkmcnt(0)
	v_add_co_u32 v2, vcc_lo, s4, v2
	s_delay_alu instid0(VALU_DEP_2) | instskip(SKIP_4) | instid1(VALU_DEP_2)
	v_add_co_ci_u32_e32 v3, vcc_lo, s5, v3, vcc_lo
	global_load_b64 v[2:3], v[2:3], off
	s_waitcnt vmcnt(0)
	v_subrev_nc_u32_e32 v2, s12, v2
	v_subrev_nc_u32_e32 v19, s12, v3
	v_add_nc_u32_e32 v2, v2, v0
	s_delay_alu instid0(VALU_DEP_1)
	v_cmp_lt_i32_e64 s2, v2, v19
	s_cbranch_scc0 .LBB76_18
; %bb.10:
	v_dual_mov_b32 v11, 0 :: v_dual_mov_b32 v12, 0
	v_dual_mov_b32 v13, 0 :: v_dual_mov_b32 v14, 0
	;; [unrolled: 1-line block ×4, first 2 shown]
	s_mov_b32 s3, 0
	s_and_saveexec_b32 s4, s2
	s_cbranch_execz .LBB76_14
; %bb.11:
	v_dual_mov_b32 v4, 0 :: v_dual_lshlrev_b32 v3, 2, v2
	v_mov_b32_e32 v5, v2
	s_mov_b32 s5, 0
	s_delay_alu instid0(VALU_DEP_2)
	v_mov_b32_e32 v12, v4
	v_mov_b32_e32 v11, v4
	;; [unrolled: 1-line block ×8, first 2 shown]
.LBB76_12:                              ; =>This Inner Loop Header: Depth=1
	v_ashrrev_i32_e32 v6, 31, v5
	s_delay_alu instid0(VALU_DEP_1) | instskip(NEXT) | instid1(VALU_DEP_1)
	v_lshlrev_b64 v[20:21], 2, v[5:6]
	v_add_co_u32 v20, vcc_lo, s6, v20
	s_delay_alu instid0(VALU_DEP_2) | instskip(SKIP_2) | instid1(VALU_DEP_1)
	v_add_co_ci_u32_e32 v21, vcc_lo, s7, v21, vcc_lo
	global_load_b32 v6, v[20:21], off
	v_lshlrev_b64 v[20:21], 3, v[3:4]
	v_add_co_u32 v24, vcc_lo, s8, v20
	s_delay_alu instid0(VALU_DEP_2)
	v_add_co_ci_u32_e32 v25, vcc_lo, s9, v21, vcc_lo
	s_clause 0x1
	global_load_b128 v[20:23], v[24:25], off offset:16
	global_load_b128 v[24:27], v[24:25], off
	v_mov_b32_e32 v29, v4
	s_waitcnt vmcnt(2)
	v_subrev_nc_u32_e32 v28, s12, v6
	s_delay_alu instid0(VALU_DEP_1) | instskip(NEXT) | instid1(VALU_DEP_1)
	v_lshlrev_b64 v[28:29], 3, v[28:29]
	v_add_co_u32 v28, vcc_lo, s10, v28
	s_delay_alu instid0(VALU_DEP_2)
	v_add_co_ci_u32_e32 v29, vcc_lo, s11, v29, vcc_lo
	global_load_b64 v[28:29], v[28:29], off
	v_add_nc_u32_e32 v3, 64, v3
	s_waitcnt vmcnt(0)
	v_dual_fmac_f32 v12, v22, v28 :: v_dual_add_nc_u32 v5, 16, v5
	v_fmac_f32_e32 v16, v21, v28
	v_fmac_f32_e32 v11, v25, v28
	;; [unrolled: 1-line block ×6, first 2 shown]
	v_dual_fmac_f32 v14, v23, v28 :: v_dual_fmac_f32 v11, v24, v29
	v_fmac_f32_e32 v15, v20, v28
	v_cmp_ge_i32_e32 vcc_lo, v5, v19
	v_fma_f32 v17, -v27, v29, v17
	s_delay_alu instid0(VALU_DEP_4)
	v_fmac_f32_e32 v14, v22, v29
	v_fmac_f32_e32 v18, v26, v29
	v_fma_f32 v13, -v25, v29, v13
	v_fma_f32 v15, -v21, v29, v15
	;; [unrolled: 1-line block ×3, first 2 shown]
	s_or_b32 s5, vcc_lo, s5
	s_delay_alu instid0(SALU_CYCLE_1)
	s_and_not1_b32 exec_lo, exec_lo, s5
	s_cbranch_execnz .LBB76_12
; %bb.13:
	s_or_b32 exec_lo, exec_lo, s5
.LBB76_14:
	s_delay_alu instid0(SALU_CYCLE_1) | instskip(NEXT) | instid1(SALU_CYCLE_1)
	s_or_b32 exec_lo, exec_lo, s4
	s_and_not1_b32 vcc_lo, exec_lo, s3
	s_cbranch_vccz .LBB76_19
	s_branch .LBB76_24
.LBB76_15:
	v_dual_mov_b32 v1, s4 :: v_dual_mov_b32 v2, s5
	flat_load_b32 v7, v[1:2]
	v_cndmask_b32_e64 v1, 0, 1, s6
	v_mov_b32_e32 v8, s5
	s_and_not1_b32 vcc_lo, exec_lo, s6
	s_cbranch_vccnz .LBB76_2
.LBB76_16:
	v_dual_mov_b32 v2, s4 :: v_dual_mov_b32 v3, s5
	flat_load_b32 v8, v[2:3] offset:4
	v_cmp_ne_u32_e32 vcc_lo, 1, v1
	v_mov_b32_e32 v9, s2
	s_cbranch_vccnz .LBB76_3
.LBB76_17:
	v_dual_mov_b32 v2, s2 :: v_dual_mov_b32 v3, s3
	flat_load_b32 v9, v[2:3]
	v_cmp_ne_u32_e32 vcc_lo, 1, v1
	v_mov_b32_e32 v10, s3
	s_cbranch_vccz .LBB76_4
	s_branch .LBB76_5
.LBB76_18:
                                        ; implicit-def: $vgpr11
                                        ; implicit-def: $vgpr13
                                        ; implicit-def: $vgpr12
                                        ; implicit-def: $vgpr14
                                        ; implicit-def: $vgpr15
                                        ; implicit-def: $vgpr16
                                        ; implicit-def: $vgpr17
                                        ; implicit-def: $vgpr18
.LBB76_19:
	v_dual_mov_b32 v11, 0 :: v_dual_mov_b32 v12, 0
	v_dual_mov_b32 v13, 0 :: v_dual_mov_b32 v14, 0
	;; [unrolled: 1-line block ×4, first 2 shown]
	s_and_saveexec_b32 s3, s2
	s_cbranch_execz .LBB76_23
; %bb.20:
	v_dual_mov_b32 v5, 0 :: v_dual_lshlrev_b32 v4, 2, v2
	s_mov_b32 s2, 0
	s_delay_alu instid0(VALU_DEP_1)
	v_mov_b32_e32 v11, v5
	v_mov_b32_e32 v13, v5
	;; [unrolled: 1-line block ×8, first 2 shown]
.LBB76_21:                              ; =>This Inner Loop Header: Depth=1
	v_ashrrev_i32_e32 v3, 31, v2
	v_mov_b32_e32 v29, v5
	s_delay_alu instid0(VALU_DEP_2) | instskip(NEXT) | instid1(VALU_DEP_1)
	v_lshlrev_b64 v[20:21], 2, v[2:3]
	v_add_co_u32 v20, vcc_lo, s6, v20
	s_delay_alu instid0(VALU_DEP_2) | instskip(SKIP_3) | instid1(VALU_DEP_2)
	v_add_co_ci_u32_e32 v21, vcc_lo, s7, v21, vcc_lo
	global_load_b32 v3, v[20:21], off
	v_lshlrev_b64 v[20:21], 3, v[4:5]
	v_add_nc_u32_e32 v4, 64, v4
	v_add_co_u32 v24, vcc_lo, s8, v20
	s_delay_alu instid0(VALU_DEP_3)
	v_add_co_ci_u32_e32 v25, vcc_lo, s9, v21, vcc_lo
	s_clause 0x1
	global_load_b128 v[20:23], v[24:25], off offset:16
	global_load_b128 v[24:27], v[24:25], off
	s_waitcnt vmcnt(2)
	v_subrev_nc_u32_e32 v28, s12, v3
	s_delay_alu instid0(VALU_DEP_1) | instskip(NEXT) | instid1(VALU_DEP_1)
	v_lshlrev_b64 v[28:29], 3, v[28:29]
	v_add_co_u32 v28, vcc_lo, s10, v28
	s_delay_alu instid0(VALU_DEP_2)
	v_add_co_ci_u32_e32 v29, vcc_lo, s11, v29, vcc_lo
	global_load_b64 v[28:29], v[28:29], off
	s_waitcnt vmcnt(0)
	v_dual_fmac_f32 v13, v24, v28 :: v_dual_add_nc_u32 v2, 16, v2
	v_fmac_f32_e32 v18, v27, v28
	v_fmac_f32_e32 v11, v25, v28
	;; [unrolled: 1-line block ×7, first 2 shown]
	v_cmp_ge_i32_e32 vcc_lo, v2, v19
	v_fma_f32 v13, -v25, v29, v13
	v_fmac_f32_e32 v18, v26, v29
	v_fmac_f32_e32 v14, v22, v29
	;; [unrolled: 1-line block ×3, first 2 shown]
	v_fma_f32 v15, -v21, v29, v15
	v_fmac_f32_e32 v16, v20, v29
	v_fma_f32 v17, -v27, v29, v17
	v_fma_f32 v12, -v23, v29, v12
	s_or_b32 s2, vcc_lo, s2
	s_delay_alu instid0(SALU_CYCLE_1)
	s_and_not1_b32 exec_lo, exec_lo, s2
	s_cbranch_execnz .LBB76_21
; %bb.22:
	s_or_b32 exec_lo, exec_lo, s2
.LBB76_23:
	s_delay_alu instid0(SALU_CYCLE_1)
	s_or_b32 exec_lo, exec_lo, s3
.LBB76_24:
	v_mbcnt_lo_u32_b32 v2, -1, 0
	s_delay_alu instid0(VALU_DEP_1) | instskip(SKIP_1) | instid1(VALU_DEP_2)
	v_xor_b32_e32 v3, 8, v2
	v_xor_b32_e32 v23, 4, v2
	v_cmp_gt_i32_e32 vcc_lo, 32, v3
	v_cndmask_b32_e32 v3, v2, v3, vcc_lo
	s_delay_alu instid0(VALU_DEP_3) | instskip(NEXT) | instid1(VALU_DEP_2)
	v_cmp_gt_i32_e32 vcc_lo, 32, v23
	v_lshlrev_b32_e32 v3, 2, v3
	ds_bpermute_b32 v6, v3, v17
	s_waitcnt lgkmcnt(0)
	v_add_f32_e32 v6, v17, v6
	ds_bpermute_b32 v4, v3, v13
	ds_bpermute_b32 v22, v3, v12
	;; [unrolled: 1-line block ×7, first 2 shown]
	s_waitcnt lgkmcnt(6)
	v_dual_cndmask_b32 v23, v2, v23 :: v_dual_add_f32 v4, v13, v4
	s_waitcnt lgkmcnt(5)
	s_delay_alu instid0(VALU_DEP_1)
	v_dual_add_f32 v12, v12, v22 :: v_dual_lshlrev_b32 v23, 2, v23
	s_waitcnt lgkmcnt(4)
	v_add_f32_e32 v5, v11, v5
	s_waitcnt lgkmcnt(0)
	v_add_f32_e32 v3, v14, v3
	ds_bpermute_b32 v14, v23, v4
	s_waitcnt lgkmcnt(0)
	v_add_f32_e32 v4, v4, v14
	ds_bpermute_b32 v17, v23, v6
	v_add_f32_e32 v13, v15, v20
	v_add_f32_e32 v15, v16, v21
	ds_bpermute_b32 v21, v23, v12
	v_add_f32_e32 v11, v18, v19
	ds_bpermute_b32 v16, v23, v5
	ds_bpermute_b32 v22, v23, v3
	s_waitcnt lgkmcnt(3)
	v_add_f32_e32 v14, v6, v17
	ds_bpermute_b32 v19, v23, v13
	s_waitcnt lgkmcnt(3)
	v_add_f32_e32 v12, v12, v21
	ds_bpermute_b32 v18, v23, v11
	s_waitcnt lgkmcnt(3)
	v_add_f32_e32 v5, v5, v16
	s_waitcnt lgkmcnt(0)
	v_dual_add_f32 v17, v13, v19 :: v_dual_add_f32 v16, v11, v18
	ds_bpermute_b32 v20, v23, v15
	v_xor_b32_e32 v23, 2, v2
	s_delay_alu instid0(VALU_DEP_1) | instskip(SKIP_1) | instid1(VALU_DEP_1)
	v_cmp_gt_i32_e32 vcc_lo, 32, v23
	v_cndmask_b32_e32 v23, v2, v23, vcc_lo
	v_lshlrev_b32_e32 v23, 2, v23
	ds_bpermute_b32 v6, v23, v5
	ds_bpermute_b32 v11, v23, v14
	;; [unrolled: 1-line block ×3, first 2 shown]
	s_waitcnt lgkmcnt(3)
	v_add_f32_e32 v15, v15, v20
	ds_bpermute_b32 v13, v23, v16
	ds_bpermute_b32 v21, v23, v12
	s_waitcnt lgkmcnt(4)
	v_add_f32_e32 v6, v5, v6
	v_add_f32_e32 v18, v3, v22
	ds_bpermute_b32 v3, v23, v4
	s_waitcnt lgkmcnt(4)
	v_add_f32_e32 v11, v14, v11
	s_waitcnt lgkmcnt(3)
	v_add_f32_e32 v14, v17, v19
	ds_bpermute_b32 v20, v23, v15
	ds_bpermute_b32 v22, v23, v18
	v_xor_b32_e32 v23, 1, v2
	s_waitcnt lgkmcnt(4)
	v_add_f32_e32 v13, v16, v13
	s_delay_alu instid0(VALU_DEP_2) | instskip(SKIP_3) | instid1(VALU_DEP_2)
	v_cmp_gt_i32_e32 vcc_lo, 32, v23
	v_cndmask_b32_e32 v2, v2, v23, vcc_lo
	v_cmp_eq_u32_e32 vcc_lo, 15, v0
	s_waitcnt lgkmcnt(2)
	v_dual_add_f32 v2, v4, v3 :: v_dual_lshlrev_b32 v23, 2, v2
	v_add_f32_e32 v3, v12, v21
	s_waitcnt lgkmcnt(1)
	v_add_f32_e32 v15, v15, v20
	s_waitcnt lgkmcnt(0)
	v_add_f32_e32 v5, v18, v22
	ds_bpermute_b32 v12, v23, v6
	ds_bpermute_b32 v4, v23, v2
	;; [unrolled: 1-line block ×8, first 2 shown]
	s_and_b32 exec_lo, exec_lo, vcc_lo
	s_cbranch_execz .LBB76_29
; %bb.25:
	s_load_b64 s[2:3], s[0:1], 0x38
	v_cmp_eq_f32_e32 vcc_lo, 0, v9
	v_cmp_eq_f32_e64 s0, 0, v10
	s_waitcnt lgkmcnt(0)
	v_add_f32_e32 v4, v2, v4
	v_dual_add_f32 v12, v6, v12 :: v_dual_add_f32 v5, v5, v17
	v_dual_add_f32 v0, v11, v18 :: v_dual_add_f32 v11, v13, v19
	v_add_f32_e32 v2, v14, v20
	v_add_f32_e32 v6, v15, v21
	;; [unrolled: 1-line block ×3, first 2 shown]
	s_and_b32 s0, vcc_lo, s0
	s_delay_alu instid0(SALU_CYCLE_1) | instskip(NEXT) | instid1(SALU_CYCLE_1)
	s_and_saveexec_b32 s1, s0
	s_xor_b32 s0, exec_lo, s1
	s_cbranch_execz .LBB76_27
; %bb.26:
	v_dual_mul_f32 v14, v12, v7 :: v_dual_lshlrev_b32 v17, 2, v1
	v_mul_f32_e64 v15, v11, -v8
	v_mul_f32_e64 v13, v12, -v8
	v_mul_f32_e32 v16, v11, v7
	s_delay_alu instid0(VALU_DEP_4) | instskip(SKIP_1) | instid1(VALU_DEP_4)
	v_ashrrev_i32_e32 v18, 31, v17
	v_mul_f32_e64 v9, v6, -v8
	v_dual_mul_f32 v10, v6, v7 :: v_dual_fmac_f32 v13, v7, v4
	v_mul_f32_e64 v11, v5, -v8
	s_delay_alu instid0(VALU_DEP_4) | instskip(SKIP_2) | instid1(VALU_DEP_4)
	v_lshlrev_b64 v[17:18], 3, v[17:18]
	v_dual_fmac_f32 v15, v7, v0 :: v_dual_mul_f32 v12, v5, v7
	v_dual_fmac_f32 v14, v8, v4 :: v_dual_fmac_f32 v9, v7, v2
	v_dual_fmac_f32 v16, v8, v0 :: v_dual_fmac_f32 v11, v7, v3
	s_delay_alu instid0(VALU_DEP_4)
	v_add_co_u32 v17, vcc_lo, s2, v17
	v_add_co_ci_u32_e32 v18, vcc_lo, s3, v18, vcc_lo
	v_fmac_f32_e32 v10, v8, v2
	v_fmac_f32_e32 v12, v8, v3
	s_clause 0x1
	global_store_b128 v[17:18], v[13:16], off
	global_store_b128 v[17:18], v[9:12], off offset:16
                                        ; implicit-def: $vgpr7
                                        ; implicit-def: $vgpr8
                                        ; implicit-def: $vgpr9
                                        ; implicit-def: $vgpr10
                                        ; implicit-def: $vgpr1
                                        ; implicit-def: $vgpr4
                                        ; implicit-def: $vgpr12
                                        ; implicit-def: $vgpr0
                                        ; implicit-def: $vgpr11
                                        ; implicit-def: $vgpr2
                                        ; implicit-def: $vgpr6
                                        ; implicit-def: $vgpr3
                                        ; implicit-def: $vgpr5
.LBB76_27:
	s_and_not1_saveexec_b32 s0, s0
	s_cbranch_execz .LBB76_29
; %bb.28:
	v_dual_mul_f32 v22, v12, v7 :: v_dual_lshlrev_b32 v13, 2, v1
	v_mul_f32_e64 v1, v12, -v8
	v_mul_f32_e64 v12, v11, -v8
	v_mul_f32_e32 v26, v6, v7
	s_delay_alu instid0(VALU_DEP_4) | instskip(NEXT) | instid1(VALU_DEP_4)
	v_ashrrev_i32_e32 v14, 31, v13
	v_fmac_f32_e32 v1, v7, v4
	s_delay_alu instid0(VALU_DEP_4) | instskip(NEXT) | instid1(VALU_DEP_4)
	v_fmac_f32_e32 v12, v7, v0
	v_fmac_f32_e32 v26, v8, v2
	s_delay_alu instid0(VALU_DEP_4) | instskip(NEXT) | instid1(VALU_DEP_1)
	v_lshlrev_b64 v[13:14], 3, v[13:14]
	v_add_co_u32 v29, vcc_lo, s2, v13
	s_delay_alu instid0(VALU_DEP_2)
	v_add_co_ci_u32_e32 v30, vcc_lo, s3, v14, vcc_lo
	s_clause 0x1
	global_load_b128 v[13:16], v[29:30], off
	global_load_b128 v[17:20], v[29:30], off offset:16
	v_mul_f32_e32 v24, v11, v7
	v_mul_f32_e64 v11, v6, -v8
	v_mul_f32_e64 v6, v5, -v8
	s_delay_alu instid0(VALU_DEP_2) | instskip(SKIP_1) | instid1(VALU_DEP_3)
	v_dual_mul_f32 v28, v5, v7 :: v_dual_fmac_f32 v11, v7, v2
	v_fmac_f32_e32 v22, v8, v4
	v_fmac_f32_e32 v6, v7, v3
	s_waitcnt vmcnt(1)
	s_delay_alu instid0(VALU_DEP_3)
	v_dual_fmac_f32 v28, v8, v3 :: v_dual_fmac_f32 v1, v9, v13
	s_waitcnt vmcnt(0)
	v_dual_fmac_f32 v11, v9, v17 :: v_dual_fmac_f32 v24, v8, v0
	v_fmac_f32_e32 v22, v10, v13
	v_fmac_f32_e32 v12, v9, v15
	;; [unrolled: 1-line block ×6, first 2 shown]
	v_fma_f32 v21, -v10, v14, v1
	v_fmac_f32_e32 v22, v9, v14
	v_fma_f32 v23, -v10, v16, v12
	v_fmac_f32_e32 v24, v9, v16
	v_fma_f32 v25, -v10, v18, v11
	v_fmac_f32_e32 v26, v9, v18
	v_fma_f32 v27, -v10, v20, v6
	v_fmac_f32_e32 v28, v9, v20
	s_clause 0x1
	global_store_b128 v[29:30], v[21:24], off
	global_store_b128 v[29:30], v[25:28], off offset:16
.LBB76_29:
	s_nop 0
	s_sendmsg sendmsg(MSG_DEALLOC_VGPRS)
	s_endpgm
	.section	.rodata,"a",@progbits
	.p2align	6, 0x0
	.amdhsa_kernel _ZN9rocsparseL19gebsrmvn_4xn_kernelILj128ELj1ELj16E21rocsparse_complex_numIfEEEvi20rocsparse_direction_NS_24const_host_device_scalarIT2_EEPKiS8_PKS5_SA_S6_PS5_21rocsparse_index_base_b
		.amdhsa_group_segment_fixed_size 0
		.amdhsa_private_segment_fixed_size 0
		.amdhsa_kernarg_size 72
		.amdhsa_user_sgpr_count 15
		.amdhsa_user_sgpr_dispatch_ptr 0
		.amdhsa_user_sgpr_queue_ptr 0
		.amdhsa_user_sgpr_kernarg_segment_ptr 1
		.amdhsa_user_sgpr_dispatch_id 0
		.amdhsa_user_sgpr_private_segment_size 0
		.amdhsa_wavefront_size32 1
		.amdhsa_uses_dynamic_stack 0
		.amdhsa_enable_private_segment 0
		.amdhsa_system_sgpr_workgroup_id_x 1
		.amdhsa_system_sgpr_workgroup_id_y 0
		.amdhsa_system_sgpr_workgroup_id_z 0
		.amdhsa_system_sgpr_workgroup_info 0
		.amdhsa_system_vgpr_workitem_id 0
		.amdhsa_next_free_vgpr 31
		.amdhsa_next_free_sgpr 16
		.amdhsa_reserve_vcc 1
		.amdhsa_float_round_mode_32 0
		.amdhsa_float_round_mode_16_64 0
		.amdhsa_float_denorm_mode_32 3
		.amdhsa_float_denorm_mode_16_64 3
		.amdhsa_dx10_clamp 1
		.amdhsa_ieee_mode 1
		.amdhsa_fp16_overflow 0
		.amdhsa_workgroup_processor_mode 1
		.amdhsa_memory_ordered 1
		.amdhsa_forward_progress 0
		.amdhsa_shared_vgpr_count 0
		.amdhsa_exception_fp_ieee_invalid_op 0
		.amdhsa_exception_fp_denorm_src 0
		.amdhsa_exception_fp_ieee_div_zero 0
		.amdhsa_exception_fp_ieee_overflow 0
		.amdhsa_exception_fp_ieee_underflow 0
		.amdhsa_exception_fp_ieee_inexact 0
		.amdhsa_exception_int_div_zero 0
	.end_amdhsa_kernel
	.section	.text._ZN9rocsparseL19gebsrmvn_4xn_kernelILj128ELj1ELj16E21rocsparse_complex_numIfEEEvi20rocsparse_direction_NS_24const_host_device_scalarIT2_EEPKiS8_PKS5_SA_S6_PS5_21rocsparse_index_base_b,"axG",@progbits,_ZN9rocsparseL19gebsrmvn_4xn_kernelILj128ELj1ELj16E21rocsparse_complex_numIfEEEvi20rocsparse_direction_NS_24const_host_device_scalarIT2_EEPKiS8_PKS5_SA_S6_PS5_21rocsparse_index_base_b,comdat
.Lfunc_end76:
	.size	_ZN9rocsparseL19gebsrmvn_4xn_kernelILj128ELj1ELj16E21rocsparse_complex_numIfEEEvi20rocsparse_direction_NS_24const_host_device_scalarIT2_EEPKiS8_PKS5_SA_S6_PS5_21rocsparse_index_base_b, .Lfunc_end76-_ZN9rocsparseL19gebsrmvn_4xn_kernelILj128ELj1ELj16E21rocsparse_complex_numIfEEEvi20rocsparse_direction_NS_24const_host_device_scalarIT2_EEPKiS8_PKS5_SA_S6_PS5_21rocsparse_index_base_b
                                        ; -- End function
	.section	.AMDGPU.csdata,"",@progbits
; Kernel info:
; codeLenInByte = 2156
; NumSgprs: 18
; NumVgprs: 31
; ScratchSize: 0
; MemoryBound: 0
; FloatMode: 240
; IeeeMode: 1
; LDSByteSize: 0 bytes/workgroup (compile time only)
; SGPRBlocks: 2
; VGPRBlocks: 3
; NumSGPRsForWavesPerEU: 18
; NumVGPRsForWavesPerEU: 31
; Occupancy: 16
; WaveLimiterHint : 1
; COMPUTE_PGM_RSRC2:SCRATCH_EN: 0
; COMPUTE_PGM_RSRC2:USER_SGPR: 15
; COMPUTE_PGM_RSRC2:TRAP_HANDLER: 0
; COMPUTE_PGM_RSRC2:TGID_X_EN: 1
; COMPUTE_PGM_RSRC2:TGID_Y_EN: 0
; COMPUTE_PGM_RSRC2:TGID_Z_EN: 0
; COMPUTE_PGM_RSRC2:TIDIG_COMP_CNT: 0
	.section	.text._ZN9rocsparseL19gebsrmvn_4xn_kernelILj128ELj1ELj32E21rocsparse_complex_numIfEEEvi20rocsparse_direction_NS_24const_host_device_scalarIT2_EEPKiS8_PKS5_SA_S6_PS5_21rocsparse_index_base_b,"axG",@progbits,_ZN9rocsparseL19gebsrmvn_4xn_kernelILj128ELj1ELj32E21rocsparse_complex_numIfEEEvi20rocsparse_direction_NS_24const_host_device_scalarIT2_EEPKiS8_PKS5_SA_S6_PS5_21rocsparse_index_base_b,comdat
	.globl	_ZN9rocsparseL19gebsrmvn_4xn_kernelILj128ELj1ELj32E21rocsparse_complex_numIfEEEvi20rocsparse_direction_NS_24const_host_device_scalarIT2_EEPKiS8_PKS5_SA_S6_PS5_21rocsparse_index_base_b ; -- Begin function _ZN9rocsparseL19gebsrmvn_4xn_kernelILj128ELj1ELj32E21rocsparse_complex_numIfEEEvi20rocsparse_direction_NS_24const_host_device_scalarIT2_EEPKiS8_PKS5_SA_S6_PS5_21rocsparse_index_base_b
	.p2align	8
	.type	_ZN9rocsparseL19gebsrmvn_4xn_kernelILj128ELj1ELj32E21rocsparse_complex_numIfEEEvi20rocsparse_direction_NS_24const_host_device_scalarIT2_EEPKiS8_PKS5_SA_S6_PS5_21rocsparse_index_base_b,@function
_ZN9rocsparseL19gebsrmvn_4xn_kernelILj128ELj1ELj32E21rocsparse_complex_numIfEEEvi20rocsparse_direction_NS_24const_host_device_scalarIT2_EEPKiS8_PKS5_SA_S6_PS5_21rocsparse_index_base_b: ; @_ZN9rocsparseL19gebsrmvn_4xn_kernelILj128ELj1ELj32E21rocsparse_complex_numIfEEEvi20rocsparse_direction_NS_24const_host_device_scalarIT2_EEPKiS8_PKS5_SA_S6_PS5_21rocsparse_index_base_b
; %bb.0:
	s_clause 0x2
	s_load_b64 s[12:13], s[0:1], 0x40
	s_load_b64 s[4:5], s[0:1], 0x8
	;; [unrolled: 1-line block ×3, first 2 shown]
	s_waitcnt lgkmcnt(0)
	s_bitcmp1_b32 s13, 0
	v_mov_b32_e32 v7, s4
	s_cselect_b32 s6, -1, 0
	s_delay_alu instid0(SALU_CYCLE_1)
	s_and_b32 vcc_lo, exec_lo, s6
	s_xor_b32 s6, s6, -1
	s_cbranch_vccz .LBB77_15
; %bb.1:
	v_cndmask_b32_e64 v1, 0, 1, s6
	v_mov_b32_e32 v8, s5
	s_and_not1_b32 vcc_lo, exec_lo, s6
	s_cbranch_vccz .LBB77_16
.LBB77_2:
	s_delay_alu instid0(VALU_DEP_2)
	v_cmp_ne_u32_e32 vcc_lo, 1, v1
	v_mov_b32_e32 v9, s2
	s_cbranch_vccz .LBB77_17
.LBB77_3:
	v_cmp_ne_u32_e32 vcc_lo, 1, v1
	v_mov_b32_e32 v10, s3
	s_cbranch_vccnz .LBB77_5
.LBB77_4:
	v_dual_mov_b32 v1, s2 :: v_dual_mov_b32 v2, s3
	flat_load_b32 v10, v[1:2] offset:4
.LBB77_5:
	s_waitcnt vmcnt(0) lgkmcnt(0)
	v_cmp_eq_f32_e32 vcc_lo, 0, v7
	v_cmp_eq_f32_e64 s2, 0, v8
	s_delay_alu instid0(VALU_DEP_1)
	s_and_b32 s4, vcc_lo, s2
	s_mov_b32 s2, -1
	s_and_saveexec_b32 s3, s4
; %bb.6:
	v_cmp_neq_f32_e32 vcc_lo, 1.0, v9
	v_cmp_neq_f32_e64 s2, 0, v10
	s_delay_alu instid0(VALU_DEP_1) | instskip(NEXT) | instid1(SALU_CYCLE_1)
	s_or_b32 s2, vcc_lo, s2
	s_or_not1_b32 s2, s2, exec_lo
; %bb.7:
	s_or_b32 exec_lo, exec_lo, s3
	s_and_saveexec_b32 s3, s2
	s_cbranch_execz .LBB77_29
; %bb.8:
	s_load_b64 s[2:3], s[0:1], 0x0
	v_lshrrev_b32_e32 v1, 5, v0
	s_delay_alu instid0(VALU_DEP_1) | instskip(SKIP_1) | instid1(VALU_DEP_1)
	v_lshl_or_b32 v1, s15, 2, v1
	s_waitcnt lgkmcnt(0)
	v_cmp_gt_i32_e32 vcc_lo, s2, v1
	s_and_b32 exec_lo, exec_lo, vcc_lo
	s_cbranch_execz .LBB77_29
; %bb.9:
	s_load_b256 s[4:11], s[0:1], 0x10
	v_ashrrev_i32_e32 v2, 31, v1
	v_and_b32_e32 v0, 31, v0
	s_cmp_lg_u32 s3, 0
	s_delay_alu instid0(VALU_DEP_2) | instskip(SKIP_1) | instid1(VALU_DEP_1)
	v_lshlrev_b64 v[2:3], 2, v[1:2]
	s_waitcnt lgkmcnt(0)
	v_add_co_u32 v2, vcc_lo, s4, v2
	s_delay_alu instid0(VALU_DEP_2) | instskip(SKIP_4) | instid1(VALU_DEP_2)
	v_add_co_ci_u32_e32 v3, vcc_lo, s5, v3, vcc_lo
	global_load_b64 v[2:3], v[2:3], off
	s_waitcnt vmcnt(0)
	v_subrev_nc_u32_e32 v2, s12, v2
	v_subrev_nc_u32_e32 v19, s12, v3
	v_add_nc_u32_e32 v2, v2, v0
	s_delay_alu instid0(VALU_DEP_1)
	v_cmp_lt_i32_e64 s2, v2, v19
	s_cbranch_scc0 .LBB77_18
; %bb.10:
	v_dual_mov_b32 v11, 0 :: v_dual_mov_b32 v12, 0
	v_dual_mov_b32 v13, 0 :: v_dual_mov_b32 v14, 0
	;; [unrolled: 1-line block ×4, first 2 shown]
	s_mov_b32 s3, 0
	s_and_saveexec_b32 s4, s2
	s_cbranch_execz .LBB77_14
; %bb.11:
	v_dual_mov_b32 v4, 0 :: v_dual_lshlrev_b32 v3, 2, v2
	v_mov_b32_e32 v5, v2
	s_mov_b32 s5, 0
	s_delay_alu instid0(VALU_DEP_2)
	v_mov_b32_e32 v12, v4
	v_mov_b32_e32 v11, v4
	v_mov_b32_e32 v13, v4
	v_mov_b32_e32 v14, v4
	v_mov_b32_e32 v15, v4
	v_mov_b32_e32 v16, v4
	v_mov_b32_e32 v17, v4
	v_mov_b32_e32 v18, v4
.LBB77_12:                              ; =>This Inner Loop Header: Depth=1
	v_ashrrev_i32_e32 v6, 31, v5
	s_delay_alu instid0(VALU_DEP_1) | instskip(NEXT) | instid1(VALU_DEP_1)
	v_lshlrev_b64 v[20:21], 2, v[5:6]
	v_add_co_u32 v20, vcc_lo, s6, v20
	s_delay_alu instid0(VALU_DEP_2) | instskip(SKIP_2) | instid1(VALU_DEP_1)
	v_add_co_ci_u32_e32 v21, vcc_lo, s7, v21, vcc_lo
	global_load_b32 v6, v[20:21], off
	v_lshlrev_b64 v[20:21], 3, v[3:4]
	v_add_co_u32 v24, vcc_lo, s8, v20
	s_delay_alu instid0(VALU_DEP_2)
	v_add_co_ci_u32_e32 v25, vcc_lo, s9, v21, vcc_lo
	s_clause 0x1
	global_load_b128 v[20:23], v[24:25], off offset:16
	global_load_b128 v[24:27], v[24:25], off
	v_mov_b32_e32 v29, v4
	s_waitcnt vmcnt(2)
	v_subrev_nc_u32_e32 v28, s12, v6
	s_delay_alu instid0(VALU_DEP_1) | instskip(NEXT) | instid1(VALU_DEP_1)
	v_lshlrev_b64 v[28:29], 3, v[28:29]
	v_add_co_u32 v28, vcc_lo, s10, v28
	s_delay_alu instid0(VALU_DEP_2)
	v_add_co_ci_u32_e32 v29, vcc_lo, s11, v29, vcc_lo
	global_load_b64 v[28:29], v[28:29], off
	v_add_nc_u32_e32 v3, 0x80, v3
	s_waitcnt vmcnt(0)
	v_dual_fmac_f32 v12, v22, v28 :: v_dual_add_nc_u32 v5, 32, v5
	v_fmac_f32_e32 v16, v21, v28
	v_fmac_f32_e32 v11, v25, v28
	v_fmac_f32_e32 v17, v26, v28
	v_fmac_f32_e32 v18, v27, v28
	v_fmac_f32_e32 v13, v24, v28
	v_fmac_f32_e32 v16, v20, v29
	v_dual_fmac_f32 v14, v23, v28 :: v_dual_fmac_f32 v11, v24, v29
	v_fmac_f32_e32 v15, v20, v28
	v_cmp_ge_i32_e32 vcc_lo, v5, v19
	v_fma_f32 v17, -v27, v29, v17
	s_delay_alu instid0(VALU_DEP_4)
	v_fmac_f32_e32 v14, v22, v29
	v_fmac_f32_e32 v18, v26, v29
	v_fma_f32 v13, -v25, v29, v13
	v_fma_f32 v15, -v21, v29, v15
	;; [unrolled: 1-line block ×3, first 2 shown]
	s_or_b32 s5, vcc_lo, s5
	s_delay_alu instid0(SALU_CYCLE_1)
	s_and_not1_b32 exec_lo, exec_lo, s5
	s_cbranch_execnz .LBB77_12
; %bb.13:
	s_or_b32 exec_lo, exec_lo, s5
.LBB77_14:
	s_delay_alu instid0(SALU_CYCLE_1) | instskip(NEXT) | instid1(SALU_CYCLE_1)
	s_or_b32 exec_lo, exec_lo, s4
	s_and_not1_b32 vcc_lo, exec_lo, s3
	s_cbranch_vccz .LBB77_19
	s_branch .LBB77_24
.LBB77_15:
	v_dual_mov_b32 v1, s4 :: v_dual_mov_b32 v2, s5
	flat_load_b32 v7, v[1:2]
	v_cndmask_b32_e64 v1, 0, 1, s6
	v_mov_b32_e32 v8, s5
	s_and_not1_b32 vcc_lo, exec_lo, s6
	s_cbranch_vccnz .LBB77_2
.LBB77_16:
	v_dual_mov_b32 v2, s4 :: v_dual_mov_b32 v3, s5
	flat_load_b32 v8, v[2:3] offset:4
	v_cmp_ne_u32_e32 vcc_lo, 1, v1
	v_mov_b32_e32 v9, s2
	s_cbranch_vccnz .LBB77_3
.LBB77_17:
	v_dual_mov_b32 v2, s2 :: v_dual_mov_b32 v3, s3
	flat_load_b32 v9, v[2:3]
	v_cmp_ne_u32_e32 vcc_lo, 1, v1
	v_mov_b32_e32 v10, s3
	s_cbranch_vccz .LBB77_4
	s_branch .LBB77_5
.LBB77_18:
                                        ; implicit-def: $vgpr11
                                        ; implicit-def: $vgpr13
                                        ; implicit-def: $vgpr12
                                        ; implicit-def: $vgpr14
                                        ; implicit-def: $vgpr15
                                        ; implicit-def: $vgpr16
                                        ; implicit-def: $vgpr17
                                        ; implicit-def: $vgpr18
.LBB77_19:
	v_dual_mov_b32 v11, 0 :: v_dual_mov_b32 v12, 0
	v_dual_mov_b32 v13, 0 :: v_dual_mov_b32 v14, 0
	;; [unrolled: 1-line block ×4, first 2 shown]
	s_and_saveexec_b32 s3, s2
	s_cbranch_execz .LBB77_23
; %bb.20:
	v_dual_mov_b32 v5, 0 :: v_dual_lshlrev_b32 v4, 2, v2
	s_mov_b32 s2, 0
	s_delay_alu instid0(VALU_DEP_1)
	v_mov_b32_e32 v11, v5
	v_mov_b32_e32 v13, v5
	;; [unrolled: 1-line block ×8, first 2 shown]
.LBB77_21:                              ; =>This Inner Loop Header: Depth=1
	v_ashrrev_i32_e32 v3, 31, v2
	v_mov_b32_e32 v29, v5
	s_delay_alu instid0(VALU_DEP_2) | instskip(NEXT) | instid1(VALU_DEP_1)
	v_lshlrev_b64 v[20:21], 2, v[2:3]
	v_add_co_u32 v20, vcc_lo, s6, v20
	s_delay_alu instid0(VALU_DEP_2) | instskip(SKIP_3) | instid1(VALU_DEP_2)
	v_add_co_ci_u32_e32 v21, vcc_lo, s7, v21, vcc_lo
	global_load_b32 v3, v[20:21], off
	v_lshlrev_b64 v[20:21], 3, v[4:5]
	v_add_nc_u32_e32 v4, 0x80, v4
	v_add_co_u32 v24, vcc_lo, s8, v20
	s_delay_alu instid0(VALU_DEP_3)
	v_add_co_ci_u32_e32 v25, vcc_lo, s9, v21, vcc_lo
	s_clause 0x1
	global_load_b128 v[20:23], v[24:25], off offset:16
	global_load_b128 v[24:27], v[24:25], off
	s_waitcnt vmcnt(2)
	v_subrev_nc_u32_e32 v28, s12, v3
	s_delay_alu instid0(VALU_DEP_1) | instskip(NEXT) | instid1(VALU_DEP_1)
	v_lshlrev_b64 v[28:29], 3, v[28:29]
	v_add_co_u32 v28, vcc_lo, s10, v28
	s_delay_alu instid0(VALU_DEP_2)
	v_add_co_ci_u32_e32 v29, vcc_lo, s11, v29, vcc_lo
	global_load_b64 v[28:29], v[28:29], off
	s_waitcnt vmcnt(0)
	v_dual_fmac_f32 v13, v24, v28 :: v_dual_add_nc_u32 v2, 32, v2
	v_fmac_f32_e32 v18, v27, v28
	v_fmac_f32_e32 v11, v25, v28
	;; [unrolled: 1-line block ×7, first 2 shown]
	v_cmp_ge_i32_e32 vcc_lo, v2, v19
	v_fma_f32 v13, -v25, v29, v13
	v_fmac_f32_e32 v18, v26, v29
	v_fmac_f32_e32 v14, v22, v29
	;; [unrolled: 1-line block ×3, first 2 shown]
	v_fma_f32 v15, -v21, v29, v15
	v_fmac_f32_e32 v16, v20, v29
	v_fma_f32 v17, -v27, v29, v17
	v_fma_f32 v12, -v23, v29, v12
	s_or_b32 s2, vcc_lo, s2
	s_delay_alu instid0(SALU_CYCLE_1)
	s_and_not1_b32 exec_lo, exec_lo, s2
	s_cbranch_execnz .LBB77_21
; %bb.22:
	s_or_b32 exec_lo, exec_lo, s2
.LBB77_23:
	s_delay_alu instid0(SALU_CYCLE_1)
	s_or_b32 exec_lo, exec_lo, s3
.LBB77_24:
	v_mbcnt_lo_u32_b32 v2, -1, 0
	s_delay_alu instid0(VALU_DEP_1) | instskip(SKIP_1) | instid1(VALU_DEP_2)
	v_xor_b32_e32 v3, 16, v2
	v_xor_b32_e32 v23, 8, v2
	v_cmp_gt_i32_e32 vcc_lo, 32, v3
	v_cndmask_b32_e32 v3, v2, v3, vcc_lo
	s_delay_alu instid0(VALU_DEP_3) | instskip(NEXT) | instid1(VALU_DEP_2)
	v_cmp_gt_i32_e32 vcc_lo, 32, v23
	v_lshlrev_b32_e32 v3, 2, v3
	ds_bpermute_b32 v6, v3, v17
	s_waitcnt lgkmcnt(0)
	v_add_f32_e32 v6, v17, v6
	ds_bpermute_b32 v4, v3, v13
	ds_bpermute_b32 v22, v3, v12
	;; [unrolled: 1-line block ×7, first 2 shown]
	s_waitcnt lgkmcnt(6)
	v_dual_cndmask_b32 v23, v2, v23 :: v_dual_add_f32 v4, v13, v4
	s_waitcnt lgkmcnt(5)
	s_delay_alu instid0(VALU_DEP_1)
	v_dual_add_f32 v12, v12, v22 :: v_dual_lshlrev_b32 v23, 2, v23
	s_waitcnt lgkmcnt(0)
	v_add_f32_e32 v3, v14, v3
	ds_bpermute_b32 v14, v23, v4
	s_waitcnt lgkmcnt(0)
	v_add_f32_e32 v4, v4, v14
	ds_bpermute_b32 v17, v23, v6
	v_add_f32_e32 v13, v15, v20
	v_add_f32_e32 v15, v16, v21
	ds_bpermute_b32 v21, v23, v12
	v_add_f32_e32 v5, v11, v5
	ds_bpermute_b32 v20, v23, v15
	;; [unrolled: 2-line block ×3, first 2 shown]
	s_waitcnt lgkmcnt(3)
	v_add_f32_e32 v6, v6, v17
	ds_bpermute_b32 v19, v23, v13
	s_waitcnt lgkmcnt(3)
	v_add_f32_e32 v12, v12, v21
	ds_bpermute_b32 v22, v23, v3
	;; [unrolled: 3-line block ×3, first 2 shown]
	v_xor_b32_e32 v23, 4, v2
	s_delay_alu instid0(VALU_DEP_1) | instskip(SKIP_3) | instid1(VALU_DEP_2)
	v_cmp_gt_i32_e32 vcc_lo, 32, v23
	v_cndmask_b32_e32 v23, v2, v23, vcc_lo
	s_waitcnt lgkmcnt(2)
	v_add_f32_e32 v13, v13, v19
	v_lshlrev_b32_e32 v23, 2, v23
	s_waitcnt lgkmcnt(1)
	v_add_f32_e32 v3, v3, v22
	ds_bpermute_b32 v15, v23, v4
	ds_bpermute_b32 v20, v23, v14
	s_waitcnt lgkmcnt(1)
	v_dual_add_f32 v4, v4, v15 :: v_dual_add_f32 v5, v5, v16
	v_add_f32_e32 v11, v11, v18
	ds_bpermute_b32 v16, v23, v5
	ds_bpermute_b32 v18, v23, v11
	s_waitcnt lgkmcnt(0)
	v_dual_add_f32 v5, v5, v16 :: v_dual_add_f32 v16, v11, v18
	v_add_f32_e32 v18, v14, v20
	ds_bpermute_b32 v17, v23, v6
	ds_bpermute_b32 v19, v23, v13
	;; [unrolled: 1-line block ×4, first 2 shown]
	v_xor_b32_e32 v23, 2, v2
	s_delay_alu instid0(VALU_DEP_1)
	v_cmp_gt_i32_e32 vcc_lo, 32, v23
	v_cndmask_b32_e32 v23, v2, v23, vcc_lo
	s_waitcnt lgkmcnt(3)
	v_add_f32_e32 v15, v6, v17
	s_waitcnt lgkmcnt(2)
	v_add_f32_e32 v17, v13, v19
	s_waitcnt lgkmcnt(1)
	v_dual_add_f32 v12, v12, v21 :: v_dual_lshlrev_b32 v23, 2, v23
	s_waitcnt lgkmcnt(0)
	v_add_f32_e32 v19, v3, v22
	ds_bpermute_b32 v14, v23, v17
	s_waitcnt lgkmcnt(0)
	v_add_f32_e32 v14, v17, v14
	ds_bpermute_b32 v3, v23, v4
	ds_bpermute_b32 v6, v23, v5
	;; [unrolled: 1-line block ×7, first 2 shown]
	v_xor_b32_e32 v23, 1, v2
	s_delay_alu instid0(VALU_DEP_1) | instskip(SKIP_4) | instid1(VALU_DEP_3)
	v_cmp_gt_i32_e32 vcc_lo, 32, v23
	v_cndmask_b32_e32 v2, v2, v23, vcc_lo
	v_cmp_eq_u32_e32 vcc_lo, 31, v0
	s_waitcnt lgkmcnt(5)
	v_add_f32_e32 v6, v5, v6
	v_dual_add_f32 v2, v4, v3 :: v_dual_lshlrev_b32 v23, 2, v2
	s_waitcnt lgkmcnt(4)
	v_add_f32_e32 v11, v15, v11
	s_waitcnt lgkmcnt(3)
	v_add_f32_e32 v13, v16, v13
	;; [unrolled: 2-line block ×5, first 2 shown]
	ds_bpermute_b32 v4, v23, v2
	ds_bpermute_b32 v12, v23, v6
	;; [unrolled: 1-line block ×8, first 2 shown]
	s_and_b32 exec_lo, exec_lo, vcc_lo
	s_cbranch_execz .LBB77_29
; %bb.25:
	s_load_b64 s[2:3], s[0:1], 0x38
	v_cmp_eq_f32_e32 vcc_lo, 0, v9
	v_cmp_eq_f32_e64 s0, 0, v10
	s_waitcnt lgkmcnt(0)
	v_add_f32_e32 v4, v2, v4
	v_dual_add_f32 v12, v6, v12 :: v_dual_add_f32 v5, v5, v17
	v_dual_add_f32 v0, v11, v18 :: v_dual_add_f32 v11, v13, v19
	v_add_f32_e32 v2, v14, v20
	v_add_f32_e32 v6, v15, v21
	;; [unrolled: 1-line block ×3, first 2 shown]
	s_and_b32 s0, vcc_lo, s0
	s_delay_alu instid0(SALU_CYCLE_1) | instskip(NEXT) | instid1(SALU_CYCLE_1)
	s_and_saveexec_b32 s1, s0
	s_xor_b32 s0, exec_lo, s1
	s_cbranch_execz .LBB77_27
; %bb.26:
	v_dual_mul_f32 v14, v12, v7 :: v_dual_lshlrev_b32 v17, 2, v1
	v_mul_f32_e64 v15, v11, -v8
	v_mul_f32_e64 v13, v12, -v8
	v_mul_f32_e32 v16, v11, v7
	s_delay_alu instid0(VALU_DEP_4) | instskip(SKIP_1) | instid1(VALU_DEP_4)
	v_ashrrev_i32_e32 v18, 31, v17
	v_mul_f32_e64 v9, v6, -v8
	v_dual_mul_f32 v10, v6, v7 :: v_dual_fmac_f32 v13, v7, v4
	v_mul_f32_e64 v11, v5, -v8
	s_delay_alu instid0(VALU_DEP_4) | instskip(SKIP_2) | instid1(VALU_DEP_4)
	v_lshlrev_b64 v[17:18], 3, v[17:18]
	v_dual_fmac_f32 v15, v7, v0 :: v_dual_mul_f32 v12, v5, v7
	v_dual_fmac_f32 v14, v8, v4 :: v_dual_fmac_f32 v9, v7, v2
	v_dual_fmac_f32 v16, v8, v0 :: v_dual_fmac_f32 v11, v7, v3
	s_delay_alu instid0(VALU_DEP_4)
	v_add_co_u32 v17, vcc_lo, s2, v17
	v_add_co_ci_u32_e32 v18, vcc_lo, s3, v18, vcc_lo
	v_fmac_f32_e32 v10, v8, v2
	v_fmac_f32_e32 v12, v8, v3
	s_clause 0x1
	global_store_b128 v[17:18], v[13:16], off
	global_store_b128 v[17:18], v[9:12], off offset:16
                                        ; implicit-def: $vgpr7
                                        ; implicit-def: $vgpr8
                                        ; implicit-def: $vgpr9
                                        ; implicit-def: $vgpr10
                                        ; implicit-def: $vgpr1
                                        ; implicit-def: $vgpr4
                                        ; implicit-def: $vgpr12
                                        ; implicit-def: $vgpr0
                                        ; implicit-def: $vgpr11
                                        ; implicit-def: $vgpr2
                                        ; implicit-def: $vgpr6
                                        ; implicit-def: $vgpr3
                                        ; implicit-def: $vgpr5
.LBB77_27:
	s_and_not1_saveexec_b32 s0, s0
	s_cbranch_execz .LBB77_29
; %bb.28:
	v_dual_mul_f32 v22, v12, v7 :: v_dual_lshlrev_b32 v13, 2, v1
	v_mul_f32_e64 v1, v12, -v8
	v_mul_f32_e64 v12, v11, -v8
	v_mul_f32_e32 v26, v6, v7
	s_delay_alu instid0(VALU_DEP_4) | instskip(NEXT) | instid1(VALU_DEP_4)
	v_ashrrev_i32_e32 v14, 31, v13
	v_fmac_f32_e32 v1, v7, v4
	s_delay_alu instid0(VALU_DEP_4) | instskip(NEXT) | instid1(VALU_DEP_4)
	v_fmac_f32_e32 v12, v7, v0
	v_fmac_f32_e32 v26, v8, v2
	s_delay_alu instid0(VALU_DEP_4) | instskip(NEXT) | instid1(VALU_DEP_1)
	v_lshlrev_b64 v[13:14], 3, v[13:14]
	v_add_co_u32 v29, vcc_lo, s2, v13
	s_delay_alu instid0(VALU_DEP_2)
	v_add_co_ci_u32_e32 v30, vcc_lo, s3, v14, vcc_lo
	s_clause 0x1
	global_load_b128 v[13:16], v[29:30], off
	global_load_b128 v[17:20], v[29:30], off offset:16
	v_mul_f32_e32 v24, v11, v7
	v_mul_f32_e64 v11, v6, -v8
	v_mul_f32_e64 v6, v5, -v8
	s_delay_alu instid0(VALU_DEP_2) | instskip(SKIP_1) | instid1(VALU_DEP_3)
	v_dual_mul_f32 v28, v5, v7 :: v_dual_fmac_f32 v11, v7, v2
	v_fmac_f32_e32 v22, v8, v4
	v_fmac_f32_e32 v6, v7, v3
	s_waitcnt vmcnt(1)
	s_delay_alu instid0(VALU_DEP_3)
	v_dual_fmac_f32 v28, v8, v3 :: v_dual_fmac_f32 v1, v9, v13
	s_waitcnt vmcnt(0)
	v_dual_fmac_f32 v11, v9, v17 :: v_dual_fmac_f32 v24, v8, v0
	v_fmac_f32_e32 v22, v10, v13
	v_fmac_f32_e32 v12, v9, v15
	;; [unrolled: 1-line block ×6, first 2 shown]
	v_fma_f32 v21, -v10, v14, v1
	v_fmac_f32_e32 v22, v9, v14
	v_fma_f32 v23, -v10, v16, v12
	v_fmac_f32_e32 v24, v9, v16
	;; [unrolled: 2-line block ×4, first 2 shown]
	s_clause 0x1
	global_store_b128 v[29:30], v[21:24], off
	global_store_b128 v[29:30], v[25:28], off offset:16
.LBB77_29:
	s_nop 0
	s_sendmsg sendmsg(MSG_DEALLOC_VGPRS)
	s_endpgm
	.section	.rodata,"a",@progbits
	.p2align	6, 0x0
	.amdhsa_kernel _ZN9rocsparseL19gebsrmvn_4xn_kernelILj128ELj1ELj32E21rocsparse_complex_numIfEEEvi20rocsparse_direction_NS_24const_host_device_scalarIT2_EEPKiS8_PKS5_SA_S6_PS5_21rocsparse_index_base_b
		.amdhsa_group_segment_fixed_size 0
		.amdhsa_private_segment_fixed_size 0
		.amdhsa_kernarg_size 72
		.amdhsa_user_sgpr_count 15
		.amdhsa_user_sgpr_dispatch_ptr 0
		.amdhsa_user_sgpr_queue_ptr 0
		.amdhsa_user_sgpr_kernarg_segment_ptr 1
		.amdhsa_user_sgpr_dispatch_id 0
		.amdhsa_user_sgpr_private_segment_size 0
		.amdhsa_wavefront_size32 1
		.amdhsa_uses_dynamic_stack 0
		.amdhsa_enable_private_segment 0
		.amdhsa_system_sgpr_workgroup_id_x 1
		.amdhsa_system_sgpr_workgroup_id_y 0
		.amdhsa_system_sgpr_workgroup_id_z 0
		.amdhsa_system_sgpr_workgroup_info 0
		.amdhsa_system_vgpr_workitem_id 0
		.amdhsa_next_free_vgpr 31
		.amdhsa_next_free_sgpr 16
		.amdhsa_reserve_vcc 1
		.amdhsa_float_round_mode_32 0
		.amdhsa_float_round_mode_16_64 0
		.amdhsa_float_denorm_mode_32 3
		.amdhsa_float_denorm_mode_16_64 3
		.amdhsa_dx10_clamp 1
		.amdhsa_ieee_mode 1
		.amdhsa_fp16_overflow 0
		.amdhsa_workgroup_processor_mode 1
		.amdhsa_memory_ordered 1
		.amdhsa_forward_progress 0
		.amdhsa_shared_vgpr_count 0
		.amdhsa_exception_fp_ieee_invalid_op 0
		.amdhsa_exception_fp_denorm_src 0
		.amdhsa_exception_fp_ieee_div_zero 0
		.amdhsa_exception_fp_ieee_overflow 0
		.amdhsa_exception_fp_ieee_underflow 0
		.amdhsa_exception_fp_ieee_inexact 0
		.amdhsa_exception_int_div_zero 0
	.end_amdhsa_kernel
	.section	.text._ZN9rocsparseL19gebsrmvn_4xn_kernelILj128ELj1ELj32E21rocsparse_complex_numIfEEEvi20rocsparse_direction_NS_24const_host_device_scalarIT2_EEPKiS8_PKS5_SA_S6_PS5_21rocsparse_index_base_b,"axG",@progbits,_ZN9rocsparseL19gebsrmvn_4xn_kernelILj128ELj1ELj32E21rocsparse_complex_numIfEEEvi20rocsparse_direction_NS_24const_host_device_scalarIT2_EEPKiS8_PKS5_SA_S6_PS5_21rocsparse_index_base_b,comdat
.Lfunc_end77:
	.size	_ZN9rocsparseL19gebsrmvn_4xn_kernelILj128ELj1ELj32E21rocsparse_complex_numIfEEEvi20rocsparse_direction_NS_24const_host_device_scalarIT2_EEPKiS8_PKS5_SA_S6_PS5_21rocsparse_index_base_b, .Lfunc_end77-_ZN9rocsparseL19gebsrmvn_4xn_kernelILj128ELj1ELj32E21rocsparse_complex_numIfEEEvi20rocsparse_direction_NS_24const_host_device_scalarIT2_EEPKiS8_PKS5_SA_S6_PS5_21rocsparse_index_base_b
                                        ; -- End function
	.section	.AMDGPU.csdata,"",@progbits
; Kernel info:
; codeLenInByte = 2300
; NumSgprs: 18
; NumVgprs: 31
; ScratchSize: 0
; MemoryBound: 0
; FloatMode: 240
; IeeeMode: 1
; LDSByteSize: 0 bytes/workgroup (compile time only)
; SGPRBlocks: 2
; VGPRBlocks: 3
; NumSGPRsForWavesPerEU: 18
; NumVGPRsForWavesPerEU: 31
; Occupancy: 16
; WaveLimiterHint : 1
; COMPUTE_PGM_RSRC2:SCRATCH_EN: 0
; COMPUTE_PGM_RSRC2:USER_SGPR: 15
; COMPUTE_PGM_RSRC2:TRAP_HANDLER: 0
; COMPUTE_PGM_RSRC2:TGID_X_EN: 1
; COMPUTE_PGM_RSRC2:TGID_Y_EN: 0
; COMPUTE_PGM_RSRC2:TGID_Z_EN: 0
; COMPUTE_PGM_RSRC2:TIDIG_COMP_CNT: 0
	.section	.text._ZN9rocsparseL19gebsrmvn_4xn_kernelILj128ELj1ELj64E21rocsparse_complex_numIfEEEvi20rocsparse_direction_NS_24const_host_device_scalarIT2_EEPKiS8_PKS5_SA_S6_PS5_21rocsparse_index_base_b,"axG",@progbits,_ZN9rocsparseL19gebsrmvn_4xn_kernelILj128ELj1ELj64E21rocsparse_complex_numIfEEEvi20rocsparse_direction_NS_24const_host_device_scalarIT2_EEPKiS8_PKS5_SA_S6_PS5_21rocsparse_index_base_b,comdat
	.globl	_ZN9rocsparseL19gebsrmvn_4xn_kernelILj128ELj1ELj64E21rocsparse_complex_numIfEEEvi20rocsparse_direction_NS_24const_host_device_scalarIT2_EEPKiS8_PKS5_SA_S6_PS5_21rocsparse_index_base_b ; -- Begin function _ZN9rocsparseL19gebsrmvn_4xn_kernelILj128ELj1ELj64E21rocsparse_complex_numIfEEEvi20rocsparse_direction_NS_24const_host_device_scalarIT2_EEPKiS8_PKS5_SA_S6_PS5_21rocsparse_index_base_b
	.p2align	8
	.type	_ZN9rocsparseL19gebsrmvn_4xn_kernelILj128ELj1ELj64E21rocsparse_complex_numIfEEEvi20rocsparse_direction_NS_24const_host_device_scalarIT2_EEPKiS8_PKS5_SA_S6_PS5_21rocsparse_index_base_b,@function
_ZN9rocsparseL19gebsrmvn_4xn_kernelILj128ELj1ELj64E21rocsparse_complex_numIfEEEvi20rocsparse_direction_NS_24const_host_device_scalarIT2_EEPKiS8_PKS5_SA_S6_PS5_21rocsparse_index_base_b: ; @_ZN9rocsparseL19gebsrmvn_4xn_kernelILj128ELj1ELj64E21rocsparse_complex_numIfEEEvi20rocsparse_direction_NS_24const_host_device_scalarIT2_EEPKiS8_PKS5_SA_S6_PS5_21rocsparse_index_base_b
; %bb.0:
	s_clause 0x2
	s_load_b64 s[12:13], s[0:1], 0x40
	s_load_b64 s[4:5], s[0:1], 0x8
	;; [unrolled: 1-line block ×3, first 2 shown]
	s_waitcnt lgkmcnt(0)
	s_bitcmp1_b32 s13, 0
	v_mov_b32_e32 v7, s4
	s_cselect_b32 s6, -1, 0
	s_delay_alu instid0(SALU_CYCLE_1)
	s_and_b32 vcc_lo, exec_lo, s6
	s_xor_b32 s6, s6, -1
	s_cbranch_vccz .LBB78_15
; %bb.1:
	v_cndmask_b32_e64 v1, 0, 1, s6
	v_mov_b32_e32 v8, s5
	s_and_not1_b32 vcc_lo, exec_lo, s6
	s_cbranch_vccz .LBB78_16
.LBB78_2:
	s_delay_alu instid0(VALU_DEP_2)
	v_cmp_ne_u32_e32 vcc_lo, 1, v1
	v_mov_b32_e32 v9, s2
	s_cbranch_vccz .LBB78_17
.LBB78_3:
	v_cmp_ne_u32_e32 vcc_lo, 1, v1
	v_mov_b32_e32 v10, s3
	s_cbranch_vccnz .LBB78_5
.LBB78_4:
	v_dual_mov_b32 v1, s2 :: v_dual_mov_b32 v2, s3
	flat_load_b32 v10, v[1:2] offset:4
.LBB78_5:
	s_waitcnt vmcnt(0) lgkmcnt(0)
	v_cmp_eq_f32_e32 vcc_lo, 0, v7
	v_cmp_eq_f32_e64 s2, 0, v8
	s_delay_alu instid0(VALU_DEP_1)
	s_and_b32 s4, vcc_lo, s2
	s_mov_b32 s2, -1
	s_and_saveexec_b32 s3, s4
; %bb.6:
	v_cmp_neq_f32_e32 vcc_lo, 1.0, v9
	v_cmp_neq_f32_e64 s2, 0, v10
	s_delay_alu instid0(VALU_DEP_1) | instskip(NEXT) | instid1(SALU_CYCLE_1)
	s_or_b32 s2, vcc_lo, s2
	s_or_not1_b32 s2, s2, exec_lo
; %bb.7:
	s_or_b32 exec_lo, exec_lo, s3
	s_and_saveexec_b32 s3, s2
	s_cbranch_execz .LBB78_29
; %bb.8:
	s_load_b64 s[2:3], s[0:1], 0x0
	v_lshrrev_b32_e32 v1, 6, v0
	s_delay_alu instid0(VALU_DEP_1) | instskip(SKIP_1) | instid1(VALU_DEP_1)
	v_lshl_or_b32 v1, s15, 1, v1
	s_waitcnt lgkmcnt(0)
	v_cmp_gt_i32_e32 vcc_lo, s2, v1
	s_and_b32 exec_lo, exec_lo, vcc_lo
	s_cbranch_execz .LBB78_29
; %bb.9:
	s_load_b256 s[4:11], s[0:1], 0x10
	v_ashrrev_i32_e32 v2, 31, v1
	v_and_b32_e32 v0, 63, v0
	s_cmp_lg_u32 s3, 0
	s_delay_alu instid0(VALU_DEP_2) | instskip(SKIP_1) | instid1(VALU_DEP_1)
	v_lshlrev_b64 v[2:3], 2, v[1:2]
	s_waitcnt lgkmcnt(0)
	v_add_co_u32 v2, vcc_lo, s4, v2
	s_delay_alu instid0(VALU_DEP_2) | instskip(SKIP_4) | instid1(VALU_DEP_2)
	v_add_co_ci_u32_e32 v3, vcc_lo, s5, v3, vcc_lo
	global_load_b64 v[2:3], v[2:3], off
	s_waitcnt vmcnt(0)
	v_subrev_nc_u32_e32 v2, s12, v2
	v_subrev_nc_u32_e32 v19, s12, v3
	v_add_nc_u32_e32 v2, v2, v0
	s_delay_alu instid0(VALU_DEP_1)
	v_cmp_lt_i32_e64 s2, v2, v19
	s_cbranch_scc0 .LBB78_18
; %bb.10:
	v_dual_mov_b32 v11, 0 :: v_dual_mov_b32 v12, 0
	v_dual_mov_b32 v13, 0 :: v_dual_mov_b32 v14, 0
	;; [unrolled: 1-line block ×4, first 2 shown]
	s_mov_b32 s3, 0
	s_and_saveexec_b32 s4, s2
	s_cbranch_execz .LBB78_14
; %bb.11:
	v_dual_mov_b32 v4, 0 :: v_dual_lshlrev_b32 v3, 2, v2
	v_mov_b32_e32 v5, v2
	s_mov_b32 s5, 0
	s_delay_alu instid0(VALU_DEP_2)
	v_mov_b32_e32 v12, v4
	v_mov_b32_e32 v11, v4
	;; [unrolled: 1-line block ×8, first 2 shown]
.LBB78_12:                              ; =>This Inner Loop Header: Depth=1
	v_ashrrev_i32_e32 v6, 31, v5
	s_delay_alu instid0(VALU_DEP_1) | instskip(NEXT) | instid1(VALU_DEP_1)
	v_lshlrev_b64 v[20:21], 2, v[5:6]
	v_add_co_u32 v20, vcc_lo, s6, v20
	s_delay_alu instid0(VALU_DEP_2) | instskip(SKIP_2) | instid1(VALU_DEP_1)
	v_add_co_ci_u32_e32 v21, vcc_lo, s7, v21, vcc_lo
	global_load_b32 v6, v[20:21], off
	v_lshlrev_b64 v[20:21], 3, v[3:4]
	v_add_co_u32 v24, vcc_lo, s8, v20
	s_delay_alu instid0(VALU_DEP_2)
	v_add_co_ci_u32_e32 v25, vcc_lo, s9, v21, vcc_lo
	s_clause 0x1
	global_load_b128 v[20:23], v[24:25], off offset:16
	global_load_b128 v[24:27], v[24:25], off
	v_mov_b32_e32 v29, v4
	s_waitcnt vmcnt(2)
	v_subrev_nc_u32_e32 v28, s12, v6
	s_delay_alu instid0(VALU_DEP_1) | instskip(NEXT) | instid1(VALU_DEP_1)
	v_lshlrev_b64 v[28:29], 3, v[28:29]
	v_add_co_u32 v28, vcc_lo, s10, v28
	s_delay_alu instid0(VALU_DEP_2)
	v_add_co_ci_u32_e32 v29, vcc_lo, s11, v29, vcc_lo
	global_load_b64 v[28:29], v[28:29], off
	v_add_nc_u32_e32 v3, 0x100, v3
	s_waitcnt vmcnt(0)
	v_dual_fmac_f32 v12, v22, v28 :: v_dual_add_nc_u32 v5, 64, v5
	v_fmac_f32_e32 v16, v21, v28
	v_fmac_f32_e32 v11, v25, v28
	;; [unrolled: 1-line block ×6, first 2 shown]
	v_dual_fmac_f32 v14, v23, v28 :: v_dual_fmac_f32 v11, v24, v29
	v_fmac_f32_e32 v15, v20, v28
	v_cmp_ge_i32_e32 vcc_lo, v5, v19
	v_fma_f32 v17, -v27, v29, v17
	s_delay_alu instid0(VALU_DEP_4)
	v_fmac_f32_e32 v14, v22, v29
	v_fmac_f32_e32 v18, v26, v29
	v_fma_f32 v13, -v25, v29, v13
	v_fma_f32 v15, -v21, v29, v15
	;; [unrolled: 1-line block ×3, first 2 shown]
	s_or_b32 s5, vcc_lo, s5
	s_delay_alu instid0(SALU_CYCLE_1)
	s_and_not1_b32 exec_lo, exec_lo, s5
	s_cbranch_execnz .LBB78_12
; %bb.13:
	s_or_b32 exec_lo, exec_lo, s5
.LBB78_14:
	s_delay_alu instid0(SALU_CYCLE_1) | instskip(NEXT) | instid1(SALU_CYCLE_1)
	s_or_b32 exec_lo, exec_lo, s4
	s_and_not1_b32 vcc_lo, exec_lo, s3
	s_cbranch_vccz .LBB78_19
	s_branch .LBB78_24
.LBB78_15:
	v_dual_mov_b32 v1, s4 :: v_dual_mov_b32 v2, s5
	flat_load_b32 v7, v[1:2]
	v_cndmask_b32_e64 v1, 0, 1, s6
	v_mov_b32_e32 v8, s5
	s_and_not1_b32 vcc_lo, exec_lo, s6
	s_cbranch_vccnz .LBB78_2
.LBB78_16:
	v_dual_mov_b32 v2, s4 :: v_dual_mov_b32 v3, s5
	flat_load_b32 v8, v[2:3] offset:4
	v_cmp_ne_u32_e32 vcc_lo, 1, v1
	v_mov_b32_e32 v9, s2
	s_cbranch_vccnz .LBB78_3
.LBB78_17:
	v_dual_mov_b32 v2, s2 :: v_dual_mov_b32 v3, s3
	flat_load_b32 v9, v[2:3]
	v_cmp_ne_u32_e32 vcc_lo, 1, v1
	v_mov_b32_e32 v10, s3
	s_cbranch_vccz .LBB78_4
	s_branch .LBB78_5
.LBB78_18:
                                        ; implicit-def: $vgpr11
                                        ; implicit-def: $vgpr13
                                        ; implicit-def: $vgpr12
                                        ; implicit-def: $vgpr14
                                        ; implicit-def: $vgpr15
                                        ; implicit-def: $vgpr16
                                        ; implicit-def: $vgpr17
                                        ; implicit-def: $vgpr18
.LBB78_19:
	v_dual_mov_b32 v11, 0 :: v_dual_mov_b32 v12, 0
	v_dual_mov_b32 v13, 0 :: v_dual_mov_b32 v14, 0
	;; [unrolled: 1-line block ×4, first 2 shown]
	s_and_saveexec_b32 s3, s2
	s_cbranch_execz .LBB78_23
; %bb.20:
	v_dual_mov_b32 v5, 0 :: v_dual_lshlrev_b32 v4, 2, v2
	s_mov_b32 s2, 0
	s_delay_alu instid0(VALU_DEP_1)
	v_mov_b32_e32 v11, v5
	v_mov_b32_e32 v13, v5
	;; [unrolled: 1-line block ×8, first 2 shown]
.LBB78_21:                              ; =>This Inner Loop Header: Depth=1
	v_ashrrev_i32_e32 v3, 31, v2
	v_mov_b32_e32 v29, v5
	s_delay_alu instid0(VALU_DEP_2) | instskip(NEXT) | instid1(VALU_DEP_1)
	v_lshlrev_b64 v[20:21], 2, v[2:3]
	v_add_co_u32 v20, vcc_lo, s6, v20
	s_delay_alu instid0(VALU_DEP_2) | instskip(SKIP_3) | instid1(VALU_DEP_2)
	v_add_co_ci_u32_e32 v21, vcc_lo, s7, v21, vcc_lo
	global_load_b32 v3, v[20:21], off
	v_lshlrev_b64 v[20:21], 3, v[4:5]
	v_add_nc_u32_e32 v4, 0x100, v4
	v_add_co_u32 v24, vcc_lo, s8, v20
	s_delay_alu instid0(VALU_DEP_3)
	v_add_co_ci_u32_e32 v25, vcc_lo, s9, v21, vcc_lo
	s_clause 0x1
	global_load_b128 v[20:23], v[24:25], off offset:16
	global_load_b128 v[24:27], v[24:25], off
	s_waitcnt vmcnt(2)
	v_subrev_nc_u32_e32 v28, s12, v3
	s_delay_alu instid0(VALU_DEP_1) | instskip(NEXT) | instid1(VALU_DEP_1)
	v_lshlrev_b64 v[28:29], 3, v[28:29]
	v_add_co_u32 v28, vcc_lo, s10, v28
	s_delay_alu instid0(VALU_DEP_2)
	v_add_co_ci_u32_e32 v29, vcc_lo, s11, v29, vcc_lo
	global_load_b64 v[28:29], v[28:29], off
	s_waitcnt vmcnt(0)
	v_dual_fmac_f32 v13, v24, v28 :: v_dual_add_nc_u32 v2, 64, v2
	v_fmac_f32_e32 v18, v27, v28
	v_fmac_f32_e32 v11, v25, v28
	;; [unrolled: 1-line block ×7, first 2 shown]
	v_cmp_ge_i32_e32 vcc_lo, v2, v19
	v_fma_f32 v13, -v25, v29, v13
	v_fmac_f32_e32 v18, v26, v29
	v_fmac_f32_e32 v14, v22, v29
	;; [unrolled: 1-line block ×3, first 2 shown]
	v_fma_f32 v15, -v21, v29, v15
	v_fmac_f32_e32 v16, v20, v29
	v_fma_f32 v17, -v27, v29, v17
	v_fma_f32 v12, -v23, v29, v12
	s_or_b32 s2, vcc_lo, s2
	s_delay_alu instid0(SALU_CYCLE_1)
	s_and_not1_b32 exec_lo, exec_lo, s2
	s_cbranch_execnz .LBB78_21
; %bb.22:
	s_or_b32 exec_lo, exec_lo, s2
.LBB78_23:
	s_delay_alu instid0(SALU_CYCLE_1)
	s_or_b32 exec_lo, exec_lo, s3
.LBB78_24:
	v_mbcnt_lo_u32_b32 v2, -1, 0
	s_delay_alu instid0(VALU_DEP_1) | instskip(SKIP_1) | instid1(VALU_DEP_2)
	v_or_b32_e32 v3, 32, v2
	v_xor_b32_e32 v23, 16, v2
	v_cmp_gt_i32_e32 vcc_lo, 32, v3
	v_cndmask_b32_e32 v3, v2, v3, vcc_lo
	s_delay_alu instid0(VALU_DEP_3) | instskip(NEXT) | instid1(VALU_DEP_2)
	v_cmp_gt_i32_e32 vcc_lo, 32, v23
	v_lshlrev_b32_e32 v3, 2, v3
	ds_bpermute_b32 v6, v3, v17
	s_waitcnt lgkmcnt(0)
	v_add_f32_e32 v6, v17, v6
	ds_bpermute_b32 v4, v3, v13
	ds_bpermute_b32 v22, v3, v12
	;; [unrolled: 1-line block ×7, first 2 shown]
	s_waitcnt lgkmcnt(6)
	v_dual_cndmask_b32 v23, v2, v23 :: v_dual_add_f32 v4, v13, v4
	s_waitcnt lgkmcnt(5)
	s_delay_alu instid0(VALU_DEP_1)
	v_dual_add_f32 v12, v12, v22 :: v_dual_lshlrev_b32 v23, 2, v23
	s_waitcnt lgkmcnt(0)
	v_add_f32_e32 v3, v14, v3
	ds_bpermute_b32 v14, v23, v4
	s_waitcnt lgkmcnt(0)
	v_add_f32_e32 v4, v4, v14
	ds_bpermute_b32 v17, v23, v6
	v_add_f32_e32 v13, v15, v20
	v_add_f32_e32 v15, v16, v21
	ds_bpermute_b32 v21, v23, v12
	v_add_f32_e32 v5, v11, v5
	ds_bpermute_b32 v20, v23, v15
	;; [unrolled: 2-line block ×3, first 2 shown]
	s_waitcnt lgkmcnt(3)
	v_add_f32_e32 v6, v6, v17
	ds_bpermute_b32 v19, v23, v13
	s_waitcnt lgkmcnt(3)
	v_add_f32_e32 v12, v12, v21
	ds_bpermute_b32 v22, v23, v3
	s_waitcnt lgkmcnt(3)
	v_add_f32_e32 v14, v15, v20
	ds_bpermute_b32 v18, v23, v11
	v_xor_b32_e32 v23, 8, v2
	s_delay_alu instid0(VALU_DEP_1) | instskip(SKIP_1) | instid1(VALU_DEP_1)
	v_cmp_gt_i32_e32 vcc_lo, 32, v23
	v_cndmask_b32_e32 v23, v2, v23, vcc_lo
	v_lshlrev_b32_e32 v23, 2, v23
	ds_bpermute_b32 v17, v23, v6
	s_waitcnt lgkmcnt(0)
	v_add_f32_e32 v6, v6, v17
	ds_bpermute_b32 v20, v23, v14
	ds_bpermute_b32 v15, v23, v4
	;; [unrolled: 1-line block ×3, first 2 shown]
	s_waitcnt lgkmcnt(2)
	v_dual_add_f32 v14, v14, v20 :: v_dual_add_f32 v11, v11, v18
	s_waitcnt lgkmcnt(1)
	v_dual_add_f32 v4, v4, v15 :: v_dual_add_f32 v5, v5, v16
	;; [unrolled: 2-line block ×3, first 2 shown]
	ds_bpermute_b32 v18, v23, v11
	ds_bpermute_b32 v16, v23, v5
	;; [unrolled: 1-line block ×3, first 2 shown]
	s_waitcnt lgkmcnt(2)
	v_add_f32_e32 v11, v11, v18
	v_add_f32_e32 v13, v13, v19
	ds_bpermute_b32 v19, v23, v13
	v_xor_b32_e32 v23, 4, v2
	s_delay_alu instid0(VALU_DEP_1) | instskip(SKIP_1) | instid1(VALU_DEP_1)
	v_cmp_gt_i32_e32 vcc_lo, 32, v23
	v_cndmask_b32_e32 v23, v2, v23, vcc_lo
	v_lshlrev_b32_e32 v23, 2, v23
	ds_bpermute_b32 v15, v23, v4
	ds_bpermute_b32 v18, v23, v11
	;; [unrolled: 1-line block ×5, first 2 shown]
	s_waitcnt lgkmcnt(4)
	v_dual_add_f32 v4, v4, v15 :: v_dual_add_f32 v5, v5, v16
	s_waitcnt lgkmcnt(2)
	v_dual_add_f32 v12, v12, v21 :: v_dual_add_f32 v3, v3, v22
	s_waitcnt lgkmcnt(1)
	v_add_f32_e32 v15, v6, v17
	ds_bpermute_b32 v16, v23, v5
	ds_bpermute_b32 v22, v23, v3
	s_waitcnt lgkmcnt(1)
	v_dual_add_f32 v5, v5, v16 :: v_dual_add_f32 v16, v11, v18
	v_dual_add_f32 v13, v13, v19 :: v_dual_add_f32 v18, v14, v20
	ds_bpermute_b32 v19, v23, v13
	v_xor_b32_e32 v23, 2, v2
	s_delay_alu instid0(VALU_DEP_1) | instskip(SKIP_1) | instid1(VALU_DEP_1)
	v_cmp_gt_i32_e32 vcc_lo, 32, v23
	v_cndmask_b32_e32 v23, v2, v23, vcc_lo
	v_lshlrev_b32_e32 v23, 2, v23
	s_waitcnt lgkmcnt(0)
	v_add_f32_e32 v17, v13, v19
	v_add_f32_e32 v19, v3, v22
	ds_bpermute_b32 v3, v23, v4
	ds_bpermute_b32 v6, v23, v5
	;; [unrolled: 1-line block ×8, first 2 shown]
	v_xor_b32_e32 v23, 1, v2
	s_delay_alu instid0(VALU_DEP_1) | instskip(SKIP_4) | instid1(VALU_DEP_3)
	v_cmp_gt_i32_e32 vcc_lo, 32, v23
	v_cndmask_b32_e32 v2, v2, v23, vcc_lo
	v_cmp_eq_u32_e32 vcc_lo, 63, v0
	s_waitcnt lgkmcnt(5)
	v_dual_add_f32 v6, v5, v6 :: v_dual_add_f32 v11, v15, v11
	v_dual_add_f32 v2, v4, v3 :: v_dual_lshlrev_b32 v23, 2, v2
	s_waitcnt lgkmcnt(3)
	v_dual_add_f32 v13, v16, v13 :: v_dual_add_f32 v14, v17, v14
	s_waitcnt lgkmcnt(2)
	v_add_f32_e32 v15, v18, v20
	s_waitcnt lgkmcnt(1)
	v_add_f32_e32 v3, v12, v21
	;; [unrolled: 2-line block ×3, first 2 shown]
	ds_bpermute_b32 v4, v23, v2
	ds_bpermute_b32 v12, v23, v6
	;; [unrolled: 1-line block ×8, first 2 shown]
	s_and_b32 exec_lo, exec_lo, vcc_lo
	s_cbranch_execz .LBB78_29
; %bb.25:
	s_load_b64 s[2:3], s[0:1], 0x38
	v_cmp_eq_f32_e32 vcc_lo, 0, v9
	v_cmp_eq_f32_e64 s0, 0, v10
	s_waitcnt lgkmcnt(0)
	v_add_f32_e32 v4, v2, v4
	v_dual_add_f32 v12, v6, v12 :: v_dual_add_f32 v5, v5, v17
	v_dual_add_f32 v0, v11, v18 :: v_dual_add_f32 v11, v13, v19
	v_add_f32_e32 v2, v14, v20
	v_add_f32_e32 v6, v15, v21
	;; [unrolled: 1-line block ×3, first 2 shown]
	s_and_b32 s0, vcc_lo, s0
	s_delay_alu instid0(SALU_CYCLE_1) | instskip(NEXT) | instid1(SALU_CYCLE_1)
	s_and_saveexec_b32 s1, s0
	s_xor_b32 s0, exec_lo, s1
	s_cbranch_execz .LBB78_27
; %bb.26:
	v_dual_mul_f32 v14, v12, v7 :: v_dual_lshlrev_b32 v17, 2, v1
	v_mul_f32_e64 v15, v11, -v8
	v_mul_f32_e64 v13, v12, -v8
	v_mul_f32_e32 v16, v11, v7
	s_delay_alu instid0(VALU_DEP_4) | instskip(SKIP_1) | instid1(VALU_DEP_4)
	v_ashrrev_i32_e32 v18, 31, v17
	v_mul_f32_e64 v9, v6, -v8
	v_dual_mul_f32 v10, v6, v7 :: v_dual_fmac_f32 v13, v7, v4
	v_mul_f32_e64 v11, v5, -v8
	s_delay_alu instid0(VALU_DEP_4) | instskip(SKIP_2) | instid1(VALU_DEP_4)
	v_lshlrev_b64 v[17:18], 3, v[17:18]
	v_dual_fmac_f32 v15, v7, v0 :: v_dual_mul_f32 v12, v5, v7
	v_dual_fmac_f32 v14, v8, v4 :: v_dual_fmac_f32 v9, v7, v2
	v_dual_fmac_f32 v16, v8, v0 :: v_dual_fmac_f32 v11, v7, v3
	s_delay_alu instid0(VALU_DEP_4)
	v_add_co_u32 v17, vcc_lo, s2, v17
	v_add_co_ci_u32_e32 v18, vcc_lo, s3, v18, vcc_lo
	v_fmac_f32_e32 v10, v8, v2
	v_fmac_f32_e32 v12, v8, v3
	s_clause 0x1
	global_store_b128 v[17:18], v[13:16], off
	global_store_b128 v[17:18], v[9:12], off offset:16
                                        ; implicit-def: $vgpr7
                                        ; implicit-def: $vgpr8
                                        ; implicit-def: $vgpr9
                                        ; implicit-def: $vgpr10
                                        ; implicit-def: $vgpr1
                                        ; implicit-def: $vgpr4
                                        ; implicit-def: $vgpr12
                                        ; implicit-def: $vgpr0
                                        ; implicit-def: $vgpr11
                                        ; implicit-def: $vgpr2
                                        ; implicit-def: $vgpr6
                                        ; implicit-def: $vgpr3
                                        ; implicit-def: $vgpr5
.LBB78_27:
	s_and_not1_saveexec_b32 s0, s0
	s_cbranch_execz .LBB78_29
; %bb.28:
	v_dual_mul_f32 v22, v12, v7 :: v_dual_lshlrev_b32 v13, 2, v1
	v_mul_f32_e64 v1, v12, -v8
	v_mul_f32_e64 v12, v11, -v8
	v_mul_f32_e32 v26, v6, v7
	s_delay_alu instid0(VALU_DEP_4) | instskip(NEXT) | instid1(VALU_DEP_4)
	v_ashrrev_i32_e32 v14, 31, v13
	v_fmac_f32_e32 v1, v7, v4
	s_delay_alu instid0(VALU_DEP_4) | instskip(NEXT) | instid1(VALU_DEP_4)
	v_fmac_f32_e32 v12, v7, v0
	v_fmac_f32_e32 v26, v8, v2
	s_delay_alu instid0(VALU_DEP_4) | instskip(NEXT) | instid1(VALU_DEP_1)
	v_lshlrev_b64 v[13:14], 3, v[13:14]
	v_add_co_u32 v29, vcc_lo, s2, v13
	s_delay_alu instid0(VALU_DEP_2)
	v_add_co_ci_u32_e32 v30, vcc_lo, s3, v14, vcc_lo
	s_clause 0x1
	global_load_b128 v[13:16], v[29:30], off
	global_load_b128 v[17:20], v[29:30], off offset:16
	v_mul_f32_e32 v24, v11, v7
	v_mul_f32_e64 v11, v6, -v8
	v_mul_f32_e64 v6, v5, -v8
	s_delay_alu instid0(VALU_DEP_2) | instskip(SKIP_1) | instid1(VALU_DEP_3)
	v_dual_mul_f32 v28, v5, v7 :: v_dual_fmac_f32 v11, v7, v2
	v_fmac_f32_e32 v22, v8, v4
	v_fmac_f32_e32 v6, v7, v3
	s_waitcnt vmcnt(1)
	s_delay_alu instid0(VALU_DEP_3)
	v_dual_fmac_f32 v28, v8, v3 :: v_dual_fmac_f32 v1, v9, v13
	s_waitcnt vmcnt(0)
	v_dual_fmac_f32 v11, v9, v17 :: v_dual_fmac_f32 v24, v8, v0
	v_fmac_f32_e32 v22, v10, v13
	v_fmac_f32_e32 v12, v9, v15
	;; [unrolled: 1-line block ×6, first 2 shown]
	v_fma_f32 v21, -v10, v14, v1
	v_fmac_f32_e32 v22, v9, v14
	v_fma_f32 v23, -v10, v16, v12
	v_fmac_f32_e32 v24, v9, v16
	;; [unrolled: 2-line block ×4, first 2 shown]
	s_clause 0x1
	global_store_b128 v[29:30], v[21:24], off
	global_store_b128 v[29:30], v[25:28], off offset:16
.LBB78_29:
	s_nop 0
	s_sendmsg sendmsg(MSG_DEALLOC_VGPRS)
	s_endpgm
	.section	.rodata,"a",@progbits
	.p2align	6, 0x0
	.amdhsa_kernel _ZN9rocsparseL19gebsrmvn_4xn_kernelILj128ELj1ELj64E21rocsparse_complex_numIfEEEvi20rocsparse_direction_NS_24const_host_device_scalarIT2_EEPKiS8_PKS5_SA_S6_PS5_21rocsparse_index_base_b
		.amdhsa_group_segment_fixed_size 0
		.amdhsa_private_segment_fixed_size 0
		.amdhsa_kernarg_size 72
		.amdhsa_user_sgpr_count 15
		.amdhsa_user_sgpr_dispatch_ptr 0
		.amdhsa_user_sgpr_queue_ptr 0
		.amdhsa_user_sgpr_kernarg_segment_ptr 1
		.amdhsa_user_sgpr_dispatch_id 0
		.amdhsa_user_sgpr_private_segment_size 0
		.amdhsa_wavefront_size32 1
		.amdhsa_uses_dynamic_stack 0
		.amdhsa_enable_private_segment 0
		.amdhsa_system_sgpr_workgroup_id_x 1
		.amdhsa_system_sgpr_workgroup_id_y 0
		.amdhsa_system_sgpr_workgroup_id_z 0
		.amdhsa_system_sgpr_workgroup_info 0
		.amdhsa_system_vgpr_workitem_id 0
		.amdhsa_next_free_vgpr 31
		.amdhsa_next_free_sgpr 16
		.amdhsa_reserve_vcc 1
		.amdhsa_float_round_mode_32 0
		.amdhsa_float_round_mode_16_64 0
		.amdhsa_float_denorm_mode_32 3
		.amdhsa_float_denorm_mode_16_64 3
		.amdhsa_dx10_clamp 1
		.amdhsa_ieee_mode 1
		.amdhsa_fp16_overflow 0
		.amdhsa_workgroup_processor_mode 1
		.amdhsa_memory_ordered 1
		.amdhsa_forward_progress 0
		.amdhsa_shared_vgpr_count 0
		.amdhsa_exception_fp_ieee_invalid_op 0
		.amdhsa_exception_fp_denorm_src 0
		.amdhsa_exception_fp_ieee_div_zero 0
		.amdhsa_exception_fp_ieee_overflow 0
		.amdhsa_exception_fp_ieee_underflow 0
		.amdhsa_exception_fp_ieee_inexact 0
		.amdhsa_exception_int_div_zero 0
	.end_amdhsa_kernel
	.section	.text._ZN9rocsparseL19gebsrmvn_4xn_kernelILj128ELj1ELj64E21rocsparse_complex_numIfEEEvi20rocsparse_direction_NS_24const_host_device_scalarIT2_EEPKiS8_PKS5_SA_S6_PS5_21rocsparse_index_base_b,"axG",@progbits,_ZN9rocsparseL19gebsrmvn_4xn_kernelILj128ELj1ELj64E21rocsparse_complex_numIfEEEvi20rocsparse_direction_NS_24const_host_device_scalarIT2_EEPKiS8_PKS5_SA_S6_PS5_21rocsparse_index_base_b,comdat
.Lfunc_end78:
	.size	_ZN9rocsparseL19gebsrmvn_4xn_kernelILj128ELj1ELj64E21rocsparse_complex_numIfEEEvi20rocsparse_direction_NS_24const_host_device_scalarIT2_EEPKiS8_PKS5_SA_S6_PS5_21rocsparse_index_base_b, .Lfunc_end78-_ZN9rocsparseL19gebsrmvn_4xn_kernelILj128ELj1ELj64E21rocsparse_complex_numIfEEEvi20rocsparse_direction_NS_24const_host_device_scalarIT2_EEPKiS8_PKS5_SA_S6_PS5_21rocsparse_index_base_b
                                        ; -- End function
	.section	.AMDGPU.csdata,"",@progbits
; Kernel info:
; codeLenInByte = 2416
; NumSgprs: 18
; NumVgprs: 31
; ScratchSize: 0
; MemoryBound: 0
; FloatMode: 240
; IeeeMode: 1
; LDSByteSize: 0 bytes/workgroup (compile time only)
; SGPRBlocks: 2
; VGPRBlocks: 3
; NumSGPRsForWavesPerEU: 18
; NumVGPRsForWavesPerEU: 31
; Occupancy: 16
; WaveLimiterHint : 1
; COMPUTE_PGM_RSRC2:SCRATCH_EN: 0
; COMPUTE_PGM_RSRC2:USER_SGPR: 15
; COMPUTE_PGM_RSRC2:TRAP_HANDLER: 0
; COMPUTE_PGM_RSRC2:TGID_X_EN: 1
; COMPUTE_PGM_RSRC2:TGID_Y_EN: 0
; COMPUTE_PGM_RSRC2:TGID_Z_EN: 0
; COMPUTE_PGM_RSRC2:TIDIG_COMP_CNT: 0
	.section	.text._ZN9rocsparseL19gebsrmvn_4xn_kernelILj128ELj2ELj4E21rocsparse_complex_numIfEEEvi20rocsparse_direction_NS_24const_host_device_scalarIT2_EEPKiS8_PKS5_SA_S6_PS5_21rocsparse_index_base_b,"axG",@progbits,_ZN9rocsparseL19gebsrmvn_4xn_kernelILj128ELj2ELj4E21rocsparse_complex_numIfEEEvi20rocsparse_direction_NS_24const_host_device_scalarIT2_EEPKiS8_PKS5_SA_S6_PS5_21rocsparse_index_base_b,comdat
	.globl	_ZN9rocsparseL19gebsrmvn_4xn_kernelILj128ELj2ELj4E21rocsparse_complex_numIfEEEvi20rocsparse_direction_NS_24const_host_device_scalarIT2_EEPKiS8_PKS5_SA_S6_PS5_21rocsparse_index_base_b ; -- Begin function _ZN9rocsparseL19gebsrmvn_4xn_kernelILj128ELj2ELj4E21rocsparse_complex_numIfEEEvi20rocsparse_direction_NS_24const_host_device_scalarIT2_EEPKiS8_PKS5_SA_S6_PS5_21rocsparse_index_base_b
	.p2align	8
	.type	_ZN9rocsparseL19gebsrmvn_4xn_kernelILj128ELj2ELj4E21rocsparse_complex_numIfEEEvi20rocsparse_direction_NS_24const_host_device_scalarIT2_EEPKiS8_PKS5_SA_S6_PS5_21rocsparse_index_base_b,@function
_ZN9rocsparseL19gebsrmvn_4xn_kernelILj128ELj2ELj4E21rocsparse_complex_numIfEEEvi20rocsparse_direction_NS_24const_host_device_scalarIT2_EEPKiS8_PKS5_SA_S6_PS5_21rocsparse_index_base_b: ; @_ZN9rocsparseL19gebsrmvn_4xn_kernelILj128ELj2ELj4E21rocsparse_complex_numIfEEEvi20rocsparse_direction_NS_24const_host_device_scalarIT2_EEPKiS8_PKS5_SA_S6_PS5_21rocsparse_index_base_b
; %bb.0:
	s_clause 0x2
	s_load_b64 s[12:13], s[0:1], 0x40
	s_load_b64 s[4:5], s[0:1], 0x8
	;; [unrolled: 1-line block ×3, first 2 shown]
	s_waitcnt lgkmcnt(0)
	s_bitcmp1_b32 s13, 0
	v_mov_b32_e32 v7, s4
	s_cselect_b32 s6, -1, 0
	s_delay_alu instid0(SALU_CYCLE_1)
	s_and_b32 vcc_lo, exec_lo, s6
	s_xor_b32 s6, s6, -1
	s_cbranch_vccz .LBB79_15
; %bb.1:
	v_cndmask_b32_e64 v1, 0, 1, s6
	v_mov_b32_e32 v8, s5
	s_and_not1_b32 vcc_lo, exec_lo, s6
	s_cbranch_vccz .LBB79_16
.LBB79_2:
	s_delay_alu instid0(VALU_DEP_2)
	v_cmp_ne_u32_e32 vcc_lo, 1, v1
	v_mov_b32_e32 v9, s2
	s_cbranch_vccz .LBB79_17
.LBB79_3:
	v_cmp_ne_u32_e32 vcc_lo, 1, v1
	v_mov_b32_e32 v10, s3
	s_cbranch_vccnz .LBB79_5
.LBB79_4:
	v_dual_mov_b32 v1, s2 :: v_dual_mov_b32 v2, s3
	flat_load_b32 v10, v[1:2] offset:4
.LBB79_5:
	s_waitcnt vmcnt(0) lgkmcnt(0)
	v_cmp_eq_f32_e32 vcc_lo, 0, v7
	v_cmp_eq_f32_e64 s2, 0, v8
	s_delay_alu instid0(VALU_DEP_1)
	s_and_b32 s4, vcc_lo, s2
	s_mov_b32 s2, -1
	s_and_saveexec_b32 s3, s4
; %bb.6:
	v_cmp_neq_f32_e32 vcc_lo, 1.0, v9
	v_cmp_neq_f32_e64 s2, 0, v10
	s_delay_alu instid0(VALU_DEP_1) | instskip(NEXT) | instid1(SALU_CYCLE_1)
	s_or_b32 s2, vcc_lo, s2
	s_or_not1_b32 s2, s2, exec_lo
; %bb.7:
	s_or_b32 exec_lo, exec_lo, s3
	s_and_saveexec_b32 s3, s2
	s_cbranch_execz .LBB79_29
; %bb.8:
	s_load_b64 s[2:3], s[0:1], 0x0
	v_lshrrev_b32_e32 v1, 2, v0
	s_delay_alu instid0(VALU_DEP_1) | instskip(SKIP_1) | instid1(VALU_DEP_1)
	v_lshl_or_b32 v1, s15, 5, v1
	s_waitcnt lgkmcnt(0)
	v_cmp_gt_i32_e32 vcc_lo, s2, v1
	s_and_b32 exec_lo, exec_lo, vcc_lo
	s_cbranch_execz .LBB79_29
; %bb.9:
	s_load_b256 s[4:11], s[0:1], 0x10
	v_ashrrev_i32_e32 v2, 31, v1
	v_and_b32_e32 v0, 3, v0
	s_cmp_lg_u32 s3, 0
	s_delay_alu instid0(VALU_DEP_2) | instskip(SKIP_1) | instid1(VALU_DEP_1)
	v_lshlrev_b64 v[2:3], 2, v[1:2]
	s_waitcnt lgkmcnt(0)
	v_add_co_u32 v2, vcc_lo, s4, v2
	s_delay_alu instid0(VALU_DEP_2) | instskip(SKIP_4) | instid1(VALU_DEP_2)
	v_add_co_ci_u32_e32 v3, vcc_lo, s5, v3, vcc_lo
	global_load_b64 v[2:3], v[2:3], off
	s_waitcnt vmcnt(0)
	v_subrev_nc_u32_e32 v2, s12, v2
	v_subrev_nc_u32_e32 v17, s12, v3
	v_add_nc_u32_e32 v2, v2, v0
	s_delay_alu instid0(VALU_DEP_1)
	v_cmp_lt_i32_e64 s2, v2, v17
	s_cbranch_scc0 .LBB79_18
; %bb.10:
	v_dual_mov_b32 v11, 0 :: v_dual_mov_b32 v16, 0
	v_dual_mov_b32 v15, 0 :: v_dual_mov_b32 v12, 0
	;; [unrolled: 1-line block ×4, first 2 shown]
	s_mov_b32 s3, 0
	s_and_saveexec_b32 s4, s2
	s_cbranch_execz .LBB79_14
; %bb.11:
	v_dual_mov_b32 v4, 0 :: v_dual_lshlrev_b32 v3, 3, v2
	v_mov_b32_e32 v5, v2
	s_mov_b32 s5, 0
	s_delay_alu instid0(VALU_DEP_2)
	v_mov_b32_e32 v16, v4
	v_mov_b32_e32 v11, v4
	;; [unrolled: 1-line block ×8, first 2 shown]
.LBB79_12:                              ; =>This Inner Loop Header: Depth=1
	v_ashrrev_i32_e32 v6, 31, v5
	s_delay_alu instid0(VALU_DEP_1) | instskip(NEXT) | instid1(VALU_DEP_1)
	v_lshlrev_b64 v[20:21], 2, v[5:6]
	v_add_co_u32 v20, vcc_lo, s6, v20
	s_delay_alu instid0(VALU_DEP_2) | instskip(SKIP_2) | instid1(VALU_DEP_1)
	v_add_co_ci_u32_e32 v21, vcc_lo, s7, v21, vcc_lo
	global_load_b32 v6, v[20:21], off
	v_lshlrev_b64 v[20:21], 3, v[3:4]
	v_add_co_u32 v36, vcc_lo, s8, v20
	s_delay_alu instid0(VALU_DEP_2)
	v_add_co_ci_u32_e32 v37, vcc_lo, s9, v21, vcc_lo
	s_clause 0x1
	global_load_b128 v[20:23], v[36:37], off offset:16
	global_load_b128 v[24:27], v[36:37], off
	s_waitcnt vmcnt(2)
	v_subrev_nc_u32_e32 v6, s12, v6
	s_delay_alu instid0(VALU_DEP_1) | instskip(NEXT) | instid1(VALU_DEP_1)
	v_dual_mov_b32 v29, v4 :: v_dual_lshlrev_b32 v28, 1, v6
	v_lshlrev_b64 v[28:29], 3, v[28:29]
	s_delay_alu instid0(VALU_DEP_1) | instskip(NEXT) | instid1(VALU_DEP_2)
	v_add_co_u32 v28, vcc_lo, s10, v28
	v_add_co_ci_u32_e32 v29, vcc_lo, s11, v29, vcc_lo
	global_load_b128 v[28:31], v[28:29], off
	s_clause 0x1
	global_load_b128 v[32:35], v[36:37], off offset:32
	global_load_b128 v[36:39], v[36:37], off offset:48
	v_add_nc_u32_e32 v3, 32, v3
	s_waitcnt vmcnt(2)
	v_dual_fmac_f32 v14, v27, v28 :: v_dual_add_nc_u32 v5, 4, v5
	v_fmac_f32_e32 v16, v24, v28
	v_fmac_f32_e32 v11, v25, v28
	s_delay_alu instid0(VALU_DEP_3) | instskip(NEXT) | instid1(VALU_DEP_4)
	v_cmp_ge_i32_e32 vcc_lo, v5, v17
	v_fmac_f32_e32 v14, v26, v29
	v_fmac_f32_e32 v15, v22, v28
	s_delay_alu instid0(VALU_DEP_4) | instskip(SKIP_3) | instid1(VALU_DEP_4)
	v_dual_fmac_f32 v12, v23, v28 :: v_dual_fmac_f32 v11, v24, v29
	v_fmac_f32_e32 v18, v20, v28
	v_fmac_f32_e32 v13, v21, v28
	v_fma_f32 v6, -v25, v29, v16
	v_fmac_f32_e32 v12, v22, v29
	v_fmac_f32_e32 v19, v26, v28
	s_waitcnt vmcnt(1)
	v_fmac_f32_e32 v11, v33, v30
	v_fma_f32 v18, -v21, v29, v18
	v_fmac_f32_e32 v6, v32, v30
	s_waitcnt vmcnt(0)
	v_dual_fmac_f32 v13, v20, v29 :: v_dual_fmac_f32 v12, v39, v30
	v_fma_f32 v19, -v27, v29, v19
	v_fmac_f32_e32 v14, v35, v30
	v_fma_f32 v15, -v23, v29, v15
	v_fmac_f32_e32 v18, v36, v30
	v_fmac_f32_e32 v13, v37, v30
	;; [unrolled: 1-line block ×5, first 2 shown]
	v_fma_f32 v16, -v33, v31, v6
	v_fmac_f32_e32 v11, v32, v31
	v_fma_f32 v19, -v35, v31, v19
	v_fma_f32 v18, -v37, v31, v18
	v_fmac_f32_e32 v13, v36, v31
	v_fma_f32 v15, -v39, v31, v15
	v_fmac_f32_e32 v12, v38, v31
	s_or_b32 s5, vcc_lo, s5
	s_delay_alu instid0(SALU_CYCLE_1)
	s_and_not1_b32 exec_lo, exec_lo, s5
	s_cbranch_execnz .LBB79_12
; %bb.13:
	s_or_b32 exec_lo, exec_lo, s5
.LBB79_14:
	s_delay_alu instid0(SALU_CYCLE_1) | instskip(NEXT) | instid1(SALU_CYCLE_1)
	s_or_b32 exec_lo, exec_lo, s4
	s_and_not1_b32 vcc_lo, exec_lo, s3
	s_cbranch_vccz .LBB79_19
	s_branch .LBB79_24
.LBB79_15:
	v_dual_mov_b32 v1, s4 :: v_dual_mov_b32 v2, s5
	flat_load_b32 v7, v[1:2]
	v_cndmask_b32_e64 v1, 0, 1, s6
	v_mov_b32_e32 v8, s5
	s_and_not1_b32 vcc_lo, exec_lo, s6
	s_cbranch_vccnz .LBB79_2
.LBB79_16:
	v_dual_mov_b32 v2, s4 :: v_dual_mov_b32 v3, s5
	flat_load_b32 v8, v[2:3] offset:4
	v_cmp_ne_u32_e32 vcc_lo, 1, v1
	v_mov_b32_e32 v9, s2
	s_cbranch_vccnz .LBB79_3
.LBB79_17:
	v_dual_mov_b32 v2, s2 :: v_dual_mov_b32 v3, s3
	flat_load_b32 v9, v[2:3]
	v_cmp_ne_u32_e32 vcc_lo, 1, v1
	v_mov_b32_e32 v10, s3
	s_cbranch_vccz .LBB79_4
	s_branch .LBB79_5
.LBB79_18:
                                        ; implicit-def: $vgpr11
                                        ; implicit-def: $vgpr16
                                        ; implicit-def: $vgpr15
                                        ; implicit-def: $vgpr12
                                        ; implicit-def: $vgpr18
                                        ; implicit-def: $vgpr13
                                        ; implicit-def: $vgpr19
                                        ; implicit-def: $vgpr14
.LBB79_19:
	v_dual_mov_b32 v11, 0 :: v_dual_mov_b32 v16, 0
	v_dual_mov_b32 v15, 0 :: v_dual_mov_b32 v12, 0
	;; [unrolled: 1-line block ×4, first 2 shown]
	s_and_saveexec_b32 s3, s2
	s_cbranch_execz .LBB79_23
; %bb.20:
	v_dual_mov_b32 v5, 0 :: v_dual_lshlrev_b32 v4, 3, v2
	s_mov_b32 s2, 0
	s_delay_alu instid0(VALU_DEP_1)
	v_mov_b32_e32 v11, v5
	v_mov_b32_e32 v16, v5
	v_mov_b32_e32 v15, v5
	v_mov_b32_e32 v12, v5
	v_mov_b32_e32 v18, v5
	v_mov_b32_e32 v13, v5
	v_mov_b32_e32 v19, v5
	v_mov_b32_e32 v14, v5
.LBB79_21:                              ; =>This Inner Loop Header: Depth=1
	v_ashrrev_i32_e32 v3, 31, v2
	s_delay_alu instid0(VALU_DEP_1) | instskip(NEXT) | instid1(VALU_DEP_1)
	v_lshlrev_b64 v[20:21], 2, v[2:3]
	v_add_co_u32 v20, vcc_lo, s6, v20
	s_delay_alu instid0(VALU_DEP_2) | instskip(SKIP_2) | instid1(VALU_DEP_1)
	v_add_co_ci_u32_e32 v21, vcc_lo, s7, v21, vcc_lo
	global_load_b32 v3, v[20:21], off
	v_lshlrev_b64 v[20:21], 3, v[4:5]
	v_add_co_u32 v32, vcc_lo, s8, v20
	s_delay_alu instid0(VALU_DEP_2)
	v_add_co_ci_u32_e32 v33, vcc_lo, s9, v21, vcc_lo
	s_clause 0x3
	global_load_b128 v[20:23], v[32:33], off offset:48
	global_load_b128 v[24:27], v[32:33], off offset:32
	;; [unrolled: 1-line block ×3, first 2 shown]
	global_load_b128 v[32:35], v[32:33], off
	s_waitcnt vmcnt(4)
	v_subrev_nc_u32_e32 v3, s12, v3
	s_delay_alu instid0(VALU_DEP_1) | instskip(NEXT) | instid1(VALU_DEP_1)
	v_dual_mov_b32 v37, v5 :: v_dual_lshlrev_b32 v36, 1, v3
	v_lshlrev_b64 v[36:37], 3, v[36:37]
	s_delay_alu instid0(VALU_DEP_1) | instskip(NEXT) | instid1(VALU_DEP_2)
	v_add_co_u32 v36, vcc_lo, s10, v36
	v_add_co_ci_u32_e32 v37, vcc_lo, s11, v37, vcc_lo
	global_load_b128 v[36:39], v[36:37], off
	s_waitcnt vmcnt(0)
	v_dual_fmac_f32 v11, v33, v36 :: v_dual_add_nc_u32 v2, 4, v2
	v_fmac_f32_e32 v13, v25, v36
	v_fmac_f32_e32 v14, v29, v36
	v_add_nc_u32_e32 v4, 32, v4
	v_fmac_f32_e32 v16, v32, v36
	v_fmac_f32_e32 v19, v28, v36
	;; [unrolled: 1-line block ×4, first 2 shown]
	v_dual_fmac_f32 v13, v24, v37 :: v_dual_fmac_f32 v12, v21, v36
	v_fmac_f32_e32 v14, v28, v37
	v_fmac_f32_e32 v15, v20, v36
	v_fma_f32 v3, -v33, v37, v16
	v_fma_f32 v6, -v29, v37, v19
	v_fmac_f32_e32 v11, v35, v38
	v_fmac_f32_e32 v14, v31, v38
	v_fma_f32 v18, -v25, v37, v18
	v_fma_f32 v15, -v21, v37, v15
	v_dual_fmac_f32 v13, v27, v38 :: v_dual_fmac_f32 v12, v20, v37
	v_fmac_f32_e32 v3, v34, v38
	v_fmac_f32_e32 v6, v30, v38
	s_delay_alu instid0(VALU_DEP_4)
	v_fmac_f32_e32 v15, v22, v38
	v_fmac_f32_e32 v18, v26, v38
	v_dual_fmac_f32 v12, v23, v38 :: v_dual_fmac_f32 v11, v34, v39
	v_cmp_ge_i32_e32 vcc_lo, v2, v17
	v_fma_f32 v16, -v35, v39, v3
	v_fma_f32 v19, -v31, v39, v6
	v_fmac_f32_e32 v14, v30, v39
	v_fma_f32 v18, -v27, v39, v18
	v_fmac_f32_e32 v13, v26, v39
	;; [unrolled: 2-line block ×3, first 2 shown]
	s_or_b32 s2, vcc_lo, s2
	s_delay_alu instid0(SALU_CYCLE_1)
	s_and_not1_b32 exec_lo, exec_lo, s2
	s_cbranch_execnz .LBB79_21
; %bb.22:
	s_or_b32 exec_lo, exec_lo, s2
.LBB79_23:
	s_delay_alu instid0(SALU_CYCLE_1)
	s_or_b32 exec_lo, exec_lo, s3
.LBB79_24:
	v_mbcnt_lo_u32_b32 v2, -1, 0
	s_delay_alu instid0(VALU_DEP_1) | instskip(NEXT) | instid1(VALU_DEP_1)
	v_xor_b32_e32 v3, 2, v2
	v_cmp_gt_i32_e32 vcc_lo, 32, v3
	v_cndmask_b32_e32 v3, v2, v3, vcc_lo
	s_delay_alu instid0(VALU_DEP_1)
	v_lshlrev_b32_e32 v3, 2, v3
	ds_bpermute_b32 v5, v3, v11
	s_waitcnt lgkmcnt(0)
	v_add_f32_e32 v6, v11, v5
	ds_bpermute_b32 v4, v3, v16
	ds_bpermute_b32 v17, v3, v19
	;; [unrolled: 1-line block ×7, first 2 shown]
	v_xor_b32_e32 v3, 1, v2
	s_delay_alu instid0(VALU_DEP_1)
	v_cmp_gt_i32_e32 vcc_lo, 32, v3
	v_cndmask_b32_e32 v2, v2, v3, vcc_lo
	v_cmp_eq_u32_e32 vcc_lo, 3, v0
	s_waitcnt lgkmcnt(5)
	v_add_f32_e32 v11, v19, v17
	s_waitcnt lgkmcnt(4)
	v_dual_add_f32 v14, v14, v20 :: v_dual_lshlrev_b32 v25, 2, v2
	v_add_f32_e32 v2, v16, v4
	s_waitcnt lgkmcnt(2)
	v_dual_add_f32 v16, v18, v21 :: v_dual_add_f32 v13, v13, v22
	s_waitcnt lgkmcnt(1)
	v_add_f32_e32 v3, v15, v23
	s_waitcnt lgkmcnt(0)
	v_add_f32_e32 v5, v12, v24
	ds_bpermute_b32 v4, v25, v2
	ds_bpermute_b32 v12, v25, v6
	;; [unrolled: 1-line block ×8, first 2 shown]
	s_and_b32 exec_lo, exec_lo, vcc_lo
	s_cbranch_execz .LBB79_29
; %bb.25:
	s_load_b64 s[2:3], s[0:1], 0x38
	v_cmp_eq_f32_e32 vcc_lo, 0, v9
	v_cmp_eq_f32_e64 s0, 0, v10
	s_waitcnt lgkmcnt(0)
	v_dual_add_f32 v4, v2, v4 :: v_dual_add_f32 v3, v3, v15
	v_dual_add_f32 v12, v6, v12 :: v_dual_add_f32 v5, v5, v17
	v_dual_add_f32 v0, v11, v18 :: v_dual_add_f32 v11, v14, v19
	v_add_f32_e32 v2, v16, v20
	v_add_f32_e32 v6, v13, v21
	s_and_b32 s0, vcc_lo, s0
	s_delay_alu instid0(SALU_CYCLE_1) | instskip(NEXT) | instid1(SALU_CYCLE_1)
	s_and_saveexec_b32 s1, s0
	s_xor_b32 s0, exec_lo, s1
	s_cbranch_execz .LBB79_27
; %bb.26:
	v_dual_mul_f32 v14, v12, v7 :: v_dual_lshlrev_b32 v17, 2, v1
	v_mul_f32_e64 v15, v11, -v8
	v_mul_f32_e64 v13, v12, -v8
	v_mul_f32_e32 v16, v11, v7
	s_delay_alu instid0(VALU_DEP_4) | instskip(SKIP_1) | instid1(VALU_DEP_4)
	v_ashrrev_i32_e32 v18, 31, v17
	v_mul_f32_e64 v9, v6, -v8
	v_dual_mul_f32 v10, v6, v7 :: v_dual_fmac_f32 v13, v7, v4
	v_mul_f32_e64 v11, v5, -v8
	s_delay_alu instid0(VALU_DEP_4) | instskip(SKIP_2) | instid1(VALU_DEP_4)
	v_lshlrev_b64 v[17:18], 3, v[17:18]
	v_dual_fmac_f32 v15, v7, v0 :: v_dual_mul_f32 v12, v5, v7
	v_dual_fmac_f32 v14, v8, v4 :: v_dual_fmac_f32 v9, v7, v2
	v_dual_fmac_f32 v16, v8, v0 :: v_dual_fmac_f32 v11, v7, v3
	s_delay_alu instid0(VALU_DEP_4)
	v_add_co_u32 v17, vcc_lo, s2, v17
	v_add_co_ci_u32_e32 v18, vcc_lo, s3, v18, vcc_lo
	v_fmac_f32_e32 v10, v8, v2
	v_fmac_f32_e32 v12, v8, v3
	s_clause 0x1
	global_store_b128 v[17:18], v[13:16], off
	global_store_b128 v[17:18], v[9:12], off offset:16
                                        ; implicit-def: $vgpr7
                                        ; implicit-def: $vgpr8
                                        ; implicit-def: $vgpr9
                                        ; implicit-def: $vgpr10
                                        ; implicit-def: $vgpr1
                                        ; implicit-def: $vgpr4
                                        ; implicit-def: $vgpr12
                                        ; implicit-def: $vgpr0
                                        ; implicit-def: $vgpr11
                                        ; implicit-def: $vgpr2
                                        ; implicit-def: $vgpr6
                                        ; implicit-def: $vgpr3
                                        ; implicit-def: $vgpr5
.LBB79_27:
	s_and_not1_saveexec_b32 s0, s0
	s_cbranch_execz .LBB79_29
; %bb.28:
	v_dual_mul_f32 v22, v12, v7 :: v_dual_lshlrev_b32 v13, 2, v1
	v_mul_f32_e64 v1, v12, -v8
	v_mul_f32_e64 v12, v11, -v8
	v_mul_f32_e32 v26, v6, v7
	s_delay_alu instid0(VALU_DEP_4) | instskip(NEXT) | instid1(VALU_DEP_4)
	v_ashrrev_i32_e32 v14, 31, v13
	v_fmac_f32_e32 v1, v7, v4
	s_delay_alu instid0(VALU_DEP_4) | instskip(NEXT) | instid1(VALU_DEP_4)
	v_fmac_f32_e32 v12, v7, v0
	v_fmac_f32_e32 v26, v8, v2
	s_delay_alu instid0(VALU_DEP_4) | instskip(NEXT) | instid1(VALU_DEP_1)
	v_lshlrev_b64 v[13:14], 3, v[13:14]
	v_add_co_u32 v29, vcc_lo, s2, v13
	s_delay_alu instid0(VALU_DEP_2)
	v_add_co_ci_u32_e32 v30, vcc_lo, s3, v14, vcc_lo
	s_clause 0x1
	global_load_b128 v[13:16], v[29:30], off
	global_load_b128 v[17:20], v[29:30], off offset:16
	v_mul_f32_e32 v24, v11, v7
	v_mul_f32_e64 v11, v6, -v8
	v_mul_f32_e64 v6, v5, -v8
	s_delay_alu instid0(VALU_DEP_2) | instskip(SKIP_1) | instid1(VALU_DEP_3)
	v_dual_mul_f32 v28, v5, v7 :: v_dual_fmac_f32 v11, v7, v2
	v_fmac_f32_e32 v22, v8, v4
	v_fmac_f32_e32 v6, v7, v3
	s_waitcnt vmcnt(1)
	s_delay_alu instid0(VALU_DEP_3)
	v_dual_fmac_f32 v28, v8, v3 :: v_dual_fmac_f32 v1, v9, v13
	s_waitcnt vmcnt(0)
	v_dual_fmac_f32 v11, v9, v17 :: v_dual_fmac_f32 v24, v8, v0
	v_fmac_f32_e32 v22, v10, v13
	v_fmac_f32_e32 v12, v9, v15
	;; [unrolled: 1-line block ×6, first 2 shown]
	v_fma_f32 v21, -v10, v14, v1
	v_fmac_f32_e32 v22, v9, v14
	v_fma_f32 v23, -v10, v16, v12
	v_fmac_f32_e32 v24, v9, v16
	;; [unrolled: 2-line block ×4, first 2 shown]
	s_clause 0x1
	global_store_b128 v[29:30], v[21:24], off
	global_store_b128 v[29:30], v[25:28], off offset:16
.LBB79_29:
	s_nop 0
	s_sendmsg sendmsg(MSG_DEALLOC_VGPRS)
	s_endpgm
	.section	.rodata,"a",@progbits
	.p2align	6, 0x0
	.amdhsa_kernel _ZN9rocsparseL19gebsrmvn_4xn_kernelILj128ELj2ELj4E21rocsparse_complex_numIfEEEvi20rocsparse_direction_NS_24const_host_device_scalarIT2_EEPKiS8_PKS5_SA_S6_PS5_21rocsparse_index_base_b
		.amdhsa_group_segment_fixed_size 0
		.amdhsa_private_segment_fixed_size 0
		.amdhsa_kernarg_size 72
		.amdhsa_user_sgpr_count 15
		.amdhsa_user_sgpr_dispatch_ptr 0
		.amdhsa_user_sgpr_queue_ptr 0
		.amdhsa_user_sgpr_kernarg_segment_ptr 1
		.amdhsa_user_sgpr_dispatch_id 0
		.amdhsa_user_sgpr_private_segment_size 0
		.amdhsa_wavefront_size32 1
		.amdhsa_uses_dynamic_stack 0
		.amdhsa_enable_private_segment 0
		.amdhsa_system_sgpr_workgroup_id_x 1
		.amdhsa_system_sgpr_workgroup_id_y 0
		.amdhsa_system_sgpr_workgroup_id_z 0
		.amdhsa_system_sgpr_workgroup_info 0
		.amdhsa_system_vgpr_workitem_id 0
		.amdhsa_next_free_vgpr 40
		.amdhsa_next_free_sgpr 16
		.amdhsa_reserve_vcc 1
		.amdhsa_float_round_mode_32 0
		.amdhsa_float_round_mode_16_64 0
		.amdhsa_float_denorm_mode_32 3
		.amdhsa_float_denorm_mode_16_64 3
		.amdhsa_dx10_clamp 1
		.amdhsa_ieee_mode 1
		.amdhsa_fp16_overflow 0
		.amdhsa_workgroup_processor_mode 1
		.amdhsa_memory_ordered 1
		.amdhsa_forward_progress 0
		.amdhsa_shared_vgpr_count 0
		.amdhsa_exception_fp_ieee_invalid_op 0
		.amdhsa_exception_fp_denorm_src 0
		.amdhsa_exception_fp_ieee_div_zero 0
		.amdhsa_exception_fp_ieee_overflow 0
		.amdhsa_exception_fp_ieee_underflow 0
		.amdhsa_exception_fp_ieee_inexact 0
		.amdhsa_exception_int_div_zero 0
	.end_amdhsa_kernel
	.section	.text._ZN9rocsparseL19gebsrmvn_4xn_kernelILj128ELj2ELj4E21rocsparse_complex_numIfEEEvi20rocsparse_direction_NS_24const_host_device_scalarIT2_EEPKiS8_PKS5_SA_S6_PS5_21rocsparse_index_base_b,"axG",@progbits,_ZN9rocsparseL19gebsrmvn_4xn_kernelILj128ELj2ELj4E21rocsparse_complex_numIfEEEvi20rocsparse_direction_NS_24const_host_device_scalarIT2_EEPKiS8_PKS5_SA_S6_PS5_21rocsparse_index_base_b,comdat
.Lfunc_end79:
	.size	_ZN9rocsparseL19gebsrmvn_4xn_kernelILj128ELj2ELj4E21rocsparse_complex_numIfEEEvi20rocsparse_direction_NS_24const_host_device_scalarIT2_EEPKiS8_PKS5_SA_S6_PS5_21rocsparse_index_base_b, .Lfunc_end79-_ZN9rocsparseL19gebsrmvn_4xn_kernelILj128ELj2ELj4E21rocsparse_complex_numIfEEEvi20rocsparse_direction_NS_24const_host_device_scalarIT2_EEPKiS8_PKS5_SA_S6_PS5_21rocsparse_index_base_b
                                        ; -- End function
	.section	.AMDGPU.csdata,"",@progbits
; Kernel info:
; codeLenInByte = 2096
; NumSgprs: 18
; NumVgprs: 40
; ScratchSize: 0
; MemoryBound: 0
; FloatMode: 240
; IeeeMode: 1
; LDSByteSize: 0 bytes/workgroup (compile time only)
; SGPRBlocks: 2
; VGPRBlocks: 4
; NumSGPRsForWavesPerEU: 18
; NumVGPRsForWavesPerEU: 40
; Occupancy: 16
; WaveLimiterHint : 1
; COMPUTE_PGM_RSRC2:SCRATCH_EN: 0
; COMPUTE_PGM_RSRC2:USER_SGPR: 15
; COMPUTE_PGM_RSRC2:TRAP_HANDLER: 0
; COMPUTE_PGM_RSRC2:TGID_X_EN: 1
; COMPUTE_PGM_RSRC2:TGID_Y_EN: 0
; COMPUTE_PGM_RSRC2:TGID_Z_EN: 0
; COMPUTE_PGM_RSRC2:TIDIG_COMP_CNT: 0
	.section	.text._ZN9rocsparseL19gebsrmvn_4xn_kernelILj128ELj2ELj8E21rocsparse_complex_numIfEEEvi20rocsparse_direction_NS_24const_host_device_scalarIT2_EEPKiS8_PKS5_SA_S6_PS5_21rocsparse_index_base_b,"axG",@progbits,_ZN9rocsparseL19gebsrmvn_4xn_kernelILj128ELj2ELj8E21rocsparse_complex_numIfEEEvi20rocsparse_direction_NS_24const_host_device_scalarIT2_EEPKiS8_PKS5_SA_S6_PS5_21rocsparse_index_base_b,comdat
	.globl	_ZN9rocsparseL19gebsrmvn_4xn_kernelILj128ELj2ELj8E21rocsparse_complex_numIfEEEvi20rocsparse_direction_NS_24const_host_device_scalarIT2_EEPKiS8_PKS5_SA_S6_PS5_21rocsparse_index_base_b ; -- Begin function _ZN9rocsparseL19gebsrmvn_4xn_kernelILj128ELj2ELj8E21rocsparse_complex_numIfEEEvi20rocsparse_direction_NS_24const_host_device_scalarIT2_EEPKiS8_PKS5_SA_S6_PS5_21rocsparse_index_base_b
	.p2align	8
	.type	_ZN9rocsparseL19gebsrmvn_4xn_kernelILj128ELj2ELj8E21rocsparse_complex_numIfEEEvi20rocsparse_direction_NS_24const_host_device_scalarIT2_EEPKiS8_PKS5_SA_S6_PS5_21rocsparse_index_base_b,@function
_ZN9rocsparseL19gebsrmvn_4xn_kernelILj128ELj2ELj8E21rocsparse_complex_numIfEEEvi20rocsparse_direction_NS_24const_host_device_scalarIT2_EEPKiS8_PKS5_SA_S6_PS5_21rocsparse_index_base_b: ; @_ZN9rocsparseL19gebsrmvn_4xn_kernelILj128ELj2ELj8E21rocsparse_complex_numIfEEEvi20rocsparse_direction_NS_24const_host_device_scalarIT2_EEPKiS8_PKS5_SA_S6_PS5_21rocsparse_index_base_b
; %bb.0:
	s_clause 0x2
	s_load_b64 s[12:13], s[0:1], 0x40
	s_load_b64 s[4:5], s[0:1], 0x8
	;; [unrolled: 1-line block ×3, first 2 shown]
	s_waitcnt lgkmcnt(0)
	s_bitcmp1_b32 s13, 0
	v_mov_b32_e32 v7, s4
	s_cselect_b32 s6, -1, 0
	s_delay_alu instid0(SALU_CYCLE_1)
	s_and_b32 vcc_lo, exec_lo, s6
	s_xor_b32 s6, s6, -1
	s_cbranch_vccz .LBB80_15
; %bb.1:
	v_cndmask_b32_e64 v1, 0, 1, s6
	v_mov_b32_e32 v8, s5
	s_and_not1_b32 vcc_lo, exec_lo, s6
	s_cbranch_vccz .LBB80_16
.LBB80_2:
	s_delay_alu instid0(VALU_DEP_2)
	v_cmp_ne_u32_e32 vcc_lo, 1, v1
	v_mov_b32_e32 v9, s2
	s_cbranch_vccz .LBB80_17
.LBB80_3:
	v_cmp_ne_u32_e32 vcc_lo, 1, v1
	v_mov_b32_e32 v10, s3
	s_cbranch_vccnz .LBB80_5
.LBB80_4:
	v_dual_mov_b32 v1, s2 :: v_dual_mov_b32 v2, s3
	flat_load_b32 v10, v[1:2] offset:4
.LBB80_5:
	s_waitcnt vmcnt(0) lgkmcnt(0)
	v_cmp_eq_f32_e32 vcc_lo, 0, v7
	v_cmp_eq_f32_e64 s2, 0, v8
	s_delay_alu instid0(VALU_DEP_1)
	s_and_b32 s4, vcc_lo, s2
	s_mov_b32 s2, -1
	s_and_saveexec_b32 s3, s4
; %bb.6:
	v_cmp_neq_f32_e32 vcc_lo, 1.0, v9
	v_cmp_neq_f32_e64 s2, 0, v10
	s_delay_alu instid0(VALU_DEP_1) | instskip(NEXT) | instid1(SALU_CYCLE_1)
	s_or_b32 s2, vcc_lo, s2
	s_or_not1_b32 s2, s2, exec_lo
; %bb.7:
	s_or_b32 exec_lo, exec_lo, s3
	s_and_saveexec_b32 s3, s2
	s_cbranch_execz .LBB80_29
; %bb.8:
	s_load_b64 s[2:3], s[0:1], 0x0
	v_lshrrev_b32_e32 v1, 3, v0
	s_delay_alu instid0(VALU_DEP_1) | instskip(SKIP_1) | instid1(VALU_DEP_1)
	v_lshl_or_b32 v1, s15, 4, v1
	s_waitcnt lgkmcnt(0)
	v_cmp_gt_i32_e32 vcc_lo, s2, v1
	s_and_b32 exec_lo, exec_lo, vcc_lo
	s_cbranch_execz .LBB80_29
; %bb.9:
	s_load_b256 s[4:11], s[0:1], 0x10
	v_ashrrev_i32_e32 v2, 31, v1
	v_and_b32_e32 v0, 7, v0
	s_cmp_lg_u32 s3, 0
	s_delay_alu instid0(VALU_DEP_2) | instskip(SKIP_1) | instid1(VALU_DEP_1)
	v_lshlrev_b64 v[2:3], 2, v[1:2]
	s_waitcnt lgkmcnt(0)
	v_add_co_u32 v2, vcc_lo, s4, v2
	s_delay_alu instid0(VALU_DEP_2) | instskip(SKIP_4) | instid1(VALU_DEP_2)
	v_add_co_ci_u32_e32 v3, vcc_lo, s5, v3, vcc_lo
	global_load_b64 v[2:3], v[2:3], off
	s_waitcnt vmcnt(0)
	v_subrev_nc_u32_e32 v2, s12, v2
	v_subrev_nc_u32_e32 v19, s12, v3
	v_add_nc_u32_e32 v2, v2, v0
	s_delay_alu instid0(VALU_DEP_1)
	v_cmp_lt_i32_e64 s2, v2, v19
	s_cbranch_scc0 .LBB80_18
; %bb.10:
	v_dual_mov_b32 v11, 0 :: v_dual_mov_b32 v16, 0
	v_dual_mov_b32 v15, 0 :: v_dual_mov_b32 v12, 0
	;; [unrolled: 1-line block ×4, first 2 shown]
	s_mov_b32 s3, 0
	s_and_saveexec_b32 s4, s2
	s_cbranch_execz .LBB80_14
; %bb.11:
	v_dual_mov_b32 v4, 0 :: v_dual_lshlrev_b32 v3, 3, v2
	v_mov_b32_e32 v5, v2
	s_mov_b32 s5, 0
	s_delay_alu instid0(VALU_DEP_2)
	v_mov_b32_e32 v16, v4
	v_mov_b32_e32 v11, v4
	;; [unrolled: 1-line block ×8, first 2 shown]
.LBB80_12:                              ; =>This Inner Loop Header: Depth=1
	v_ashrrev_i32_e32 v6, 31, v5
	s_delay_alu instid0(VALU_DEP_1) | instskip(NEXT) | instid1(VALU_DEP_1)
	v_lshlrev_b64 v[20:21], 2, v[5:6]
	v_add_co_u32 v20, vcc_lo, s6, v20
	s_delay_alu instid0(VALU_DEP_2) | instskip(SKIP_2) | instid1(VALU_DEP_1)
	v_add_co_ci_u32_e32 v21, vcc_lo, s7, v21, vcc_lo
	global_load_b32 v6, v[20:21], off
	v_lshlrev_b64 v[20:21], 3, v[3:4]
	v_add_co_u32 v36, vcc_lo, s8, v20
	s_delay_alu instid0(VALU_DEP_2)
	v_add_co_ci_u32_e32 v37, vcc_lo, s9, v21, vcc_lo
	s_clause 0x1
	global_load_b128 v[20:23], v[36:37], off offset:16
	global_load_b128 v[24:27], v[36:37], off
	s_waitcnt vmcnt(2)
	v_subrev_nc_u32_e32 v6, s12, v6
	s_delay_alu instid0(VALU_DEP_1) | instskip(NEXT) | instid1(VALU_DEP_1)
	v_dual_mov_b32 v29, v4 :: v_dual_lshlrev_b32 v28, 1, v6
	v_lshlrev_b64 v[28:29], 3, v[28:29]
	s_delay_alu instid0(VALU_DEP_1) | instskip(NEXT) | instid1(VALU_DEP_2)
	v_add_co_u32 v28, vcc_lo, s10, v28
	v_add_co_ci_u32_e32 v29, vcc_lo, s11, v29, vcc_lo
	global_load_b128 v[28:31], v[28:29], off
	s_clause 0x1
	global_load_b128 v[32:35], v[36:37], off offset:32
	global_load_b128 v[36:39], v[36:37], off offset:48
	v_add_nc_u32_e32 v3, 64, v3
	s_waitcnt vmcnt(2)
	v_dual_fmac_f32 v18, v26, v28 :: v_dual_add_nc_u32 v5, 8, v5
	v_fmac_f32_e32 v16, v24, v28
	v_fmac_f32_e32 v14, v27, v28
	;; [unrolled: 1-line block ×3, first 2 shown]
	s_delay_alu instid0(VALU_DEP_4)
	v_cmp_ge_i32_e32 vcc_lo, v5, v19
	v_fma_f32 v18, -v27, v29, v18
	v_fma_f32 v6, -v25, v29, v16
	v_dual_fmac_f32 v14, v26, v29 :: v_dual_fmac_f32 v13, v21, v28
	v_fmac_f32_e32 v15, v22, v28
	v_fmac_f32_e32 v11, v24, v29
	s_waitcnt vmcnt(1)
	v_fmac_f32_e32 v6, v32, v30
	v_fmac_f32_e32 v14, v35, v30
	v_dual_fmac_f32 v12, v23, v28 :: v_dual_fmac_f32 v13, v20, v29
	v_fmac_f32_e32 v17, v20, v28
	v_fma_f32 v15, -v23, v29, v15
	s_delay_alu instid0(VALU_DEP_4) | instskip(NEXT) | instid1(VALU_DEP_4)
	v_dual_fmac_f32 v11, v33, v30 :: v_dual_fmac_f32 v14, v34, v31
	v_fmac_f32_e32 v12, v22, v29
	s_delay_alu instid0(VALU_DEP_4) | instskip(SKIP_4) | instid1(VALU_DEP_3)
	v_fma_f32 v17, -v21, v29, v17
	s_waitcnt vmcnt(0)
	v_fmac_f32_e32 v13, v37, v30
	v_dual_fmac_f32 v18, v34, v30 :: v_dual_fmac_f32 v11, v32, v31
	v_fmac_f32_e32 v15, v38, v30
	v_dual_fmac_f32 v12, v39, v30 :: v_dual_fmac_f32 v13, v36, v31
	v_fmac_f32_e32 v17, v36, v30
	v_fma_f32 v16, -v33, v31, v6
	v_fma_f32 v18, -v35, v31, v18
	s_delay_alu instid0(VALU_DEP_4) | instskip(SKIP_3) | instid1(SALU_CYCLE_1)
	v_fmac_f32_e32 v12, v38, v31
	v_fma_f32 v15, -v39, v31, v15
	v_fma_f32 v17, -v37, v31, v17
	s_or_b32 s5, vcc_lo, s5
	s_and_not1_b32 exec_lo, exec_lo, s5
	s_cbranch_execnz .LBB80_12
; %bb.13:
	s_or_b32 exec_lo, exec_lo, s5
.LBB80_14:
	s_delay_alu instid0(SALU_CYCLE_1) | instskip(NEXT) | instid1(SALU_CYCLE_1)
	s_or_b32 exec_lo, exec_lo, s4
	s_and_not1_b32 vcc_lo, exec_lo, s3
	s_cbranch_vccz .LBB80_19
	s_branch .LBB80_24
.LBB80_15:
	v_dual_mov_b32 v1, s4 :: v_dual_mov_b32 v2, s5
	flat_load_b32 v7, v[1:2]
	v_cndmask_b32_e64 v1, 0, 1, s6
	v_mov_b32_e32 v8, s5
	s_and_not1_b32 vcc_lo, exec_lo, s6
	s_cbranch_vccnz .LBB80_2
.LBB80_16:
	v_dual_mov_b32 v2, s4 :: v_dual_mov_b32 v3, s5
	flat_load_b32 v8, v[2:3] offset:4
	v_cmp_ne_u32_e32 vcc_lo, 1, v1
	v_mov_b32_e32 v9, s2
	s_cbranch_vccnz .LBB80_3
.LBB80_17:
	v_dual_mov_b32 v2, s2 :: v_dual_mov_b32 v3, s3
	flat_load_b32 v9, v[2:3]
	v_cmp_ne_u32_e32 vcc_lo, 1, v1
	v_mov_b32_e32 v10, s3
	s_cbranch_vccz .LBB80_4
	s_branch .LBB80_5
.LBB80_18:
                                        ; implicit-def: $vgpr11
                                        ; implicit-def: $vgpr16
                                        ; implicit-def: $vgpr15
                                        ; implicit-def: $vgpr12
                                        ; implicit-def: $vgpr17
                                        ; implicit-def: $vgpr13
                                        ; implicit-def: $vgpr18
                                        ; implicit-def: $vgpr14
.LBB80_19:
	v_dual_mov_b32 v11, 0 :: v_dual_mov_b32 v16, 0
	v_dual_mov_b32 v15, 0 :: v_dual_mov_b32 v12, 0
	;; [unrolled: 1-line block ×4, first 2 shown]
	s_and_saveexec_b32 s3, s2
	s_cbranch_execz .LBB80_23
; %bb.20:
	v_dual_mov_b32 v5, 0 :: v_dual_lshlrev_b32 v4, 3, v2
	s_mov_b32 s2, 0
	s_delay_alu instid0(VALU_DEP_1)
	v_mov_b32_e32 v11, v5
	v_mov_b32_e32 v16, v5
	;; [unrolled: 1-line block ×8, first 2 shown]
.LBB80_21:                              ; =>This Inner Loop Header: Depth=1
	v_ashrrev_i32_e32 v3, 31, v2
	s_delay_alu instid0(VALU_DEP_1) | instskip(NEXT) | instid1(VALU_DEP_1)
	v_lshlrev_b64 v[20:21], 2, v[2:3]
	v_add_co_u32 v20, vcc_lo, s6, v20
	s_delay_alu instid0(VALU_DEP_2) | instskip(SKIP_2) | instid1(VALU_DEP_1)
	v_add_co_ci_u32_e32 v21, vcc_lo, s7, v21, vcc_lo
	global_load_b32 v3, v[20:21], off
	v_lshlrev_b64 v[20:21], 3, v[4:5]
	v_add_co_u32 v32, vcc_lo, s8, v20
	s_delay_alu instid0(VALU_DEP_2)
	v_add_co_ci_u32_e32 v33, vcc_lo, s9, v21, vcc_lo
	s_clause 0x3
	global_load_b128 v[20:23], v[32:33], off offset:48
	global_load_b128 v[24:27], v[32:33], off offset:32
	;; [unrolled: 1-line block ×3, first 2 shown]
	global_load_b128 v[32:35], v[32:33], off
	s_waitcnt vmcnt(4)
	v_subrev_nc_u32_e32 v3, s12, v3
	s_delay_alu instid0(VALU_DEP_1) | instskip(NEXT) | instid1(VALU_DEP_1)
	v_dual_mov_b32 v37, v5 :: v_dual_lshlrev_b32 v36, 1, v3
	v_lshlrev_b64 v[36:37], 3, v[36:37]
	s_delay_alu instid0(VALU_DEP_1) | instskip(NEXT) | instid1(VALU_DEP_2)
	v_add_co_u32 v36, vcc_lo, s10, v36
	v_add_co_ci_u32_e32 v37, vcc_lo, s11, v37, vcc_lo
	global_load_b128 v[36:39], v[36:37], off
	s_waitcnt vmcnt(0)
	v_dual_fmac_f32 v11, v33, v36 :: v_dual_add_nc_u32 v2, 8, v2
	v_add_nc_u32_e32 v4, 64, v4
	v_fmac_f32_e32 v13, v25, v36
	v_fmac_f32_e32 v14, v29, v36
	;; [unrolled: 1-line block ×9, first 2 shown]
	v_fma_f32 v6, -v29, v37, v18
	v_fmac_f32_e32 v17, v24, v36
	v_fma_f32 v3, -v33, v37, v16
	v_fmac_f32_e32 v14, v31, v38
	;; [unrolled: 2-line block ×3, first 2 shown]
	v_fma_f32 v17, -v25, v37, v17
	v_dual_fmac_f32 v12, v21, v36 :: v_dual_fmac_f32 v3, v34, v38
	v_fmac_f32_e32 v13, v27, v38
	v_fmac_f32_e32 v15, v22, v38
	s_delay_alu instid0(VALU_DEP_3)
	v_dual_fmac_f32 v17, v26, v38 :: v_dual_fmac_f32 v12, v20, v37
	v_cmp_ge_i32_e32 vcc_lo, v2, v19
	v_fma_f32 v16, -v35, v39, v3
	v_fmac_f32_e32 v11, v34, v39
	v_fma_f32 v18, -v31, v39, v6
	v_fmac_f32_e32 v12, v23, v38
	v_fmac_f32_e32 v14, v30, v39
	v_fma_f32 v17, -v27, v39, v17
	v_fmac_f32_e32 v13, v26, v39
	v_fma_f32 v15, -v23, v39, v15
	v_fmac_f32_e32 v12, v22, v39
	s_or_b32 s2, vcc_lo, s2
	s_delay_alu instid0(SALU_CYCLE_1)
	s_and_not1_b32 exec_lo, exec_lo, s2
	s_cbranch_execnz .LBB80_21
; %bb.22:
	s_or_b32 exec_lo, exec_lo, s2
.LBB80_23:
	s_delay_alu instid0(SALU_CYCLE_1)
	s_or_b32 exec_lo, exec_lo, s3
.LBB80_24:
	v_mbcnt_lo_u32_b32 v2, -1, 0
	s_delay_alu instid0(VALU_DEP_1) | instskip(SKIP_1) | instid1(VALU_DEP_2)
	v_xor_b32_e32 v3, 4, v2
	v_xor_b32_e32 v23, 2, v2
	v_cmp_gt_i32_e32 vcc_lo, 32, v3
	v_cndmask_b32_e32 v3, v2, v3, vcc_lo
	s_delay_alu instid0(VALU_DEP_3) | instskip(NEXT) | instid1(VALU_DEP_2)
	v_cmp_gt_i32_e32 vcc_lo, 32, v23
	v_lshlrev_b32_e32 v3, 2, v3
	ds_bpermute_b32 v4, v3, v16
	ds_bpermute_b32 v20, v3, v17
	s_waitcnt lgkmcnt(1)
	v_add_f32_e32 v4, v16, v4
	s_waitcnt lgkmcnt(0)
	v_add_f32_e32 v16, v17, v20
	ds_bpermute_b32 v5, v3, v11
	ds_bpermute_b32 v6, v3, v18
	;; [unrolled: 1-line block ×4, first 2 shown]
	v_cndmask_b32_e32 v23, v2, v23, vcc_lo
	ds_bpermute_b32 v21, v3, v13
	ds_bpermute_b32 v3, v3, v12
	s_waitcnt lgkmcnt(5)
	v_add_f32_e32 v5, v11, v5
	s_waitcnt lgkmcnt(4)
	v_add_f32_e32 v11, v18, v6
	;; [unrolled: 2-line block ×3, first 2 shown]
	s_waitcnt lgkmcnt(2)
	v_dual_add_f32 v18, v15, v22 :: v_dual_lshlrev_b32 v23, 2, v23
	s_waitcnt lgkmcnt(0)
	v_dual_add_f32 v17, v13, v21 :: v_dual_add_f32 v12, v12, v3
	ds_bpermute_b32 v6, v23, v5
	s_waitcnt lgkmcnt(0)
	v_add_f32_e32 v6, v5, v6
	ds_bpermute_b32 v3, v23, v4
	ds_bpermute_b32 v13, v23, v11
	;; [unrolled: 1-line block ×7, first 2 shown]
	v_xor_b32_e32 v23, 1, v2
	s_delay_alu instid0(VALU_DEP_1) | instskip(SKIP_4) | instid1(VALU_DEP_3)
	v_cmp_gt_i32_e32 vcc_lo, 32, v23
	v_cndmask_b32_e32 v2, v2, v23, vcc_lo
	v_cmp_eq_u32_e32 vcc_lo, 7, v0
	s_waitcnt lgkmcnt(5)
	v_add_f32_e32 v11, v11, v13
	v_dual_add_f32 v2, v4, v3 :: v_dual_lshlrev_b32 v23, 2, v2
	s_waitcnt lgkmcnt(4)
	v_add_f32_e32 v13, v14, v15
	s_waitcnt lgkmcnt(2)
	v_dual_add_f32 v14, v16, v19 :: v_dual_add_f32 v15, v17, v20
	s_waitcnt lgkmcnt(1)
	v_add_f32_e32 v3, v18, v21
	s_waitcnt lgkmcnt(0)
	v_add_f32_e32 v5, v12, v22
	ds_bpermute_b32 v4, v23, v2
	ds_bpermute_b32 v12, v23, v6
	;; [unrolled: 1-line block ×8, first 2 shown]
	s_and_b32 exec_lo, exec_lo, vcc_lo
	s_cbranch_execz .LBB80_29
; %bb.25:
	s_load_b64 s[2:3], s[0:1], 0x38
	v_cmp_eq_f32_e32 vcc_lo, 0, v9
	v_cmp_eq_f32_e64 s0, 0, v10
	s_waitcnt lgkmcnt(0)
	v_add_f32_e32 v4, v2, v4
	v_dual_add_f32 v12, v6, v12 :: v_dual_add_f32 v5, v5, v17
	v_dual_add_f32 v0, v11, v18 :: v_dual_add_f32 v11, v13, v19
	v_add_f32_e32 v2, v14, v20
	v_add_f32_e32 v6, v15, v21
	v_add_f32_e32 v3, v3, v16
	s_and_b32 s0, vcc_lo, s0
	s_delay_alu instid0(SALU_CYCLE_1) | instskip(NEXT) | instid1(SALU_CYCLE_1)
	s_and_saveexec_b32 s1, s0
	s_xor_b32 s0, exec_lo, s1
	s_cbranch_execz .LBB80_27
; %bb.26:
	v_dual_mul_f32 v14, v12, v7 :: v_dual_lshlrev_b32 v17, 2, v1
	v_mul_f32_e64 v15, v11, -v8
	v_mul_f32_e64 v13, v12, -v8
	v_mul_f32_e32 v16, v11, v7
	s_delay_alu instid0(VALU_DEP_4) | instskip(SKIP_1) | instid1(VALU_DEP_4)
	v_ashrrev_i32_e32 v18, 31, v17
	v_mul_f32_e64 v9, v6, -v8
	v_dual_mul_f32 v10, v6, v7 :: v_dual_fmac_f32 v13, v7, v4
	v_mul_f32_e64 v11, v5, -v8
	s_delay_alu instid0(VALU_DEP_4) | instskip(SKIP_2) | instid1(VALU_DEP_4)
	v_lshlrev_b64 v[17:18], 3, v[17:18]
	v_dual_fmac_f32 v15, v7, v0 :: v_dual_mul_f32 v12, v5, v7
	v_dual_fmac_f32 v14, v8, v4 :: v_dual_fmac_f32 v9, v7, v2
	v_dual_fmac_f32 v16, v8, v0 :: v_dual_fmac_f32 v11, v7, v3
	s_delay_alu instid0(VALU_DEP_4)
	v_add_co_u32 v17, vcc_lo, s2, v17
	v_add_co_ci_u32_e32 v18, vcc_lo, s3, v18, vcc_lo
	v_fmac_f32_e32 v10, v8, v2
	v_fmac_f32_e32 v12, v8, v3
	s_clause 0x1
	global_store_b128 v[17:18], v[13:16], off
	global_store_b128 v[17:18], v[9:12], off offset:16
                                        ; implicit-def: $vgpr7
                                        ; implicit-def: $vgpr8
                                        ; implicit-def: $vgpr9
                                        ; implicit-def: $vgpr10
                                        ; implicit-def: $vgpr1
                                        ; implicit-def: $vgpr4
                                        ; implicit-def: $vgpr12
                                        ; implicit-def: $vgpr0
                                        ; implicit-def: $vgpr11
                                        ; implicit-def: $vgpr2
                                        ; implicit-def: $vgpr6
                                        ; implicit-def: $vgpr3
                                        ; implicit-def: $vgpr5
.LBB80_27:
	s_and_not1_saveexec_b32 s0, s0
	s_cbranch_execz .LBB80_29
; %bb.28:
	v_dual_mul_f32 v22, v12, v7 :: v_dual_lshlrev_b32 v13, 2, v1
	v_mul_f32_e64 v1, v12, -v8
	v_mul_f32_e64 v12, v11, -v8
	v_mul_f32_e32 v26, v6, v7
	s_delay_alu instid0(VALU_DEP_4) | instskip(NEXT) | instid1(VALU_DEP_4)
	v_ashrrev_i32_e32 v14, 31, v13
	v_fmac_f32_e32 v1, v7, v4
	s_delay_alu instid0(VALU_DEP_4) | instskip(NEXT) | instid1(VALU_DEP_4)
	v_fmac_f32_e32 v12, v7, v0
	v_fmac_f32_e32 v26, v8, v2
	s_delay_alu instid0(VALU_DEP_4) | instskip(NEXT) | instid1(VALU_DEP_1)
	v_lshlrev_b64 v[13:14], 3, v[13:14]
	v_add_co_u32 v29, vcc_lo, s2, v13
	s_delay_alu instid0(VALU_DEP_2)
	v_add_co_ci_u32_e32 v30, vcc_lo, s3, v14, vcc_lo
	s_clause 0x1
	global_load_b128 v[13:16], v[29:30], off
	global_load_b128 v[17:20], v[29:30], off offset:16
	v_mul_f32_e32 v24, v11, v7
	v_mul_f32_e64 v11, v6, -v8
	v_mul_f32_e64 v6, v5, -v8
	s_delay_alu instid0(VALU_DEP_2) | instskip(SKIP_1) | instid1(VALU_DEP_3)
	v_dual_mul_f32 v28, v5, v7 :: v_dual_fmac_f32 v11, v7, v2
	v_fmac_f32_e32 v22, v8, v4
	v_fmac_f32_e32 v6, v7, v3
	s_waitcnt vmcnt(1)
	s_delay_alu instid0(VALU_DEP_3)
	v_dual_fmac_f32 v28, v8, v3 :: v_dual_fmac_f32 v1, v9, v13
	s_waitcnt vmcnt(0)
	v_dual_fmac_f32 v11, v9, v17 :: v_dual_fmac_f32 v24, v8, v0
	v_fmac_f32_e32 v22, v10, v13
	v_fmac_f32_e32 v12, v9, v15
	;; [unrolled: 1-line block ×6, first 2 shown]
	v_fma_f32 v21, -v10, v14, v1
	v_fmac_f32_e32 v22, v9, v14
	v_fma_f32 v23, -v10, v16, v12
	v_fmac_f32_e32 v24, v9, v16
	;; [unrolled: 2-line block ×4, first 2 shown]
	s_clause 0x1
	global_store_b128 v[29:30], v[21:24], off
	global_store_b128 v[29:30], v[25:28], off offset:16
.LBB80_29:
	s_nop 0
	s_sendmsg sendmsg(MSG_DEALLOC_VGPRS)
	s_endpgm
	.section	.rodata,"a",@progbits
	.p2align	6, 0x0
	.amdhsa_kernel _ZN9rocsparseL19gebsrmvn_4xn_kernelILj128ELj2ELj8E21rocsparse_complex_numIfEEEvi20rocsparse_direction_NS_24const_host_device_scalarIT2_EEPKiS8_PKS5_SA_S6_PS5_21rocsparse_index_base_b
		.amdhsa_group_segment_fixed_size 0
		.amdhsa_private_segment_fixed_size 0
		.amdhsa_kernarg_size 72
		.amdhsa_user_sgpr_count 15
		.amdhsa_user_sgpr_dispatch_ptr 0
		.amdhsa_user_sgpr_queue_ptr 0
		.amdhsa_user_sgpr_kernarg_segment_ptr 1
		.amdhsa_user_sgpr_dispatch_id 0
		.amdhsa_user_sgpr_private_segment_size 0
		.amdhsa_wavefront_size32 1
		.amdhsa_uses_dynamic_stack 0
		.amdhsa_enable_private_segment 0
		.amdhsa_system_sgpr_workgroup_id_x 1
		.amdhsa_system_sgpr_workgroup_id_y 0
		.amdhsa_system_sgpr_workgroup_id_z 0
		.amdhsa_system_sgpr_workgroup_info 0
		.amdhsa_system_vgpr_workitem_id 0
		.amdhsa_next_free_vgpr 40
		.amdhsa_next_free_sgpr 16
		.amdhsa_reserve_vcc 1
		.amdhsa_float_round_mode_32 0
		.amdhsa_float_round_mode_16_64 0
		.amdhsa_float_denorm_mode_32 3
		.amdhsa_float_denorm_mode_16_64 3
		.amdhsa_dx10_clamp 1
		.amdhsa_ieee_mode 1
		.amdhsa_fp16_overflow 0
		.amdhsa_workgroup_processor_mode 1
		.amdhsa_memory_ordered 1
		.amdhsa_forward_progress 0
		.amdhsa_shared_vgpr_count 0
		.amdhsa_exception_fp_ieee_invalid_op 0
		.amdhsa_exception_fp_denorm_src 0
		.amdhsa_exception_fp_ieee_div_zero 0
		.amdhsa_exception_fp_ieee_overflow 0
		.amdhsa_exception_fp_ieee_underflow 0
		.amdhsa_exception_fp_ieee_inexact 0
		.amdhsa_exception_int_div_zero 0
	.end_amdhsa_kernel
	.section	.text._ZN9rocsparseL19gebsrmvn_4xn_kernelILj128ELj2ELj8E21rocsparse_complex_numIfEEEvi20rocsparse_direction_NS_24const_host_device_scalarIT2_EEPKiS8_PKS5_SA_S6_PS5_21rocsparse_index_base_b,"axG",@progbits,_ZN9rocsparseL19gebsrmvn_4xn_kernelILj128ELj2ELj8E21rocsparse_complex_numIfEEEvi20rocsparse_direction_NS_24const_host_device_scalarIT2_EEPKiS8_PKS5_SA_S6_PS5_21rocsparse_index_base_b,comdat
.Lfunc_end80:
	.size	_ZN9rocsparseL19gebsrmvn_4xn_kernelILj128ELj2ELj8E21rocsparse_complex_numIfEEEvi20rocsparse_direction_NS_24const_host_device_scalarIT2_EEPKiS8_PKS5_SA_S6_PS5_21rocsparse_index_base_b, .Lfunc_end80-_ZN9rocsparseL19gebsrmvn_4xn_kernelILj128ELj2ELj8E21rocsparse_complex_numIfEEEvi20rocsparse_direction_NS_24const_host_device_scalarIT2_EEPKiS8_PKS5_SA_S6_PS5_21rocsparse_index_base_b
                                        ; -- End function
	.section	.AMDGPU.csdata,"",@progbits
; Kernel info:
; codeLenInByte = 2240
; NumSgprs: 18
; NumVgprs: 40
; ScratchSize: 0
; MemoryBound: 0
; FloatMode: 240
; IeeeMode: 1
; LDSByteSize: 0 bytes/workgroup (compile time only)
; SGPRBlocks: 2
; VGPRBlocks: 4
; NumSGPRsForWavesPerEU: 18
; NumVGPRsForWavesPerEU: 40
; Occupancy: 16
; WaveLimiterHint : 1
; COMPUTE_PGM_RSRC2:SCRATCH_EN: 0
; COMPUTE_PGM_RSRC2:USER_SGPR: 15
; COMPUTE_PGM_RSRC2:TRAP_HANDLER: 0
; COMPUTE_PGM_RSRC2:TGID_X_EN: 1
; COMPUTE_PGM_RSRC2:TGID_Y_EN: 0
; COMPUTE_PGM_RSRC2:TGID_Z_EN: 0
; COMPUTE_PGM_RSRC2:TIDIG_COMP_CNT: 0
	.section	.text._ZN9rocsparseL19gebsrmvn_4xn_kernelILj128ELj2ELj16E21rocsparse_complex_numIfEEEvi20rocsparse_direction_NS_24const_host_device_scalarIT2_EEPKiS8_PKS5_SA_S6_PS5_21rocsparse_index_base_b,"axG",@progbits,_ZN9rocsparseL19gebsrmvn_4xn_kernelILj128ELj2ELj16E21rocsparse_complex_numIfEEEvi20rocsparse_direction_NS_24const_host_device_scalarIT2_EEPKiS8_PKS5_SA_S6_PS5_21rocsparse_index_base_b,comdat
	.globl	_ZN9rocsparseL19gebsrmvn_4xn_kernelILj128ELj2ELj16E21rocsparse_complex_numIfEEEvi20rocsparse_direction_NS_24const_host_device_scalarIT2_EEPKiS8_PKS5_SA_S6_PS5_21rocsparse_index_base_b ; -- Begin function _ZN9rocsparseL19gebsrmvn_4xn_kernelILj128ELj2ELj16E21rocsparse_complex_numIfEEEvi20rocsparse_direction_NS_24const_host_device_scalarIT2_EEPKiS8_PKS5_SA_S6_PS5_21rocsparse_index_base_b
	.p2align	8
	.type	_ZN9rocsparseL19gebsrmvn_4xn_kernelILj128ELj2ELj16E21rocsparse_complex_numIfEEEvi20rocsparse_direction_NS_24const_host_device_scalarIT2_EEPKiS8_PKS5_SA_S6_PS5_21rocsparse_index_base_b,@function
_ZN9rocsparseL19gebsrmvn_4xn_kernelILj128ELj2ELj16E21rocsparse_complex_numIfEEEvi20rocsparse_direction_NS_24const_host_device_scalarIT2_EEPKiS8_PKS5_SA_S6_PS5_21rocsparse_index_base_b: ; @_ZN9rocsparseL19gebsrmvn_4xn_kernelILj128ELj2ELj16E21rocsparse_complex_numIfEEEvi20rocsparse_direction_NS_24const_host_device_scalarIT2_EEPKiS8_PKS5_SA_S6_PS5_21rocsparse_index_base_b
; %bb.0:
	s_clause 0x2
	s_load_b64 s[12:13], s[0:1], 0x40
	s_load_b64 s[4:5], s[0:1], 0x8
	;; [unrolled: 1-line block ×3, first 2 shown]
	s_waitcnt lgkmcnt(0)
	s_bitcmp1_b32 s13, 0
	v_mov_b32_e32 v7, s4
	s_cselect_b32 s6, -1, 0
	s_delay_alu instid0(SALU_CYCLE_1)
	s_and_b32 vcc_lo, exec_lo, s6
	s_xor_b32 s6, s6, -1
	s_cbranch_vccz .LBB81_15
; %bb.1:
	v_cndmask_b32_e64 v1, 0, 1, s6
	v_mov_b32_e32 v8, s5
	s_and_not1_b32 vcc_lo, exec_lo, s6
	s_cbranch_vccz .LBB81_16
.LBB81_2:
	s_delay_alu instid0(VALU_DEP_2)
	v_cmp_ne_u32_e32 vcc_lo, 1, v1
	v_mov_b32_e32 v9, s2
	s_cbranch_vccz .LBB81_17
.LBB81_3:
	v_cmp_ne_u32_e32 vcc_lo, 1, v1
	v_mov_b32_e32 v10, s3
	s_cbranch_vccnz .LBB81_5
.LBB81_4:
	v_dual_mov_b32 v1, s2 :: v_dual_mov_b32 v2, s3
	flat_load_b32 v10, v[1:2] offset:4
.LBB81_5:
	s_waitcnt vmcnt(0) lgkmcnt(0)
	v_cmp_eq_f32_e32 vcc_lo, 0, v7
	v_cmp_eq_f32_e64 s2, 0, v8
	s_delay_alu instid0(VALU_DEP_1)
	s_and_b32 s4, vcc_lo, s2
	s_mov_b32 s2, -1
	s_and_saveexec_b32 s3, s4
; %bb.6:
	v_cmp_neq_f32_e32 vcc_lo, 1.0, v9
	v_cmp_neq_f32_e64 s2, 0, v10
	s_delay_alu instid0(VALU_DEP_1) | instskip(NEXT) | instid1(SALU_CYCLE_1)
	s_or_b32 s2, vcc_lo, s2
	s_or_not1_b32 s2, s2, exec_lo
; %bb.7:
	s_or_b32 exec_lo, exec_lo, s3
	s_and_saveexec_b32 s3, s2
	s_cbranch_execz .LBB81_29
; %bb.8:
	s_load_b64 s[2:3], s[0:1], 0x0
	v_lshrrev_b32_e32 v1, 4, v0
	s_delay_alu instid0(VALU_DEP_1) | instskip(SKIP_1) | instid1(VALU_DEP_1)
	v_lshl_or_b32 v1, s15, 3, v1
	s_waitcnt lgkmcnt(0)
	v_cmp_gt_i32_e32 vcc_lo, s2, v1
	s_and_b32 exec_lo, exec_lo, vcc_lo
	s_cbranch_execz .LBB81_29
; %bb.9:
	s_load_b256 s[4:11], s[0:1], 0x10
	v_ashrrev_i32_e32 v2, 31, v1
	v_and_b32_e32 v0, 15, v0
	s_cmp_lg_u32 s3, 0
	s_delay_alu instid0(VALU_DEP_2) | instskip(SKIP_1) | instid1(VALU_DEP_1)
	v_lshlrev_b64 v[2:3], 2, v[1:2]
	s_waitcnt lgkmcnt(0)
	v_add_co_u32 v2, vcc_lo, s4, v2
	s_delay_alu instid0(VALU_DEP_2) | instskip(SKIP_4) | instid1(VALU_DEP_2)
	v_add_co_ci_u32_e32 v3, vcc_lo, s5, v3, vcc_lo
	global_load_b64 v[2:3], v[2:3], off
	s_waitcnt vmcnt(0)
	v_subrev_nc_u32_e32 v2, s12, v2
	v_subrev_nc_u32_e32 v19, s12, v3
	v_add_nc_u32_e32 v2, v2, v0
	s_delay_alu instid0(VALU_DEP_1)
	v_cmp_lt_i32_e64 s2, v2, v19
	s_cbranch_scc0 .LBB81_18
; %bb.10:
	v_dual_mov_b32 v11, 0 :: v_dual_mov_b32 v16, 0
	v_dual_mov_b32 v15, 0 :: v_dual_mov_b32 v12, 0
	;; [unrolled: 1-line block ×4, first 2 shown]
	s_mov_b32 s3, 0
	s_and_saveexec_b32 s4, s2
	s_cbranch_execz .LBB81_14
; %bb.11:
	v_dual_mov_b32 v4, 0 :: v_dual_lshlrev_b32 v3, 3, v2
	v_mov_b32_e32 v5, v2
	s_mov_b32 s5, 0
	s_delay_alu instid0(VALU_DEP_2)
	v_mov_b32_e32 v16, v4
	v_mov_b32_e32 v11, v4
	;; [unrolled: 1-line block ×8, first 2 shown]
.LBB81_12:                              ; =>This Inner Loop Header: Depth=1
	v_ashrrev_i32_e32 v6, 31, v5
	s_delay_alu instid0(VALU_DEP_1) | instskip(NEXT) | instid1(VALU_DEP_1)
	v_lshlrev_b64 v[20:21], 2, v[5:6]
	v_add_co_u32 v20, vcc_lo, s6, v20
	s_delay_alu instid0(VALU_DEP_2) | instskip(SKIP_2) | instid1(VALU_DEP_1)
	v_add_co_ci_u32_e32 v21, vcc_lo, s7, v21, vcc_lo
	global_load_b32 v6, v[20:21], off
	v_lshlrev_b64 v[20:21], 3, v[3:4]
	v_add_co_u32 v36, vcc_lo, s8, v20
	s_delay_alu instid0(VALU_DEP_2)
	v_add_co_ci_u32_e32 v37, vcc_lo, s9, v21, vcc_lo
	s_clause 0x1
	global_load_b128 v[20:23], v[36:37], off offset:16
	global_load_b128 v[24:27], v[36:37], off
	s_waitcnt vmcnt(2)
	v_subrev_nc_u32_e32 v6, s12, v6
	s_delay_alu instid0(VALU_DEP_1) | instskip(NEXT) | instid1(VALU_DEP_1)
	v_dual_mov_b32 v29, v4 :: v_dual_lshlrev_b32 v28, 1, v6
	v_lshlrev_b64 v[28:29], 3, v[28:29]
	s_delay_alu instid0(VALU_DEP_1) | instskip(NEXT) | instid1(VALU_DEP_2)
	v_add_co_u32 v28, vcc_lo, s10, v28
	v_add_co_ci_u32_e32 v29, vcc_lo, s11, v29, vcc_lo
	global_load_b128 v[28:31], v[28:29], off
	s_clause 0x1
	global_load_b128 v[32:35], v[36:37], off offset:32
	global_load_b128 v[36:39], v[36:37], off offset:48
	v_add_nc_u32_e32 v3, 0x80, v3
	s_waitcnt vmcnt(2)
	v_dual_fmac_f32 v18, v26, v28 :: v_dual_add_nc_u32 v5, 16, v5
	v_fmac_f32_e32 v16, v24, v28
	v_fmac_f32_e32 v14, v27, v28
	;; [unrolled: 1-line block ×3, first 2 shown]
	s_delay_alu instid0(VALU_DEP_4)
	v_cmp_ge_i32_e32 vcc_lo, v5, v19
	v_fma_f32 v18, -v27, v29, v18
	v_fma_f32 v6, -v25, v29, v16
	v_dual_fmac_f32 v14, v26, v29 :: v_dual_fmac_f32 v13, v21, v28
	v_fmac_f32_e32 v15, v22, v28
	v_fmac_f32_e32 v11, v24, v29
	s_waitcnt vmcnt(1)
	v_fmac_f32_e32 v6, v32, v30
	v_fmac_f32_e32 v14, v35, v30
	v_dual_fmac_f32 v12, v23, v28 :: v_dual_fmac_f32 v13, v20, v29
	v_fmac_f32_e32 v17, v20, v28
	v_fma_f32 v15, -v23, v29, v15
	s_delay_alu instid0(VALU_DEP_4) | instskip(NEXT) | instid1(VALU_DEP_4)
	v_dual_fmac_f32 v11, v33, v30 :: v_dual_fmac_f32 v14, v34, v31
	v_fmac_f32_e32 v12, v22, v29
	s_delay_alu instid0(VALU_DEP_4) | instskip(SKIP_4) | instid1(VALU_DEP_3)
	v_fma_f32 v17, -v21, v29, v17
	s_waitcnt vmcnt(0)
	v_fmac_f32_e32 v13, v37, v30
	v_dual_fmac_f32 v18, v34, v30 :: v_dual_fmac_f32 v11, v32, v31
	v_fmac_f32_e32 v15, v38, v30
	v_dual_fmac_f32 v12, v39, v30 :: v_dual_fmac_f32 v13, v36, v31
	v_fmac_f32_e32 v17, v36, v30
	v_fma_f32 v16, -v33, v31, v6
	v_fma_f32 v18, -v35, v31, v18
	s_delay_alu instid0(VALU_DEP_4) | instskip(SKIP_3) | instid1(SALU_CYCLE_1)
	v_fmac_f32_e32 v12, v38, v31
	v_fma_f32 v15, -v39, v31, v15
	v_fma_f32 v17, -v37, v31, v17
	s_or_b32 s5, vcc_lo, s5
	s_and_not1_b32 exec_lo, exec_lo, s5
	s_cbranch_execnz .LBB81_12
; %bb.13:
	s_or_b32 exec_lo, exec_lo, s5
.LBB81_14:
	s_delay_alu instid0(SALU_CYCLE_1) | instskip(NEXT) | instid1(SALU_CYCLE_1)
	s_or_b32 exec_lo, exec_lo, s4
	s_and_not1_b32 vcc_lo, exec_lo, s3
	s_cbranch_vccz .LBB81_19
	s_branch .LBB81_24
.LBB81_15:
	v_dual_mov_b32 v1, s4 :: v_dual_mov_b32 v2, s5
	flat_load_b32 v7, v[1:2]
	v_cndmask_b32_e64 v1, 0, 1, s6
	v_mov_b32_e32 v8, s5
	s_and_not1_b32 vcc_lo, exec_lo, s6
	s_cbranch_vccnz .LBB81_2
.LBB81_16:
	v_dual_mov_b32 v2, s4 :: v_dual_mov_b32 v3, s5
	flat_load_b32 v8, v[2:3] offset:4
	v_cmp_ne_u32_e32 vcc_lo, 1, v1
	v_mov_b32_e32 v9, s2
	s_cbranch_vccnz .LBB81_3
.LBB81_17:
	v_dual_mov_b32 v2, s2 :: v_dual_mov_b32 v3, s3
	flat_load_b32 v9, v[2:3]
	v_cmp_ne_u32_e32 vcc_lo, 1, v1
	v_mov_b32_e32 v10, s3
	s_cbranch_vccz .LBB81_4
	s_branch .LBB81_5
.LBB81_18:
                                        ; implicit-def: $vgpr11
                                        ; implicit-def: $vgpr16
                                        ; implicit-def: $vgpr15
                                        ; implicit-def: $vgpr12
                                        ; implicit-def: $vgpr17
                                        ; implicit-def: $vgpr13
                                        ; implicit-def: $vgpr18
                                        ; implicit-def: $vgpr14
.LBB81_19:
	v_dual_mov_b32 v11, 0 :: v_dual_mov_b32 v16, 0
	v_dual_mov_b32 v15, 0 :: v_dual_mov_b32 v12, 0
	;; [unrolled: 1-line block ×4, first 2 shown]
	s_and_saveexec_b32 s3, s2
	s_cbranch_execz .LBB81_23
; %bb.20:
	v_dual_mov_b32 v5, 0 :: v_dual_lshlrev_b32 v4, 3, v2
	s_mov_b32 s2, 0
	s_delay_alu instid0(VALU_DEP_1)
	v_mov_b32_e32 v11, v5
	v_mov_b32_e32 v16, v5
	;; [unrolled: 1-line block ×8, first 2 shown]
.LBB81_21:                              ; =>This Inner Loop Header: Depth=1
	v_ashrrev_i32_e32 v3, 31, v2
	s_delay_alu instid0(VALU_DEP_1) | instskip(NEXT) | instid1(VALU_DEP_1)
	v_lshlrev_b64 v[20:21], 2, v[2:3]
	v_add_co_u32 v20, vcc_lo, s6, v20
	s_delay_alu instid0(VALU_DEP_2) | instskip(SKIP_2) | instid1(VALU_DEP_1)
	v_add_co_ci_u32_e32 v21, vcc_lo, s7, v21, vcc_lo
	global_load_b32 v3, v[20:21], off
	v_lshlrev_b64 v[20:21], 3, v[4:5]
	v_add_co_u32 v32, vcc_lo, s8, v20
	s_delay_alu instid0(VALU_DEP_2)
	v_add_co_ci_u32_e32 v33, vcc_lo, s9, v21, vcc_lo
	s_clause 0x3
	global_load_b128 v[20:23], v[32:33], off offset:48
	global_load_b128 v[24:27], v[32:33], off offset:32
	;; [unrolled: 1-line block ×3, first 2 shown]
	global_load_b128 v[32:35], v[32:33], off
	s_waitcnt vmcnt(4)
	v_subrev_nc_u32_e32 v3, s12, v3
	s_delay_alu instid0(VALU_DEP_1) | instskip(NEXT) | instid1(VALU_DEP_1)
	v_dual_mov_b32 v37, v5 :: v_dual_lshlrev_b32 v36, 1, v3
	v_lshlrev_b64 v[36:37], 3, v[36:37]
	s_delay_alu instid0(VALU_DEP_1) | instskip(NEXT) | instid1(VALU_DEP_2)
	v_add_co_u32 v36, vcc_lo, s10, v36
	v_add_co_ci_u32_e32 v37, vcc_lo, s11, v37, vcc_lo
	global_load_b128 v[36:39], v[36:37], off
	s_waitcnt vmcnt(0)
	v_dual_fmac_f32 v11, v33, v36 :: v_dual_add_nc_u32 v2, 16, v2
	v_add_nc_u32_e32 v4, 0x80, v4
	v_fmac_f32_e32 v13, v25, v36
	v_fmac_f32_e32 v14, v29, v36
	;; [unrolled: 1-line block ×9, first 2 shown]
	v_fma_f32 v6, -v29, v37, v18
	v_fmac_f32_e32 v17, v24, v36
	v_fma_f32 v3, -v33, v37, v16
	v_fmac_f32_e32 v14, v31, v38
	;; [unrolled: 2-line block ×3, first 2 shown]
	v_fma_f32 v17, -v25, v37, v17
	v_dual_fmac_f32 v12, v21, v36 :: v_dual_fmac_f32 v3, v34, v38
	v_fmac_f32_e32 v13, v27, v38
	v_fmac_f32_e32 v15, v22, v38
	s_delay_alu instid0(VALU_DEP_3)
	v_dual_fmac_f32 v17, v26, v38 :: v_dual_fmac_f32 v12, v20, v37
	v_cmp_ge_i32_e32 vcc_lo, v2, v19
	v_fma_f32 v16, -v35, v39, v3
	v_fmac_f32_e32 v11, v34, v39
	v_fma_f32 v18, -v31, v39, v6
	v_fmac_f32_e32 v12, v23, v38
	v_fmac_f32_e32 v14, v30, v39
	v_fma_f32 v17, -v27, v39, v17
	v_fmac_f32_e32 v13, v26, v39
	v_fma_f32 v15, -v23, v39, v15
	v_fmac_f32_e32 v12, v22, v39
	s_or_b32 s2, vcc_lo, s2
	s_delay_alu instid0(SALU_CYCLE_1)
	s_and_not1_b32 exec_lo, exec_lo, s2
	s_cbranch_execnz .LBB81_21
; %bb.22:
	s_or_b32 exec_lo, exec_lo, s2
.LBB81_23:
	s_delay_alu instid0(SALU_CYCLE_1)
	s_or_b32 exec_lo, exec_lo, s3
.LBB81_24:
	v_mbcnt_lo_u32_b32 v2, -1, 0
	s_delay_alu instid0(VALU_DEP_1) | instskip(SKIP_1) | instid1(VALU_DEP_2)
	v_xor_b32_e32 v3, 8, v2
	v_xor_b32_e32 v23, 4, v2
	v_cmp_gt_i32_e32 vcc_lo, 32, v3
	v_cndmask_b32_e32 v3, v2, v3, vcc_lo
	s_delay_alu instid0(VALU_DEP_3) | instskip(NEXT) | instid1(VALU_DEP_2)
	v_cmp_gt_i32_e32 vcc_lo, 32, v23
	v_lshlrev_b32_e32 v3, 2, v3
	ds_bpermute_b32 v6, v3, v18
	s_waitcnt lgkmcnt(0)
	v_add_f32_e32 v6, v18, v6
	ds_bpermute_b32 v4, v3, v16
	ds_bpermute_b32 v5, v3, v11
	;; [unrolled: 1-line block ×7, first 2 shown]
	s_waitcnt lgkmcnt(6)
	v_dual_cndmask_b32 v23, v2, v23 :: v_dual_add_f32 v4, v16, v4
	s_waitcnt lgkmcnt(5)
	v_add_f32_e32 v5, v11, v5
	s_waitcnt lgkmcnt(2)
	v_add_f32_e32 v15, v15, v22
	v_dual_add_f32 v11, v14, v19 :: v_dual_add_f32 v14, v17, v20
	v_lshlrev_b32_e32 v23, 2, v23
	s_waitcnt lgkmcnt(0)
	v_add_f32_e32 v3, v12, v3
	ds_bpermute_b32 v12, v23, v4
	s_waitcnt lgkmcnt(0)
	v_add_f32_e32 v4, v4, v12
	ds_bpermute_b32 v19, v23, v14
	ds_bpermute_b32 v17, v23, v6
	;; [unrolled: 1-line block ×3, first 2 shown]
	v_add_f32_e32 v13, v13, v21
	ds_bpermute_b32 v22, v23, v3
	s_waitcnt lgkmcnt(3)
	v_add_f32_e32 v14, v14, v19
	ds_bpermute_b32 v16, v23, v5
	s_waitcnt lgkmcnt(3)
	;; [unrolled: 3-line block ×3, first 2 shown]
	v_dual_add_f32 v5, v5, v16 :: v_dual_add_f32 v16, v11, v18
	ds_bpermute_b32 v20, v23, v13
	v_xor_b32_e32 v23, 2, v2
	s_waitcnt lgkmcnt(1)
	v_add_f32_e32 v18, v15, v21
	s_delay_alu instid0(VALU_DEP_2) | instskip(SKIP_1) | instid1(VALU_DEP_1)
	v_cmp_gt_i32_e32 vcc_lo, 32, v23
	v_cndmask_b32_e32 v23, v2, v23, vcc_lo
	v_lshlrev_b32_e32 v23, 2, v23
	ds_bpermute_b32 v6, v23, v5
	ds_bpermute_b32 v15, v23, v14
	;; [unrolled: 1-line block ×4, first 2 shown]
	s_waitcnt lgkmcnt(3)
	v_add_f32_e32 v6, v5, v6
	s_waitcnt lgkmcnt(2)
	v_dual_add_f32 v19, v3, v22 :: v_dual_add_f32 v14, v14, v15
	ds_bpermute_b32 v3, v23, v4
	v_add_f32_e32 v17, v13, v20
	ds_bpermute_b32 v13, v23, v16
	ds_bpermute_b32 v22, v23, v19
	s_waitcnt lgkmcnt(4)
	v_add_f32_e32 v11, v12, v11
	ds_bpermute_b32 v20, v23, v17
	v_xor_b32_e32 v23, 1, v2
	s_delay_alu instid0(VALU_DEP_1) | instskip(SKIP_3) | instid1(VALU_DEP_2)
	v_cmp_gt_i32_e32 vcc_lo, 32, v23
	v_cndmask_b32_e32 v2, v2, v23, vcc_lo
	v_cmp_eq_u32_e32 vcc_lo, 15, v0
	s_waitcnt lgkmcnt(3)
	v_dual_add_f32 v2, v4, v3 :: v_dual_lshlrev_b32 v23, 2, v2
	s_waitcnt lgkmcnt(2)
	v_add_f32_e32 v13, v16, v13
	v_add_f32_e32 v3, v18, v21
	s_waitcnt lgkmcnt(0)
	v_add_f32_e32 v15, v17, v20
	v_add_f32_e32 v5, v19, v22
	ds_bpermute_b32 v4, v23, v2
	ds_bpermute_b32 v12, v23, v6
	;; [unrolled: 1-line block ×8, first 2 shown]
	s_and_b32 exec_lo, exec_lo, vcc_lo
	s_cbranch_execz .LBB81_29
; %bb.25:
	s_load_b64 s[2:3], s[0:1], 0x38
	v_cmp_eq_f32_e32 vcc_lo, 0, v9
	v_cmp_eq_f32_e64 s0, 0, v10
	s_waitcnt lgkmcnt(0)
	v_add_f32_e32 v4, v2, v4
	v_dual_add_f32 v12, v6, v12 :: v_dual_add_f32 v5, v5, v17
	v_dual_add_f32 v0, v11, v18 :: v_dual_add_f32 v11, v13, v19
	v_add_f32_e32 v2, v14, v20
	v_add_f32_e32 v6, v15, v21
	;; [unrolled: 1-line block ×3, first 2 shown]
	s_and_b32 s0, vcc_lo, s0
	s_delay_alu instid0(SALU_CYCLE_1) | instskip(NEXT) | instid1(SALU_CYCLE_1)
	s_and_saveexec_b32 s1, s0
	s_xor_b32 s0, exec_lo, s1
	s_cbranch_execz .LBB81_27
; %bb.26:
	v_dual_mul_f32 v14, v12, v7 :: v_dual_lshlrev_b32 v17, 2, v1
	v_mul_f32_e64 v15, v11, -v8
	v_mul_f32_e64 v13, v12, -v8
	v_mul_f32_e32 v16, v11, v7
	s_delay_alu instid0(VALU_DEP_4) | instskip(SKIP_1) | instid1(VALU_DEP_4)
	v_ashrrev_i32_e32 v18, 31, v17
	v_mul_f32_e64 v9, v6, -v8
	v_dual_mul_f32 v10, v6, v7 :: v_dual_fmac_f32 v13, v7, v4
	v_mul_f32_e64 v11, v5, -v8
	s_delay_alu instid0(VALU_DEP_4) | instskip(SKIP_2) | instid1(VALU_DEP_4)
	v_lshlrev_b64 v[17:18], 3, v[17:18]
	v_dual_fmac_f32 v15, v7, v0 :: v_dual_mul_f32 v12, v5, v7
	v_dual_fmac_f32 v14, v8, v4 :: v_dual_fmac_f32 v9, v7, v2
	v_dual_fmac_f32 v16, v8, v0 :: v_dual_fmac_f32 v11, v7, v3
	s_delay_alu instid0(VALU_DEP_4)
	v_add_co_u32 v17, vcc_lo, s2, v17
	v_add_co_ci_u32_e32 v18, vcc_lo, s3, v18, vcc_lo
	v_fmac_f32_e32 v10, v8, v2
	v_fmac_f32_e32 v12, v8, v3
	s_clause 0x1
	global_store_b128 v[17:18], v[13:16], off
	global_store_b128 v[17:18], v[9:12], off offset:16
                                        ; implicit-def: $vgpr7
                                        ; implicit-def: $vgpr8
                                        ; implicit-def: $vgpr9
                                        ; implicit-def: $vgpr10
                                        ; implicit-def: $vgpr1
                                        ; implicit-def: $vgpr4
                                        ; implicit-def: $vgpr12
                                        ; implicit-def: $vgpr0
                                        ; implicit-def: $vgpr11
                                        ; implicit-def: $vgpr2
                                        ; implicit-def: $vgpr6
                                        ; implicit-def: $vgpr3
                                        ; implicit-def: $vgpr5
.LBB81_27:
	s_and_not1_saveexec_b32 s0, s0
	s_cbranch_execz .LBB81_29
; %bb.28:
	v_dual_mul_f32 v22, v12, v7 :: v_dual_lshlrev_b32 v13, 2, v1
	v_mul_f32_e64 v1, v12, -v8
	v_mul_f32_e64 v12, v11, -v8
	v_mul_f32_e32 v26, v6, v7
	s_delay_alu instid0(VALU_DEP_4) | instskip(NEXT) | instid1(VALU_DEP_4)
	v_ashrrev_i32_e32 v14, 31, v13
	v_fmac_f32_e32 v1, v7, v4
	s_delay_alu instid0(VALU_DEP_4) | instskip(NEXT) | instid1(VALU_DEP_4)
	v_fmac_f32_e32 v12, v7, v0
	v_fmac_f32_e32 v26, v8, v2
	s_delay_alu instid0(VALU_DEP_4) | instskip(NEXT) | instid1(VALU_DEP_1)
	v_lshlrev_b64 v[13:14], 3, v[13:14]
	v_add_co_u32 v29, vcc_lo, s2, v13
	s_delay_alu instid0(VALU_DEP_2)
	v_add_co_ci_u32_e32 v30, vcc_lo, s3, v14, vcc_lo
	s_clause 0x1
	global_load_b128 v[13:16], v[29:30], off
	global_load_b128 v[17:20], v[29:30], off offset:16
	v_mul_f32_e32 v24, v11, v7
	v_mul_f32_e64 v11, v6, -v8
	v_mul_f32_e64 v6, v5, -v8
	s_delay_alu instid0(VALU_DEP_2) | instskip(SKIP_1) | instid1(VALU_DEP_3)
	v_dual_mul_f32 v28, v5, v7 :: v_dual_fmac_f32 v11, v7, v2
	v_fmac_f32_e32 v22, v8, v4
	v_fmac_f32_e32 v6, v7, v3
	s_waitcnt vmcnt(1)
	s_delay_alu instid0(VALU_DEP_3)
	v_dual_fmac_f32 v28, v8, v3 :: v_dual_fmac_f32 v1, v9, v13
	s_waitcnt vmcnt(0)
	v_dual_fmac_f32 v11, v9, v17 :: v_dual_fmac_f32 v24, v8, v0
	v_fmac_f32_e32 v22, v10, v13
	v_fmac_f32_e32 v12, v9, v15
	;; [unrolled: 1-line block ×6, first 2 shown]
	v_fma_f32 v21, -v10, v14, v1
	v_fmac_f32_e32 v22, v9, v14
	v_fma_f32 v23, -v10, v16, v12
	v_fmac_f32_e32 v24, v9, v16
	;; [unrolled: 2-line block ×4, first 2 shown]
	s_clause 0x1
	global_store_b128 v[29:30], v[21:24], off
	global_store_b128 v[29:30], v[25:28], off offset:16
.LBB81_29:
	s_nop 0
	s_sendmsg sendmsg(MSG_DEALLOC_VGPRS)
	s_endpgm
	.section	.rodata,"a",@progbits
	.p2align	6, 0x0
	.amdhsa_kernel _ZN9rocsparseL19gebsrmvn_4xn_kernelILj128ELj2ELj16E21rocsparse_complex_numIfEEEvi20rocsparse_direction_NS_24const_host_device_scalarIT2_EEPKiS8_PKS5_SA_S6_PS5_21rocsparse_index_base_b
		.amdhsa_group_segment_fixed_size 0
		.amdhsa_private_segment_fixed_size 0
		.amdhsa_kernarg_size 72
		.amdhsa_user_sgpr_count 15
		.amdhsa_user_sgpr_dispatch_ptr 0
		.amdhsa_user_sgpr_queue_ptr 0
		.amdhsa_user_sgpr_kernarg_segment_ptr 1
		.amdhsa_user_sgpr_dispatch_id 0
		.amdhsa_user_sgpr_private_segment_size 0
		.amdhsa_wavefront_size32 1
		.amdhsa_uses_dynamic_stack 0
		.amdhsa_enable_private_segment 0
		.amdhsa_system_sgpr_workgroup_id_x 1
		.amdhsa_system_sgpr_workgroup_id_y 0
		.amdhsa_system_sgpr_workgroup_id_z 0
		.amdhsa_system_sgpr_workgroup_info 0
		.amdhsa_system_vgpr_workitem_id 0
		.amdhsa_next_free_vgpr 40
		.amdhsa_next_free_sgpr 16
		.amdhsa_reserve_vcc 1
		.amdhsa_float_round_mode_32 0
		.amdhsa_float_round_mode_16_64 0
		.amdhsa_float_denorm_mode_32 3
		.amdhsa_float_denorm_mode_16_64 3
		.amdhsa_dx10_clamp 1
		.amdhsa_ieee_mode 1
		.amdhsa_fp16_overflow 0
		.amdhsa_workgroup_processor_mode 1
		.amdhsa_memory_ordered 1
		.amdhsa_forward_progress 0
		.amdhsa_shared_vgpr_count 0
		.amdhsa_exception_fp_ieee_invalid_op 0
		.amdhsa_exception_fp_denorm_src 0
		.amdhsa_exception_fp_ieee_div_zero 0
		.amdhsa_exception_fp_ieee_overflow 0
		.amdhsa_exception_fp_ieee_underflow 0
		.amdhsa_exception_fp_ieee_inexact 0
		.amdhsa_exception_int_div_zero 0
	.end_amdhsa_kernel
	.section	.text._ZN9rocsparseL19gebsrmvn_4xn_kernelILj128ELj2ELj16E21rocsparse_complex_numIfEEEvi20rocsparse_direction_NS_24const_host_device_scalarIT2_EEPKiS8_PKS5_SA_S6_PS5_21rocsparse_index_base_b,"axG",@progbits,_ZN9rocsparseL19gebsrmvn_4xn_kernelILj128ELj2ELj16E21rocsparse_complex_numIfEEEvi20rocsparse_direction_NS_24const_host_device_scalarIT2_EEPKiS8_PKS5_SA_S6_PS5_21rocsparse_index_base_b,comdat
.Lfunc_end81:
	.size	_ZN9rocsparseL19gebsrmvn_4xn_kernelILj128ELj2ELj16E21rocsparse_complex_numIfEEEvi20rocsparse_direction_NS_24const_host_device_scalarIT2_EEPKiS8_PKS5_SA_S6_PS5_21rocsparse_index_base_b, .Lfunc_end81-_ZN9rocsparseL19gebsrmvn_4xn_kernelILj128ELj2ELj16E21rocsparse_complex_numIfEEEvi20rocsparse_direction_NS_24const_host_device_scalarIT2_EEPKiS8_PKS5_SA_S6_PS5_21rocsparse_index_base_b
                                        ; -- End function
	.section	.AMDGPU.csdata,"",@progbits
; Kernel info:
; codeLenInByte = 2376
; NumSgprs: 18
; NumVgprs: 40
; ScratchSize: 0
; MemoryBound: 0
; FloatMode: 240
; IeeeMode: 1
; LDSByteSize: 0 bytes/workgroup (compile time only)
; SGPRBlocks: 2
; VGPRBlocks: 4
; NumSGPRsForWavesPerEU: 18
; NumVGPRsForWavesPerEU: 40
; Occupancy: 16
; WaveLimiterHint : 1
; COMPUTE_PGM_RSRC2:SCRATCH_EN: 0
; COMPUTE_PGM_RSRC2:USER_SGPR: 15
; COMPUTE_PGM_RSRC2:TRAP_HANDLER: 0
; COMPUTE_PGM_RSRC2:TGID_X_EN: 1
; COMPUTE_PGM_RSRC2:TGID_Y_EN: 0
; COMPUTE_PGM_RSRC2:TGID_Z_EN: 0
; COMPUTE_PGM_RSRC2:TIDIG_COMP_CNT: 0
	.section	.text._ZN9rocsparseL19gebsrmvn_4xn_kernelILj128ELj2ELj32E21rocsparse_complex_numIfEEEvi20rocsparse_direction_NS_24const_host_device_scalarIT2_EEPKiS8_PKS5_SA_S6_PS5_21rocsparse_index_base_b,"axG",@progbits,_ZN9rocsparseL19gebsrmvn_4xn_kernelILj128ELj2ELj32E21rocsparse_complex_numIfEEEvi20rocsparse_direction_NS_24const_host_device_scalarIT2_EEPKiS8_PKS5_SA_S6_PS5_21rocsparse_index_base_b,comdat
	.globl	_ZN9rocsparseL19gebsrmvn_4xn_kernelILj128ELj2ELj32E21rocsparse_complex_numIfEEEvi20rocsparse_direction_NS_24const_host_device_scalarIT2_EEPKiS8_PKS5_SA_S6_PS5_21rocsparse_index_base_b ; -- Begin function _ZN9rocsparseL19gebsrmvn_4xn_kernelILj128ELj2ELj32E21rocsparse_complex_numIfEEEvi20rocsparse_direction_NS_24const_host_device_scalarIT2_EEPKiS8_PKS5_SA_S6_PS5_21rocsparse_index_base_b
	.p2align	8
	.type	_ZN9rocsparseL19gebsrmvn_4xn_kernelILj128ELj2ELj32E21rocsparse_complex_numIfEEEvi20rocsparse_direction_NS_24const_host_device_scalarIT2_EEPKiS8_PKS5_SA_S6_PS5_21rocsparse_index_base_b,@function
_ZN9rocsparseL19gebsrmvn_4xn_kernelILj128ELj2ELj32E21rocsparse_complex_numIfEEEvi20rocsparse_direction_NS_24const_host_device_scalarIT2_EEPKiS8_PKS5_SA_S6_PS5_21rocsparse_index_base_b: ; @_ZN9rocsparseL19gebsrmvn_4xn_kernelILj128ELj2ELj32E21rocsparse_complex_numIfEEEvi20rocsparse_direction_NS_24const_host_device_scalarIT2_EEPKiS8_PKS5_SA_S6_PS5_21rocsparse_index_base_b
; %bb.0:
	s_clause 0x2
	s_load_b64 s[12:13], s[0:1], 0x40
	s_load_b64 s[4:5], s[0:1], 0x8
	;; [unrolled: 1-line block ×3, first 2 shown]
	s_waitcnt lgkmcnt(0)
	s_bitcmp1_b32 s13, 0
	v_mov_b32_e32 v7, s4
	s_cselect_b32 s6, -1, 0
	s_delay_alu instid0(SALU_CYCLE_1)
	s_and_b32 vcc_lo, exec_lo, s6
	s_xor_b32 s6, s6, -1
	s_cbranch_vccz .LBB82_15
; %bb.1:
	v_cndmask_b32_e64 v1, 0, 1, s6
	v_mov_b32_e32 v8, s5
	s_and_not1_b32 vcc_lo, exec_lo, s6
	s_cbranch_vccz .LBB82_16
.LBB82_2:
	s_delay_alu instid0(VALU_DEP_2)
	v_cmp_ne_u32_e32 vcc_lo, 1, v1
	v_mov_b32_e32 v9, s2
	s_cbranch_vccz .LBB82_17
.LBB82_3:
	v_cmp_ne_u32_e32 vcc_lo, 1, v1
	v_mov_b32_e32 v10, s3
	s_cbranch_vccnz .LBB82_5
.LBB82_4:
	v_dual_mov_b32 v1, s2 :: v_dual_mov_b32 v2, s3
	flat_load_b32 v10, v[1:2] offset:4
.LBB82_5:
	s_waitcnt vmcnt(0) lgkmcnt(0)
	v_cmp_eq_f32_e32 vcc_lo, 0, v7
	v_cmp_eq_f32_e64 s2, 0, v8
	s_delay_alu instid0(VALU_DEP_1)
	s_and_b32 s4, vcc_lo, s2
	s_mov_b32 s2, -1
	s_and_saveexec_b32 s3, s4
; %bb.6:
	v_cmp_neq_f32_e32 vcc_lo, 1.0, v9
	v_cmp_neq_f32_e64 s2, 0, v10
	s_delay_alu instid0(VALU_DEP_1) | instskip(NEXT) | instid1(SALU_CYCLE_1)
	s_or_b32 s2, vcc_lo, s2
	s_or_not1_b32 s2, s2, exec_lo
; %bb.7:
	s_or_b32 exec_lo, exec_lo, s3
	s_and_saveexec_b32 s3, s2
	s_cbranch_execz .LBB82_29
; %bb.8:
	s_load_b64 s[2:3], s[0:1], 0x0
	v_lshrrev_b32_e32 v1, 5, v0
	s_delay_alu instid0(VALU_DEP_1) | instskip(SKIP_1) | instid1(VALU_DEP_1)
	v_lshl_or_b32 v1, s15, 2, v1
	s_waitcnt lgkmcnt(0)
	v_cmp_gt_i32_e32 vcc_lo, s2, v1
	s_and_b32 exec_lo, exec_lo, vcc_lo
	s_cbranch_execz .LBB82_29
; %bb.9:
	s_load_b256 s[4:11], s[0:1], 0x10
	v_ashrrev_i32_e32 v2, 31, v1
	v_and_b32_e32 v0, 31, v0
	s_cmp_lg_u32 s3, 0
	s_delay_alu instid0(VALU_DEP_2) | instskip(SKIP_1) | instid1(VALU_DEP_1)
	v_lshlrev_b64 v[2:3], 2, v[1:2]
	s_waitcnt lgkmcnt(0)
	v_add_co_u32 v2, vcc_lo, s4, v2
	s_delay_alu instid0(VALU_DEP_2) | instskip(SKIP_4) | instid1(VALU_DEP_2)
	v_add_co_ci_u32_e32 v3, vcc_lo, s5, v3, vcc_lo
	global_load_b64 v[2:3], v[2:3], off
	s_waitcnt vmcnt(0)
	v_subrev_nc_u32_e32 v2, s12, v2
	v_subrev_nc_u32_e32 v19, s12, v3
	v_add_nc_u32_e32 v2, v2, v0
	s_delay_alu instid0(VALU_DEP_1)
	v_cmp_lt_i32_e64 s2, v2, v19
	s_cbranch_scc0 .LBB82_18
; %bb.10:
	v_dual_mov_b32 v11, 0 :: v_dual_mov_b32 v16, 0
	v_dual_mov_b32 v15, 0 :: v_dual_mov_b32 v12, 0
	;; [unrolled: 1-line block ×4, first 2 shown]
	s_mov_b32 s3, 0
	s_and_saveexec_b32 s4, s2
	s_cbranch_execz .LBB82_14
; %bb.11:
	v_dual_mov_b32 v4, 0 :: v_dual_lshlrev_b32 v3, 3, v2
	v_mov_b32_e32 v5, v2
	s_mov_b32 s5, 0
	s_delay_alu instid0(VALU_DEP_2)
	v_mov_b32_e32 v16, v4
	v_mov_b32_e32 v11, v4
	;; [unrolled: 1-line block ×8, first 2 shown]
.LBB82_12:                              ; =>This Inner Loop Header: Depth=1
	v_ashrrev_i32_e32 v6, 31, v5
	s_delay_alu instid0(VALU_DEP_1) | instskip(NEXT) | instid1(VALU_DEP_1)
	v_lshlrev_b64 v[20:21], 2, v[5:6]
	v_add_co_u32 v20, vcc_lo, s6, v20
	s_delay_alu instid0(VALU_DEP_2) | instskip(SKIP_2) | instid1(VALU_DEP_1)
	v_add_co_ci_u32_e32 v21, vcc_lo, s7, v21, vcc_lo
	global_load_b32 v6, v[20:21], off
	v_lshlrev_b64 v[20:21], 3, v[3:4]
	v_add_co_u32 v36, vcc_lo, s8, v20
	s_delay_alu instid0(VALU_DEP_2)
	v_add_co_ci_u32_e32 v37, vcc_lo, s9, v21, vcc_lo
	s_clause 0x1
	global_load_b128 v[20:23], v[36:37], off offset:16
	global_load_b128 v[24:27], v[36:37], off
	s_waitcnt vmcnt(2)
	v_subrev_nc_u32_e32 v6, s12, v6
	s_delay_alu instid0(VALU_DEP_1) | instskip(NEXT) | instid1(VALU_DEP_1)
	v_dual_mov_b32 v29, v4 :: v_dual_lshlrev_b32 v28, 1, v6
	v_lshlrev_b64 v[28:29], 3, v[28:29]
	s_delay_alu instid0(VALU_DEP_1) | instskip(NEXT) | instid1(VALU_DEP_2)
	v_add_co_u32 v28, vcc_lo, s10, v28
	v_add_co_ci_u32_e32 v29, vcc_lo, s11, v29, vcc_lo
	global_load_b128 v[28:31], v[28:29], off
	s_clause 0x1
	global_load_b128 v[32:35], v[36:37], off offset:32
	global_load_b128 v[36:39], v[36:37], off offset:48
	v_add_nc_u32_e32 v3, 0x100, v3
	s_waitcnt vmcnt(2)
	v_dual_fmac_f32 v18, v26, v28 :: v_dual_add_nc_u32 v5, 32, v5
	v_fmac_f32_e32 v16, v24, v28
	v_fmac_f32_e32 v14, v27, v28
	;; [unrolled: 1-line block ×3, first 2 shown]
	s_delay_alu instid0(VALU_DEP_4)
	v_cmp_ge_i32_e32 vcc_lo, v5, v19
	v_fma_f32 v18, -v27, v29, v18
	v_fma_f32 v6, -v25, v29, v16
	v_dual_fmac_f32 v14, v26, v29 :: v_dual_fmac_f32 v13, v21, v28
	v_fmac_f32_e32 v15, v22, v28
	v_fmac_f32_e32 v11, v24, v29
	s_waitcnt vmcnt(1)
	v_fmac_f32_e32 v6, v32, v30
	v_fmac_f32_e32 v14, v35, v30
	v_dual_fmac_f32 v12, v23, v28 :: v_dual_fmac_f32 v13, v20, v29
	v_fmac_f32_e32 v17, v20, v28
	v_fma_f32 v15, -v23, v29, v15
	s_delay_alu instid0(VALU_DEP_4) | instskip(NEXT) | instid1(VALU_DEP_4)
	v_dual_fmac_f32 v11, v33, v30 :: v_dual_fmac_f32 v14, v34, v31
	v_fmac_f32_e32 v12, v22, v29
	s_delay_alu instid0(VALU_DEP_4) | instskip(SKIP_4) | instid1(VALU_DEP_3)
	v_fma_f32 v17, -v21, v29, v17
	s_waitcnt vmcnt(0)
	v_fmac_f32_e32 v13, v37, v30
	v_dual_fmac_f32 v18, v34, v30 :: v_dual_fmac_f32 v11, v32, v31
	v_fmac_f32_e32 v15, v38, v30
	v_dual_fmac_f32 v12, v39, v30 :: v_dual_fmac_f32 v13, v36, v31
	v_fmac_f32_e32 v17, v36, v30
	v_fma_f32 v16, -v33, v31, v6
	v_fma_f32 v18, -v35, v31, v18
	s_delay_alu instid0(VALU_DEP_4) | instskip(SKIP_3) | instid1(SALU_CYCLE_1)
	v_fmac_f32_e32 v12, v38, v31
	v_fma_f32 v15, -v39, v31, v15
	v_fma_f32 v17, -v37, v31, v17
	s_or_b32 s5, vcc_lo, s5
	s_and_not1_b32 exec_lo, exec_lo, s5
	s_cbranch_execnz .LBB82_12
; %bb.13:
	s_or_b32 exec_lo, exec_lo, s5
.LBB82_14:
	s_delay_alu instid0(SALU_CYCLE_1) | instskip(NEXT) | instid1(SALU_CYCLE_1)
	s_or_b32 exec_lo, exec_lo, s4
	s_and_not1_b32 vcc_lo, exec_lo, s3
	s_cbranch_vccz .LBB82_19
	s_branch .LBB82_24
.LBB82_15:
	v_dual_mov_b32 v1, s4 :: v_dual_mov_b32 v2, s5
	flat_load_b32 v7, v[1:2]
	v_cndmask_b32_e64 v1, 0, 1, s6
	v_mov_b32_e32 v8, s5
	s_and_not1_b32 vcc_lo, exec_lo, s6
	s_cbranch_vccnz .LBB82_2
.LBB82_16:
	v_dual_mov_b32 v2, s4 :: v_dual_mov_b32 v3, s5
	flat_load_b32 v8, v[2:3] offset:4
	v_cmp_ne_u32_e32 vcc_lo, 1, v1
	v_mov_b32_e32 v9, s2
	s_cbranch_vccnz .LBB82_3
.LBB82_17:
	v_dual_mov_b32 v2, s2 :: v_dual_mov_b32 v3, s3
	flat_load_b32 v9, v[2:3]
	v_cmp_ne_u32_e32 vcc_lo, 1, v1
	v_mov_b32_e32 v10, s3
	s_cbranch_vccz .LBB82_4
	s_branch .LBB82_5
.LBB82_18:
                                        ; implicit-def: $vgpr11
                                        ; implicit-def: $vgpr16
                                        ; implicit-def: $vgpr15
                                        ; implicit-def: $vgpr12
                                        ; implicit-def: $vgpr17
                                        ; implicit-def: $vgpr13
                                        ; implicit-def: $vgpr18
                                        ; implicit-def: $vgpr14
.LBB82_19:
	v_dual_mov_b32 v11, 0 :: v_dual_mov_b32 v16, 0
	v_dual_mov_b32 v15, 0 :: v_dual_mov_b32 v12, 0
	;; [unrolled: 1-line block ×4, first 2 shown]
	s_and_saveexec_b32 s3, s2
	s_cbranch_execz .LBB82_23
; %bb.20:
	v_dual_mov_b32 v5, 0 :: v_dual_lshlrev_b32 v4, 3, v2
	s_mov_b32 s2, 0
	s_delay_alu instid0(VALU_DEP_1)
	v_mov_b32_e32 v11, v5
	v_mov_b32_e32 v16, v5
	;; [unrolled: 1-line block ×8, first 2 shown]
.LBB82_21:                              ; =>This Inner Loop Header: Depth=1
	v_ashrrev_i32_e32 v3, 31, v2
	s_delay_alu instid0(VALU_DEP_1) | instskip(NEXT) | instid1(VALU_DEP_1)
	v_lshlrev_b64 v[20:21], 2, v[2:3]
	v_add_co_u32 v20, vcc_lo, s6, v20
	s_delay_alu instid0(VALU_DEP_2) | instskip(SKIP_2) | instid1(VALU_DEP_1)
	v_add_co_ci_u32_e32 v21, vcc_lo, s7, v21, vcc_lo
	global_load_b32 v3, v[20:21], off
	v_lshlrev_b64 v[20:21], 3, v[4:5]
	v_add_co_u32 v32, vcc_lo, s8, v20
	s_delay_alu instid0(VALU_DEP_2)
	v_add_co_ci_u32_e32 v33, vcc_lo, s9, v21, vcc_lo
	s_clause 0x3
	global_load_b128 v[20:23], v[32:33], off offset:48
	global_load_b128 v[24:27], v[32:33], off offset:32
	;; [unrolled: 1-line block ×3, first 2 shown]
	global_load_b128 v[32:35], v[32:33], off
	s_waitcnt vmcnt(4)
	v_subrev_nc_u32_e32 v3, s12, v3
	s_delay_alu instid0(VALU_DEP_1) | instskip(NEXT) | instid1(VALU_DEP_1)
	v_dual_mov_b32 v37, v5 :: v_dual_lshlrev_b32 v36, 1, v3
	v_lshlrev_b64 v[36:37], 3, v[36:37]
	s_delay_alu instid0(VALU_DEP_1) | instskip(NEXT) | instid1(VALU_DEP_2)
	v_add_co_u32 v36, vcc_lo, s10, v36
	v_add_co_ci_u32_e32 v37, vcc_lo, s11, v37, vcc_lo
	global_load_b128 v[36:39], v[36:37], off
	s_waitcnt vmcnt(0)
	v_dual_fmac_f32 v11, v33, v36 :: v_dual_add_nc_u32 v2, 32, v2
	v_add_nc_u32_e32 v4, 0x100, v4
	v_fmac_f32_e32 v13, v25, v36
	v_fmac_f32_e32 v14, v29, v36
	;; [unrolled: 1-line block ×9, first 2 shown]
	v_fma_f32 v6, -v29, v37, v18
	v_fmac_f32_e32 v17, v24, v36
	v_fma_f32 v3, -v33, v37, v16
	v_fmac_f32_e32 v14, v31, v38
	;; [unrolled: 2-line block ×3, first 2 shown]
	v_fma_f32 v17, -v25, v37, v17
	v_dual_fmac_f32 v12, v21, v36 :: v_dual_fmac_f32 v3, v34, v38
	v_fmac_f32_e32 v13, v27, v38
	v_fmac_f32_e32 v15, v22, v38
	s_delay_alu instid0(VALU_DEP_3)
	v_dual_fmac_f32 v17, v26, v38 :: v_dual_fmac_f32 v12, v20, v37
	v_cmp_ge_i32_e32 vcc_lo, v2, v19
	v_fma_f32 v16, -v35, v39, v3
	v_fmac_f32_e32 v11, v34, v39
	v_fma_f32 v18, -v31, v39, v6
	v_fmac_f32_e32 v12, v23, v38
	v_fmac_f32_e32 v14, v30, v39
	v_fma_f32 v17, -v27, v39, v17
	v_fmac_f32_e32 v13, v26, v39
	v_fma_f32 v15, -v23, v39, v15
	v_fmac_f32_e32 v12, v22, v39
	s_or_b32 s2, vcc_lo, s2
	s_delay_alu instid0(SALU_CYCLE_1)
	s_and_not1_b32 exec_lo, exec_lo, s2
	s_cbranch_execnz .LBB82_21
; %bb.22:
	s_or_b32 exec_lo, exec_lo, s2
.LBB82_23:
	s_delay_alu instid0(SALU_CYCLE_1)
	s_or_b32 exec_lo, exec_lo, s3
.LBB82_24:
	v_mbcnt_lo_u32_b32 v2, -1, 0
	s_delay_alu instid0(VALU_DEP_1) | instskip(SKIP_1) | instid1(VALU_DEP_2)
	v_xor_b32_e32 v3, 16, v2
	v_xor_b32_e32 v23, 8, v2
	v_cmp_gt_i32_e32 vcc_lo, 32, v3
	v_cndmask_b32_e32 v3, v2, v3, vcc_lo
	s_delay_alu instid0(VALU_DEP_3) | instskip(NEXT) | instid1(VALU_DEP_2)
	v_cmp_gt_i32_e32 vcc_lo, 32, v23
	v_lshlrev_b32_e32 v3, 2, v3
	ds_bpermute_b32 v6, v3, v18
	s_waitcnt lgkmcnt(0)
	v_add_f32_e32 v6, v18, v6
	ds_bpermute_b32 v4, v3, v16
	ds_bpermute_b32 v5, v3, v11
	;; [unrolled: 1-line block ×7, first 2 shown]
	s_waitcnt lgkmcnt(6)
	v_dual_cndmask_b32 v23, v2, v23 :: v_dual_add_f32 v4, v16, v4
	s_waitcnt lgkmcnt(5)
	v_add_f32_e32 v5, v11, v5
	s_waitcnt lgkmcnt(2)
	v_add_f32_e32 v15, v15, v22
	v_dual_add_f32 v11, v14, v19 :: v_dual_add_f32 v14, v17, v20
	v_lshlrev_b32_e32 v23, 2, v23
	s_waitcnt lgkmcnt(0)
	v_add_f32_e32 v3, v12, v3
	ds_bpermute_b32 v12, v23, v4
	s_waitcnt lgkmcnt(0)
	v_add_f32_e32 v4, v4, v12
	ds_bpermute_b32 v17, v23, v6
	v_add_f32_e32 v13, v13, v21
	ds_bpermute_b32 v19, v23, v14
	ds_bpermute_b32 v22, v23, v3
	;; [unrolled: 1-line block ×3, first 2 shown]
	s_waitcnt lgkmcnt(3)
	v_add_f32_e32 v6, v6, v17
	ds_bpermute_b32 v21, v23, v15
	s_waitcnt lgkmcnt(3)
	v_add_f32_e32 v12, v14, v19
	ds_bpermute_b32 v16, v23, v5
	;; [unrolled: 3-line block ×3, first 2 shown]
	v_xor_b32_e32 v23, 4, v2
	s_waitcnt lgkmcnt(1)
	v_add_f32_e32 v5, v5, v16
	s_delay_alu instid0(VALU_DEP_2) | instskip(SKIP_1) | instid1(VALU_DEP_1)
	v_cmp_gt_i32_e32 vcc_lo, 32, v23
	v_cndmask_b32_e32 v23, v2, v23, vcc_lo
	v_lshlrev_b32_e32 v23, 2, v23
	s_waitcnt lgkmcnt(0)
	v_add_f32_e32 v11, v11, v18
	ds_bpermute_b32 v16, v23, v5
	ds_bpermute_b32 v21, v23, v14
	;; [unrolled: 1-line block ×3, first 2 shown]
	s_waitcnt lgkmcnt(0)
	v_dual_add_f32 v5, v5, v16 :: v_dual_add_f32 v16, v11, v18
	v_add_f32_e32 v18, v14, v21
	ds_bpermute_b32 v15, v23, v4
	v_add_f32_e32 v3, v3, v22
	ds_bpermute_b32 v19, v23, v12
	ds_bpermute_b32 v17, v23, v6
	;; [unrolled: 1-line block ×3, first 2 shown]
	s_waitcnt lgkmcnt(3)
	v_dual_add_f32 v4, v4, v15 :: v_dual_add_f32 v13, v13, v20
	s_waitcnt lgkmcnt(1)
	v_dual_add_f32 v12, v12, v19 :: v_dual_add_f32 v15, v6, v17
	ds_bpermute_b32 v20, v23, v13
	v_xor_b32_e32 v23, 2, v2
	s_waitcnt lgkmcnt(1)
	v_add_f32_e32 v19, v3, v22
	s_delay_alu instid0(VALU_DEP_2) | instskip(SKIP_1) | instid1(VALU_DEP_1)
	v_cmp_gt_i32_e32 vcc_lo, 32, v23
	v_cndmask_b32_e32 v23, v2, v23, vcc_lo
	v_lshlrev_b32_e32 v23, 2, v23
	s_waitcnt lgkmcnt(0)
	v_add_f32_e32 v17, v13, v20
	ds_bpermute_b32 v3, v23, v4
	ds_bpermute_b32 v6, v23, v5
	;; [unrolled: 1-line block ×8, first 2 shown]
	v_xor_b32_e32 v23, 1, v2
	s_delay_alu instid0(VALU_DEP_1) | instskip(SKIP_4) | instid1(VALU_DEP_3)
	v_cmp_gt_i32_e32 vcc_lo, 32, v23
	v_cndmask_b32_e32 v2, v2, v23, vcc_lo
	v_cmp_eq_u32_e32 vcc_lo, 31, v0
	s_waitcnt lgkmcnt(5)
	v_dual_add_f32 v6, v5, v6 :: v_dual_add_f32 v11, v15, v11
	v_lshlrev_b32_e32 v23, 2, v2
	s_waitcnt lgkmcnt(3)
	v_add_f32_e32 v14, v12, v14
	v_add_f32_e32 v2, v4, v3
	;; [unrolled: 1-line block ×3, first 2 shown]
	s_waitcnt lgkmcnt(2)
	v_add_f32_e32 v15, v17, v20
	s_waitcnt lgkmcnt(1)
	v_add_f32_e32 v3, v18, v21
	;; [unrolled: 2-line block ×3, first 2 shown]
	ds_bpermute_b32 v4, v23, v2
	ds_bpermute_b32 v12, v23, v6
	;; [unrolled: 1-line block ×8, first 2 shown]
	s_and_b32 exec_lo, exec_lo, vcc_lo
	s_cbranch_execz .LBB82_29
; %bb.25:
	s_load_b64 s[2:3], s[0:1], 0x38
	v_cmp_eq_f32_e32 vcc_lo, 0, v9
	v_cmp_eq_f32_e64 s0, 0, v10
	s_waitcnt lgkmcnt(0)
	v_add_f32_e32 v4, v2, v4
	v_dual_add_f32 v12, v6, v12 :: v_dual_add_f32 v5, v5, v17
	v_dual_add_f32 v0, v11, v18 :: v_dual_add_f32 v11, v13, v19
	v_add_f32_e32 v2, v14, v20
	v_add_f32_e32 v6, v15, v21
	;; [unrolled: 1-line block ×3, first 2 shown]
	s_and_b32 s0, vcc_lo, s0
	s_delay_alu instid0(SALU_CYCLE_1) | instskip(NEXT) | instid1(SALU_CYCLE_1)
	s_and_saveexec_b32 s1, s0
	s_xor_b32 s0, exec_lo, s1
	s_cbranch_execz .LBB82_27
; %bb.26:
	v_dual_mul_f32 v14, v12, v7 :: v_dual_lshlrev_b32 v17, 2, v1
	v_mul_f32_e64 v15, v11, -v8
	v_mul_f32_e64 v13, v12, -v8
	v_mul_f32_e32 v16, v11, v7
	s_delay_alu instid0(VALU_DEP_4) | instskip(SKIP_1) | instid1(VALU_DEP_4)
	v_ashrrev_i32_e32 v18, 31, v17
	v_mul_f32_e64 v9, v6, -v8
	v_dual_mul_f32 v10, v6, v7 :: v_dual_fmac_f32 v13, v7, v4
	v_mul_f32_e64 v11, v5, -v8
	s_delay_alu instid0(VALU_DEP_4) | instskip(SKIP_2) | instid1(VALU_DEP_4)
	v_lshlrev_b64 v[17:18], 3, v[17:18]
	v_dual_fmac_f32 v15, v7, v0 :: v_dual_mul_f32 v12, v5, v7
	v_dual_fmac_f32 v14, v8, v4 :: v_dual_fmac_f32 v9, v7, v2
	v_dual_fmac_f32 v16, v8, v0 :: v_dual_fmac_f32 v11, v7, v3
	s_delay_alu instid0(VALU_DEP_4)
	v_add_co_u32 v17, vcc_lo, s2, v17
	v_add_co_ci_u32_e32 v18, vcc_lo, s3, v18, vcc_lo
	v_fmac_f32_e32 v10, v8, v2
	v_fmac_f32_e32 v12, v8, v3
	s_clause 0x1
	global_store_b128 v[17:18], v[13:16], off
	global_store_b128 v[17:18], v[9:12], off offset:16
                                        ; implicit-def: $vgpr7
                                        ; implicit-def: $vgpr8
                                        ; implicit-def: $vgpr9
                                        ; implicit-def: $vgpr10
                                        ; implicit-def: $vgpr1
                                        ; implicit-def: $vgpr4
                                        ; implicit-def: $vgpr12
                                        ; implicit-def: $vgpr0
                                        ; implicit-def: $vgpr11
                                        ; implicit-def: $vgpr2
                                        ; implicit-def: $vgpr6
                                        ; implicit-def: $vgpr3
                                        ; implicit-def: $vgpr5
.LBB82_27:
	s_and_not1_saveexec_b32 s0, s0
	s_cbranch_execz .LBB82_29
; %bb.28:
	v_dual_mul_f32 v22, v12, v7 :: v_dual_lshlrev_b32 v13, 2, v1
	v_mul_f32_e64 v1, v12, -v8
	v_mul_f32_e64 v12, v11, -v8
	v_mul_f32_e32 v26, v6, v7
	s_delay_alu instid0(VALU_DEP_4) | instskip(NEXT) | instid1(VALU_DEP_4)
	v_ashrrev_i32_e32 v14, 31, v13
	v_fmac_f32_e32 v1, v7, v4
	s_delay_alu instid0(VALU_DEP_4) | instskip(NEXT) | instid1(VALU_DEP_4)
	v_fmac_f32_e32 v12, v7, v0
	v_fmac_f32_e32 v26, v8, v2
	s_delay_alu instid0(VALU_DEP_4) | instskip(NEXT) | instid1(VALU_DEP_1)
	v_lshlrev_b64 v[13:14], 3, v[13:14]
	v_add_co_u32 v29, vcc_lo, s2, v13
	s_delay_alu instid0(VALU_DEP_2)
	v_add_co_ci_u32_e32 v30, vcc_lo, s3, v14, vcc_lo
	s_clause 0x1
	global_load_b128 v[13:16], v[29:30], off
	global_load_b128 v[17:20], v[29:30], off offset:16
	v_mul_f32_e32 v24, v11, v7
	v_mul_f32_e64 v11, v6, -v8
	v_mul_f32_e64 v6, v5, -v8
	s_delay_alu instid0(VALU_DEP_2) | instskip(SKIP_1) | instid1(VALU_DEP_3)
	v_dual_mul_f32 v28, v5, v7 :: v_dual_fmac_f32 v11, v7, v2
	v_fmac_f32_e32 v22, v8, v4
	v_fmac_f32_e32 v6, v7, v3
	s_waitcnt vmcnt(1)
	s_delay_alu instid0(VALU_DEP_3)
	v_dual_fmac_f32 v28, v8, v3 :: v_dual_fmac_f32 v1, v9, v13
	s_waitcnt vmcnt(0)
	v_dual_fmac_f32 v11, v9, v17 :: v_dual_fmac_f32 v24, v8, v0
	v_fmac_f32_e32 v22, v10, v13
	v_fmac_f32_e32 v12, v9, v15
	;; [unrolled: 1-line block ×6, first 2 shown]
	v_fma_f32 v21, -v10, v14, v1
	v_fmac_f32_e32 v22, v9, v14
	v_fma_f32 v23, -v10, v16, v12
	v_fmac_f32_e32 v24, v9, v16
	;; [unrolled: 2-line block ×4, first 2 shown]
	s_clause 0x1
	global_store_b128 v[29:30], v[21:24], off
	global_store_b128 v[29:30], v[25:28], off offset:16
.LBB82_29:
	s_nop 0
	s_sendmsg sendmsg(MSG_DEALLOC_VGPRS)
	s_endpgm
	.section	.rodata,"a",@progbits
	.p2align	6, 0x0
	.amdhsa_kernel _ZN9rocsparseL19gebsrmvn_4xn_kernelILj128ELj2ELj32E21rocsparse_complex_numIfEEEvi20rocsparse_direction_NS_24const_host_device_scalarIT2_EEPKiS8_PKS5_SA_S6_PS5_21rocsparse_index_base_b
		.amdhsa_group_segment_fixed_size 0
		.amdhsa_private_segment_fixed_size 0
		.amdhsa_kernarg_size 72
		.amdhsa_user_sgpr_count 15
		.amdhsa_user_sgpr_dispatch_ptr 0
		.amdhsa_user_sgpr_queue_ptr 0
		.amdhsa_user_sgpr_kernarg_segment_ptr 1
		.amdhsa_user_sgpr_dispatch_id 0
		.amdhsa_user_sgpr_private_segment_size 0
		.amdhsa_wavefront_size32 1
		.amdhsa_uses_dynamic_stack 0
		.amdhsa_enable_private_segment 0
		.amdhsa_system_sgpr_workgroup_id_x 1
		.amdhsa_system_sgpr_workgroup_id_y 0
		.amdhsa_system_sgpr_workgroup_id_z 0
		.amdhsa_system_sgpr_workgroup_info 0
		.amdhsa_system_vgpr_workitem_id 0
		.amdhsa_next_free_vgpr 40
		.amdhsa_next_free_sgpr 16
		.amdhsa_reserve_vcc 1
		.amdhsa_float_round_mode_32 0
		.amdhsa_float_round_mode_16_64 0
		.amdhsa_float_denorm_mode_32 3
		.amdhsa_float_denorm_mode_16_64 3
		.amdhsa_dx10_clamp 1
		.amdhsa_ieee_mode 1
		.amdhsa_fp16_overflow 0
		.amdhsa_workgroup_processor_mode 1
		.amdhsa_memory_ordered 1
		.amdhsa_forward_progress 0
		.amdhsa_shared_vgpr_count 0
		.amdhsa_exception_fp_ieee_invalid_op 0
		.amdhsa_exception_fp_denorm_src 0
		.amdhsa_exception_fp_ieee_div_zero 0
		.amdhsa_exception_fp_ieee_overflow 0
		.amdhsa_exception_fp_ieee_underflow 0
		.amdhsa_exception_fp_ieee_inexact 0
		.amdhsa_exception_int_div_zero 0
	.end_amdhsa_kernel
	.section	.text._ZN9rocsparseL19gebsrmvn_4xn_kernelILj128ELj2ELj32E21rocsparse_complex_numIfEEEvi20rocsparse_direction_NS_24const_host_device_scalarIT2_EEPKiS8_PKS5_SA_S6_PS5_21rocsparse_index_base_b,"axG",@progbits,_ZN9rocsparseL19gebsrmvn_4xn_kernelILj128ELj2ELj32E21rocsparse_complex_numIfEEEvi20rocsparse_direction_NS_24const_host_device_scalarIT2_EEPKiS8_PKS5_SA_S6_PS5_21rocsparse_index_base_b,comdat
.Lfunc_end82:
	.size	_ZN9rocsparseL19gebsrmvn_4xn_kernelILj128ELj2ELj32E21rocsparse_complex_numIfEEEvi20rocsparse_direction_NS_24const_host_device_scalarIT2_EEPKiS8_PKS5_SA_S6_PS5_21rocsparse_index_base_b, .Lfunc_end82-_ZN9rocsparseL19gebsrmvn_4xn_kernelILj128ELj2ELj32E21rocsparse_complex_numIfEEEvi20rocsparse_direction_NS_24const_host_device_scalarIT2_EEPKiS8_PKS5_SA_S6_PS5_21rocsparse_index_base_b
                                        ; -- End function
	.section	.AMDGPU.csdata,"",@progbits
; Kernel info:
; codeLenInByte = 2512
; NumSgprs: 18
; NumVgprs: 40
; ScratchSize: 0
; MemoryBound: 0
; FloatMode: 240
; IeeeMode: 1
; LDSByteSize: 0 bytes/workgroup (compile time only)
; SGPRBlocks: 2
; VGPRBlocks: 4
; NumSGPRsForWavesPerEU: 18
; NumVGPRsForWavesPerEU: 40
; Occupancy: 16
; WaveLimiterHint : 1
; COMPUTE_PGM_RSRC2:SCRATCH_EN: 0
; COMPUTE_PGM_RSRC2:USER_SGPR: 15
; COMPUTE_PGM_RSRC2:TRAP_HANDLER: 0
; COMPUTE_PGM_RSRC2:TGID_X_EN: 1
; COMPUTE_PGM_RSRC2:TGID_Y_EN: 0
; COMPUTE_PGM_RSRC2:TGID_Z_EN: 0
; COMPUTE_PGM_RSRC2:TIDIG_COMP_CNT: 0
	.section	.text._ZN9rocsparseL19gebsrmvn_4xn_kernelILj128ELj2ELj64E21rocsparse_complex_numIfEEEvi20rocsparse_direction_NS_24const_host_device_scalarIT2_EEPKiS8_PKS5_SA_S6_PS5_21rocsparse_index_base_b,"axG",@progbits,_ZN9rocsparseL19gebsrmvn_4xn_kernelILj128ELj2ELj64E21rocsparse_complex_numIfEEEvi20rocsparse_direction_NS_24const_host_device_scalarIT2_EEPKiS8_PKS5_SA_S6_PS5_21rocsparse_index_base_b,comdat
	.globl	_ZN9rocsparseL19gebsrmvn_4xn_kernelILj128ELj2ELj64E21rocsparse_complex_numIfEEEvi20rocsparse_direction_NS_24const_host_device_scalarIT2_EEPKiS8_PKS5_SA_S6_PS5_21rocsparse_index_base_b ; -- Begin function _ZN9rocsparseL19gebsrmvn_4xn_kernelILj128ELj2ELj64E21rocsparse_complex_numIfEEEvi20rocsparse_direction_NS_24const_host_device_scalarIT2_EEPKiS8_PKS5_SA_S6_PS5_21rocsparse_index_base_b
	.p2align	8
	.type	_ZN9rocsparseL19gebsrmvn_4xn_kernelILj128ELj2ELj64E21rocsparse_complex_numIfEEEvi20rocsparse_direction_NS_24const_host_device_scalarIT2_EEPKiS8_PKS5_SA_S6_PS5_21rocsparse_index_base_b,@function
_ZN9rocsparseL19gebsrmvn_4xn_kernelILj128ELj2ELj64E21rocsparse_complex_numIfEEEvi20rocsparse_direction_NS_24const_host_device_scalarIT2_EEPKiS8_PKS5_SA_S6_PS5_21rocsparse_index_base_b: ; @_ZN9rocsparseL19gebsrmvn_4xn_kernelILj128ELj2ELj64E21rocsparse_complex_numIfEEEvi20rocsparse_direction_NS_24const_host_device_scalarIT2_EEPKiS8_PKS5_SA_S6_PS5_21rocsparse_index_base_b
; %bb.0:
	s_clause 0x2
	s_load_b64 s[12:13], s[0:1], 0x40
	s_load_b64 s[4:5], s[0:1], 0x8
	;; [unrolled: 1-line block ×3, first 2 shown]
	s_waitcnt lgkmcnt(0)
	s_bitcmp1_b32 s13, 0
	v_mov_b32_e32 v7, s4
	s_cselect_b32 s6, -1, 0
	s_delay_alu instid0(SALU_CYCLE_1)
	s_and_b32 vcc_lo, exec_lo, s6
	s_xor_b32 s6, s6, -1
	s_cbranch_vccz .LBB83_15
; %bb.1:
	v_cndmask_b32_e64 v1, 0, 1, s6
	v_mov_b32_e32 v8, s5
	s_and_not1_b32 vcc_lo, exec_lo, s6
	s_cbranch_vccz .LBB83_16
.LBB83_2:
	s_delay_alu instid0(VALU_DEP_2)
	v_cmp_ne_u32_e32 vcc_lo, 1, v1
	v_mov_b32_e32 v9, s2
	s_cbranch_vccz .LBB83_17
.LBB83_3:
	v_cmp_ne_u32_e32 vcc_lo, 1, v1
	v_mov_b32_e32 v10, s3
	s_cbranch_vccnz .LBB83_5
.LBB83_4:
	v_dual_mov_b32 v1, s2 :: v_dual_mov_b32 v2, s3
	flat_load_b32 v10, v[1:2] offset:4
.LBB83_5:
	s_waitcnt vmcnt(0) lgkmcnt(0)
	v_cmp_eq_f32_e32 vcc_lo, 0, v7
	v_cmp_eq_f32_e64 s2, 0, v8
	s_delay_alu instid0(VALU_DEP_1)
	s_and_b32 s4, vcc_lo, s2
	s_mov_b32 s2, -1
	s_and_saveexec_b32 s3, s4
; %bb.6:
	v_cmp_neq_f32_e32 vcc_lo, 1.0, v9
	v_cmp_neq_f32_e64 s2, 0, v10
	s_delay_alu instid0(VALU_DEP_1) | instskip(NEXT) | instid1(SALU_CYCLE_1)
	s_or_b32 s2, vcc_lo, s2
	s_or_not1_b32 s2, s2, exec_lo
; %bb.7:
	s_or_b32 exec_lo, exec_lo, s3
	s_and_saveexec_b32 s3, s2
	s_cbranch_execz .LBB83_29
; %bb.8:
	s_load_b64 s[2:3], s[0:1], 0x0
	v_lshrrev_b32_e32 v1, 6, v0
	s_delay_alu instid0(VALU_DEP_1) | instskip(SKIP_1) | instid1(VALU_DEP_1)
	v_lshl_or_b32 v1, s15, 1, v1
	s_waitcnt lgkmcnt(0)
	v_cmp_gt_i32_e32 vcc_lo, s2, v1
	s_and_b32 exec_lo, exec_lo, vcc_lo
	s_cbranch_execz .LBB83_29
; %bb.9:
	s_load_b256 s[4:11], s[0:1], 0x10
	v_ashrrev_i32_e32 v2, 31, v1
	v_and_b32_e32 v0, 63, v0
	s_cmp_lg_u32 s3, 0
	s_delay_alu instid0(VALU_DEP_2) | instskip(SKIP_1) | instid1(VALU_DEP_1)
	v_lshlrev_b64 v[2:3], 2, v[1:2]
	s_waitcnt lgkmcnt(0)
	v_add_co_u32 v2, vcc_lo, s4, v2
	s_delay_alu instid0(VALU_DEP_2) | instskip(SKIP_4) | instid1(VALU_DEP_2)
	v_add_co_ci_u32_e32 v3, vcc_lo, s5, v3, vcc_lo
	global_load_b64 v[2:3], v[2:3], off
	s_waitcnt vmcnt(0)
	v_subrev_nc_u32_e32 v2, s12, v2
	v_subrev_nc_u32_e32 v19, s12, v3
	v_add_nc_u32_e32 v2, v2, v0
	s_delay_alu instid0(VALU_DEP_1)
	v_cmp_lt_i32_e64 s2, v2, v19
	s_cbranch_scc0 .LBB83_18
; %bb.10:
	v_dual_mov_b32 v11, 0 :: v_dual_mov_b32 v16, 0
	v_dual_mov_b32 v15, 0 :: v_dual_mov_b32 v12, 0
	;; [unrolled: 1-line block ×4, first 2 shown]
	s_mov_b32 s3, 0
	s_and_saveexec_b32 s4, s2
	s_cbranch_execz .LBB83_14
; %bb.11:
	v_dual_mov_b32 v4, 0 :: v_dual_lshlrev_b32 v3, 3, v2
	v_mov_b32_e32 v5, v2
	s_mov_b32 s5, 0
	s_delay_alu instid0(VALU_DEP_2)
	v_mov_b32_e32 v16, v4
	v_mov_b32_e32 v11, v4
	;; [unrolled: 1-line block ×8, first 2 shown]
.LBB83_12:                              ; =>This Inner Loop Header: Depth=1
	v_ashrrev_i32_e32 v6, 31, v5
	s_delay_alu instid0(VALU_DEP_1) | instskip(NEXT) | instid1(VALU_DEP_1)
	v_lshlrev_b64 v[20:21], 2, v[5:6]
	v_add_co_u32 v20, vcc_lo, s6, v20
	s_delay_alu instid0(VALU_DEP_2) | instskip(SKIP_2) | instid1(VALU_DEP_1)
	v_add_co_ci_u32_e32 v21, vcc_lo, s7, v21, vcc_lo
	global_load_b32 v6, v[20:21], off
	v_lshlrev_b64 v[20:21], 3, v[3:4]
	v_add_co_u32 v36, vcc_lo, s8, v20
	s_delay_alu instid0(VALU_DEP_2)
	v_add_co_ci_u32_e32 v37, vcc_lo, s9, v21, vcc_lo
	s_clause 0x1
	global_load_b128 v[20:23], v[36:37], off offset:16
	global_load_b128 v[24:27], v[36:37], off
	s_waitcnt vmcnt(2)
	v_subrev_nc_u32_e32 v6, s12, v6
	s_delay_alu instid0(VALU_DEP_1) | instskip(NEXT) | instid1(VALU_DEP_1)
	v_dual_mov_b32 v29, v4 :: v_dual_lshlrev_b32 v28, 1, v6
	v_lshlrev_b64 v[28:29], 3, v[28:29]
	s_delay_alu instid0(VALU_DEP_1) | instskip(NEXT) | instid1(VALU_DEP_2)
	v_add_co_u32 v28, vcc_lo, s10, v28
	v_add_co_ci_u32_e32 v29, vcc_lo, s11, v29, vcc_lo
	global_load_b128 v[28:31], v[28:29], off
	s_clause 0x1
	global_load_b128 v[32:35], v[36:37], off offset:32
	global_load_b128 v[36:39], v[36:37], off offset:48
	v_add_nc_u32_e32 v3, 0x200, v3
	s_waitcnt vmcnt(2)
	v_dual_fmac_f32 v18, v26, v28 :: v_dual_add_nc_u32 v5, 64, v5
	v_fmac_f32_e32 v16, v24, v28
	v_fmac_f32_e32 v14, v27, v28
	;; [unrolled: 1-line block ×3, first 2 shown]
	s_delay_alu instid0(VALU_DEP_4)
	v_cmp_ge_i32_e32 vcc_lo, v5, v19
	v_fma_f32 v18, -v27, v29, v18
	v_fma_f32 v6, -v25, v29, v16
	v_dual_fmac_f32 v14, v26, v29 :: v_dual_fmac_f32 v13, v21, v28
	v_fmac_f32_e32 v15, v22, v28
	v_fmac_f32_e32 v11, v24, v29
	s_waitcnt vmcnt(1)
	v_fmac_f32_e32 v6, v32, v30
	v_fmac_f32_e32 v14, v35, v30
	v_dual_fmac_f32 v12, v23, v28 :: v_dual_fmac_f32 v13, v20, v29
	v_fmac_f32_e32 v17, v20, v28
	v_fma_f32 v15, -v23, v29, v15
	s_delay_alu instid0(VALU_DEP_4) | instskip(NEXT) | instid1(VALU_DEP_4)
	v_dual_fmac_f32 v11, v33, v30 :: v_dual_fmac_f32 v14, v34, v31
	v_fmac_f32_e32 v12, v22, v29
	s_delay_alu instid0(VALU_DEP_4) | instskip(SKIP_4) | instid1(VALU_DEP_3)
	v_fma_f32 v17, -v21, v29, v17
	s_waitcnt vmcnt(0)
	v_fmac_f32_e32 v13, v37, v30
	v_dual_fmac_f32 v18, v34, v30 :: v_dual_fmac_f32 v11, v32, v31
	v_fmac_f32_e32 v15, v38, v30
	v_dual_fmac_f32 v12, v39, v30 :: v_dual_fmac_f32 v13, v36, v31
	v_fmac_f32_e32 v17, v36, v30
	v_fma_f32 v16, -v33, v31, v6
	v_fma_f32 v18, -v35, v31, v18
	s_delay_alu instid0(VALU_DEP_4) | instskip(SKIP_3) | instid1(SALU_CYCLE_1)
	v_fmac_f32_e32 v12, v38, v31
	v_fma_f32 v15, -v39, v31, v15
	v_fma_f32 v17, -v37, v31, v17
	s_or_b32 s5, vcc_lo, s5
	s_and_not1_b32 exec_lo, exec_lo, s5
	s_cbranch_execnz .LBB83_12
; %bb.13:
	s_or_b32 exec_lo, exec_lo, s5
.LBB83_14:
	s_delay_alu instid0(SALU_CYCLE_1) | instskip(NEXT) | instid1(SALU_CYCLE_1)
	s_or_b32 exec_lo, exec_lo, s4
	s_and_not1_b32 vcc_lo, exec_lo, s3
	s_cbranch_vccz .LBB83_19
	s_branch .LBB83_24
.LBB83_15:
	v_dual_mov_b32 v1, s4 :: v_dual_mov_b32 v2, s5
	flat_load_b32 v7, v[1:2]
	v_cndmask_b32_e64 v1, 0, 1, s6
	v_mov_b32_e32 v8, s5
	s_and_not1_b32 vcc_lo, exec_lo, s6
	s_cbranch_vccnz .LBB83_2
.LBB83_16:
	v_dual_mov_b32 v2, s4 :: v_dual_mov_b32 v3, s5
	flat_load_b32 v8, v[2:3] offset:4
	v_cmp_ne_u32_e32 vcc_lo, 1, v1
	v_mov_b32_e32 v9, s2
	s_cbranch_vccnz .LBB83_3
.LBB83_17:
	v_dual_mov_b32 v2, s2 :: v_dual_mov_b32 v3, s3
	flat_load_b32 v9, v[2:3]
	v_cmp_ne_u32_e32 vcc_lo, 1, v1
	v_mov_b32_e32 v10, s3
	s_cbranch_vccz .LBB83_4
	s_branch .LBB83_5
.LBB83_18:
                                        ; implicit-def: $vgpr11
                                        ; implicit-def: $vgpr16
                                        ; implicit-def: $vgpr15
                                        ; implicit-def: $vgpr12
                                        ; implicit-def: $vgpr17
                                        ; implicit-def: $vgpr13
                                        ; implicit-def: $vgpr18
                                        ; implicit-def: $vgpr14
.LBB83_19:
	v_dual_mov_b32 v11, 0 :: v_dual_mov_b32 v16, 0
	v_dual_mov_b32 v15, 0 :: v_dual_mov_b32 v12, 0
	;; [unrolled: 1-line block ×4, first 2 shown]
	s_and_saveexec_b32 s3, s2
	s_cbranch_execz .LBB83_23
; %bb.20:
	v_dual_mov_b32 v5, 0 :: v_dual_lshlrev_b32 v4, 3, v2
	s_mov_b32 s2, 0
	s_delay_alu instid0(VALU_DEP_1)
	v_mov_b32_e32 v11, v5
	v_mov_b32_e32 v16, v5
	;; [unrolled: 1-line block ×8, first 2 shown]
.LBB83_21:                              ; =>This Inner Loop Header: Depth=1
	v_ashrrev_i32_e32 v3, 31, v2
	s_delay_alu instid0(VALU_DEP_1) | instskip(NEXT) | instid1(VALU_DEP_1)
	v_lshlrev_b64 v[20:21], 2, v[2:3]
	v_add_co_u32 v20, vcc_lo, s6, v20
	s_delay_alu instid0(VALU_DEP_2) | instskip(SKIP_2) | instid1(VALU_DEP_1)
	v_add_co_ci_u32_e32 v21, vcc_lo, s7, v21, vcc_lo
	global_load_b32 v3, v[20:21], off
	v_lshlrev_b64 v[20:21], 3, v[4:5]
	v_add_co_u32 v32, vcc_lo, s8, v20
	s_delay_alu instid0(VALU_DEP_2)
	v_add_co_ci_u32_e32 v33, vcc_lo, s9, v21, vcc_lo
	s_clause 0x3
	global_load_b128 v[20:23], v[32:33], off offset:48
	global_load_b128 v[24:27], v[32:33], off offset:32
	;; [unrolled: 1-line block ×3, first 2 shown]
	global_load_b128 v[32:35], v[32:33], off
	s_waitcnt vmcnt(4)
	v_subrev_nc_u32_e32 v3, s12, v3
	s_delay_alu instid0(VALU_DEP_1) | instskip(NEXT) | instid1(VALU_DEP_1)
	v_dual_mov_b32 v37, v5 :: v_dual_lshlrev_b32 v36, 1, v3
	v_lshlrev_b64 v[36:37], 3, v[36:37]
	s_delay_alu instid0(VALU_DEP_1) | instskip(NEXT) | instid1(VALU_DEP_2)
	v_add_co_u32 v36, vcc_lo, s10, v36
	v_add_co_ci_u32_e32 v37, vcc_lo, s11, v37, vcc_lo
	global_load_b128 v[36:39], v[36:37], off
	s_waitcnt vmcnt(0)
	v_dual_fmac_f32 v11, v33, v36 :: v_dual_add_nc_u32 v2, 64, v2
	v_add_nc_u32_e32 v4, 0x200, v4
	v_fmac_f32_e32 v13, v25, v36
	v_fmac_f32_e32 v14, v29, v36
	;; [unrolled: 1-line block ×9, first 2 shown]
	v_fma_f32 v6, -v29, v37, v18
	v_fmac_f32_e32 v17, v24, v36
	v_fma_f32 v3, -v33, v37, v16
	v_fmac_f32_e32 v14, v31, v38
	;; [unrolled: 2-line block ×3, first 2 shown]
	v_fma_f32 v17, -v25, v37, v17
	v_dual_fmac_f32 v12, v21, v36 :: v_dual_fmac_f32 v3, v34, v38
	v_fmac_f32_e32 v13, v27, v38
	v_fmac_f32_e32 v15, v22, v38
	s_delay_alu instid0(VALU_DEP_3)
	v_dual_fmac_f32 v17, v26, v38 :: v_dual_fmac_f32 v12, v20, v37
	v_cmp_ge_i32_e32 vcc_lo, v2, v19
	v_fma_f32 v16, -v35, v39, v3
	v_fmac_f32_e32 v11, v34, v39
	v_fma_f32 v18, -v31, v39, v6
	v_fmac_f32_e32 v12, v23, v38
	v_fmac_f32_e32 v14, v30, v39
	v_fma_f32 v17, -v27, v39, v17
	v_fmac_f32_e32 v13, v26, v39
	v_fma_f32 v15, -v23, v39, v15
	v_fmac_f32_e32 v12, v22, v39
	s_or_b32 s2, vcc_lo, s2
	s_delay_alu instid0(SALU_CYCLE_1)
	s_and_not1_b32 exec_lo, exec_lo, s2
	s_cbranch_execnz .LBB83_21
; %bb.22:
	s_or_b32 exec_lo, exec_lo, s2
.LBB83_23:
	s_delay_alu instid0(SALU_CYCLE_1)
	s_or_b32 exec_lo, exec_lo, s3
.LBB83_24:
	v_mbcnt_lo_u32_b32 v2, -1, 0
	s_delay_alu instid0(VALU_DEP_1) | instskip(SKIP_1) | instid1(VALU_DEP_2)
	v_or_b32_e32 v3, 32, v2
	v_xor_b32_e32 v23, 16, v2
	v_cmp_gt_i32_e32 vcc_lo, 32, v3
	v_cndmask_b32_e32 v3, v2, v3, vcc_lo
	s_delay_alu instid0(VALU_DEP_3) | instskip(NEXT) | instid1(VALU_DEP_2)
	v_cmp_gt_i32_e32 vcc_lo, 32, v23
	v_lshlrev_b32_e32 v3, 2, v3
	ds_bpermute_b32 v6, v3, v18
	s_waitcnt lgkmcnt(0)
	v_add_f32_e32 v6, v18, v6
	ds_bpermute_b32 v4, v3, v16
	ds_bpermute_b32 v5, v3, v11
	;; [unrolled: 1-line block ×7, first 2 shown]
	s_waitcnt lgkmcnt(6)
	v_dual_cndmask_b32 v23, v2, v23 :: v_dual_add_f32 v4, v16, v4
	s_waitcnt lgkmcnt(5)
	v_add_f32_e32 v5, v11, v5
	s_waitcnt lgkmcnt(2)
	v_add_f32_e32 v15, v15, v22
	v_dual_add_f32 v11, v14, v19 :: v_dual_add_f32 v14, v17, v20
	v_lshlrev_b32_e32 v23, 2, v23
	s_waitcnt lgkmcnt(0)
	v_add_f32_e32 v3, v12, v3
	ds_bpermute_b32 v12, v23, v4
	s_waitcnt lgkmcnt(0)
	v_add_f32_e32 v4, v4, v12
	ds_bpermute_b32 v17, v23, v6
	v_add_f32_e32 v13, v13, v21
	ds_bpermute_b32 v19, v23, v14
	ds_bpermute_b32 v22, v23, v3
	;; [unrolled: 1-line block ×3, first 2 shown]
	s_waitcnt lgkmcnt(3)
	v_add_f32_e32 v6, v6, v17
	ds_bpermute_b32 v21, v23, v15
	s_waitcnt lgkmcnt(3)
	v_add_f32_e32 v12, v14, v19
	ds_bpermute_b32 v16, v23, v5
	;; [unrolled: 3-line block ×3, first 2 shown]
	v_xor_b32_e32 v23, 8, v2
	s_delay_alu instid0(VALU_DEP_1) | instskip(SKIP_1) | instid1(VALU_DEP_1)
	v_cmp_gt_i32_e32 vcc_lo, 32, v23
	v_cndmask_b32_e32 v23, v2, v23, vcc_lo
	v_lshlrev_b32_e32 v23, 2, v23
	ds_bpermute_b32 v21, v23, v14
	s_waitcnt lgkmcnt(0)
	v_add_f32_e32 v14, v14, v21
	ds_bpermute_b32 v15, v23, v4
	ds_bpermute_b32 v17, v23, v6
	;; [unrolled: 1-line block ×3, first 2 shown]
	s_waitcnt lgkmcnt(2)
	v_dual_add_f32 v5, v5, v16 :: v_dual_add_f32 v4, v4, v15
	s_waitcnt lgkmcnt(1)
	v_dual_add_f32 v11, v11, v18 :: v_dual_add_f32 v6, v6, v17
	;; [unrolled: 2-line block ×3, first 2 shown]
	v_add_f32_e32 v13, v13, v20
	ds_bpermute_b32 v16, v23, v5
	ds_bpermute_b32 v18, v23, v11
	;; [unrolled: 1-line block ×4, first 2 shown]
	v_xor_b32_e32 v23, 4, v2
	s_delay_alu instid0(VALU_DEP_1) | instskip(SKIP_1) | instid1(VALU_DEP_1)
	v_cmp_gt_i32_e32 vcc_lo, 32, v23
	v_cndmask_b32_e32 v23, v2, v23, vcc_lo
	v_lshlrev_b32_e32 v23, 2, v23
	s_waitcnt lgkmcnt(3)
	v_add_f32_e32 v5, v5, v16
	ds_bpermute_b32 v15, v23, v4
	ds_bpermute_b32 v16, v23, v5
	;; [unrolled: 1-line block ×5, first 2 shown]
	s_waitcnt lgkmcnt(4)
	v_dual_add_f32 v4, v4, v15 :: v_dual_add_f32 v11, v11, v18
	s_waitcnt lgkmcnt(2)
	v_dual_add_f32 v5, v5, v16 :: v_dual_add_f32 v12, v12, v19
	v_add_f32_e32 v13, v13, v20
	s_waitcnt lgkmcnt(0)
	v_add_f32_e32 v15, v6, v17
	ds_bpermute_b32 v18, v23, v11
	ds_bpermute_b32 v20, v23, v13
	s_waitcnt lgkmcnt(1)
	v_add_f32_e32 v16, v11, v18
	v_dual_add_f32 v18, v14, v21 :: v_dual_add_f32 v3, v3, v22
	s_waitcnt lgkmcnt(0)
	v_add_f32_e32 v17, v13, v20
	ds_bpermute_b32 v22, v23, v3
	v_xor_b32_e32 v23, 2, v2
	s_delay_alu instid0(VALU_DEP_1) | instskip(SKIP_1) | instid1(VALU_DEP_1)
	v_cmp_gt_i32_e32 vcc_lo, 32, v23
	v_cndmask_b32_e32 v23, v2, v23, vcc_lo
	v_lshlrev_b32_e32 v23, 2, v23
	s_waitcnt lgkmcnt(0)
	v_add_f32_e32 v19, v3, v22
	ds_bpermute_b32 v3, v23, v4
	ds_bpermute_b32 v6, v23, v5
	;; [unrolled: 1-line block ×8, first 2 shown]
	v_xor_b32_e32 v23, 1, v2
	s_delay_alu instid0(VALU_DEP_1) | instskip(SKIP_4) | instid1(VALU_DEP_3)
	v_cmp_gt_i32_e32 vcc_lo, 32, v23
	v_cndmask_b32_e32 v2, v2, v23, vcc_lo
	v_cmp_eq_u32_e32 vcc_lo, 63, v0
	s_waitcnt lgkmcnt(5)
	v_dual_add_f32 v6, v5, v6 :: v_dual_add_f32 v11, v15, v11
	v_dual_add_f32 v2, v4, v3 :: v_dual_lshlrev_b32 v23, 2, v2
	s_waitcnt lgkmcnt(4)
	v_add_f32_e32 v13, v16, v13
	s_waitcnt lgkmcnt(2)
	v_dual_add_f32 v14, v12, v14 :: v_dual_add_f32 v15, v17, v20
	s_waitcnt lgkmcnt(1)
	v_add_f32_e32 v3, v18, v21
	s_waitcnt lgkmcnt(0)
	v_add_f32_e32 v5, v19, v22
	ds_bpermute_b32 v4, v23, v2
	ds_bpermute_b32 v12, v23, v6
	;; [unrolled: 1-line block ×8, first 2 shown]
	s_and_b32 exec_lo, exec_lo, vcc_lo
	s_cbranch_execz .LBB83_29
; %bb.25:
	s_load_b64 s[2:3], s[0:1], 0x38
	v_cmp_eq_f32_e32 vcc_lo, 0, v9
	v_cmp_eq_f32_e64 s0, 0, v10
	s_waitcnt lgkmcnt(0)
	v_add_f32_e32 v4, v2, v4
	v_dual_add_f32 v12, v6, v12 :: v_dual_add_f32 v5, v5, v17
	v_dual_add_f32 v0, v11, v18 :: v_dual_add_f32 v11, v13, v19
	v_add_f32_e32 v2, v14, v20
	v_add_f32_e32 v6, v15, v21
	;; [unrolled: 1-line block ×3, first 2 shown]
	s_and_b32 s0, vcc_lo, s0
	s_delay_alu instid0(SALU_CYCLE_1) | instskip(NEXT) | instid1(SALU_CYCLE_1)
	s_and_saveexec_b32 s1, s0
	s_xor_b32 s0, exec_lo, s1
	s_cbranch_execz .LBB83_27
; %bb.26:
	v_dual_mul_f32 v14, v12, v7 :: v_dual_lshlrev_b32 v17, 2, v1
	v_mul_f32_e64 v15, v11, -v8
	v_mul_f32_e64 v13, v12, -v8
	v_mul_f32_e32 v16, v11, v7
	s_delay_alu instid0(VALU_DEP_4) | instskip(SKIP_1) | instid1(VALU_DEP_4)
	v_ashrrev_i32_e32 v18, 31, v17
	v_mul_f32_e64 v9, v6, -v8
	v_dual_mul_f32 v10, v6, v7 :: v_dual_fmac_f32 v13, v7, v4
	v_mul_f32_e64 v11, v5, -v8
	s_delay_alu instid0(VALU_DEP_4) | instskip(SKIP_2) | instid1(VALU_DEP_4)
	v_lshlrev_b64 v[17:18], 3, v[17:18]
	v_dual_fmac_f32 v15, v7, v0 :: v_dual_mul_f32 v12, v5, v7
	v_dual_fmac_f32 v14, v8, v4 :: v_dual_fmac_f32 v9, v7, v2
	v_dual_fmac_f32 v16, v8, v0 :: v_dual_fmac_f32 v11, v7, v3
	s_delay_alu instid0(VALU_DEP_4)
	v_add_co_u32 v17, vcc_lo, s2, v17
	v_add_co_ci_u32_e32 v18, vcc_lo, s3, v18, vcc_lo
	v_fmac_f32_e32 v10, v8, v2
	v_fmac_f32_e32 v12, v8, v3
	s_clause 0x1
	global_store_b128 v[17:18], v[13:16], off
	global_store_b128 v[17:18], v[9:12], off offset:16
                                        ; implicit-def: $vgpr7
                                        ; implicit-def: $vgpr8
                                        ; implicit-def: $vgpr9
                                        ; implicit-def: $vgpr10
                                        ; implicit-def: $vgpr1
                                        ; implicit-def: $vgpr4
                                        ; implicit-def: $vgpr12
                                        ; implicit-def: $vgpr0
                                        ; implicit-def: $vgpr11
                                        ; implicit-def: $vgpr2
                                        ; implicit-def: $vgpr6
                                        ; implicit-def: $vgpr3
                                        ; implicit-def: $vgpr5
.LBB83_27:
	s_and_not1_saveexec_b32 s0, s0
	s_cbranch_execz .LBB83_29
; %bb.28:
	v_dual_mul_f32 v22, v12, v7 :: v_dual_lshlrev_b32 v13, 2, v1
	v_mul_f32_e64 v1, v12, -v8
	v_mul_f32_e64 v12, v11, -v8
	v_mul_f32_e32 v26, v6, v7
	s_delay_alu instid0(VALU_DEP_4) | instskip(NEXT) | instid1(VALU_DEP_4)
	v_ashrrev_i32_e32 v14, 31, v13
	v_fmac_f32_e32 v1, v7, v4
	s_delay_alu instid0(VALU_DEP_4) | instskip(NEXT) | instid1(VALU_DEP_4)
	v_fmac_f32_e32 v12, v7, v0
	v_fmac_f32_e32 v26, v8, v2
	s_delay_alu instid0(VALU_DEP_4) | instskip(NEXT) | instid1(VALU_DEP_1)
	v_lshlrev_b64 v[13:14], 3, v[13:14]
	v_add_co_u32 v29, vcc_lo, s2, v13
	s_delay_alu instid0(VALU_DEP_2)
	v_add_co_ci_u32_e32 v30, vcc_lo, s3, v14, vcc_lo
	s_clause 0x1
	global_load_b128 v[13:16], v[29:30], off
	global_load_b128 v[17:20], v[29:30], off offset:16
	v_mul_f32_e32 v24, v11, v7
	v_mul_f32_e64 v11, v6, -v8
	v_mul_f32_e64 v6, v5, -v8
	s_delay_alu instid0(VALU_DEP_2) | instskip(SKIP_1) | instid1(VALU_DEP_3)
	v_dual_mul_f32 v28, v5, v7 :: v_dual_fmac_f32 v11, v7, v2
	v_fmac_f32_e32 v22, v8, v4
	v_fmac_f32_e32 v6, v7, v3
	s_waitcnt vmcnt(1)
	s_delay_alu instid0(VALU_DEP_3)
	v_dual_fmac_f32 v28, v8, v3 :: v_dual_fmac_f32 v1, v9, v13
	s_waitcnt vmcnt(0)
	v_dual_fmac_f32 v11, v9, v17 :: v_dual_fmac_f32 v24, v8, v0
	v_fmac_f32_e32 v22, v10, v13
	v_fmac_f32_e32 v12, v9, v15
	;; [unrolled: 1-line block ×6, first 2 shown]
	v_fma_f32 v21, -v10, v14, v1
	v_fmac_f32_e32 v22, v9, v14
	v_fma_f32 v23, -v10, v16, v12
	v_fmac_f32_e32 v24, v9, v16
	;; [unrolled: 2-line block ×4, first 2 shown]
	s_clause 0x1
	global_store_b128 v[29:30], v[21:24], off
	global_store_b128 v[29:30], v[25:28], off offset:16
.LBB83_29:
	s_nop 0
	s_sendmsg sendmsg(MSG_DEALLOC_VGPRS)
	s_endpgm
	.section	.rodata,"a",@progbits
	.p2align	6, 0x0
	.amdhsa_kernel _ZN9rocsparseL19gebsrmvn_4xn_kernelILj128ELj2ELj64E21rocsparse_complex_numIfEEEvi20rocsparse_direction_NS_24const_host_device_scalarIT2_EEPKiS8_PKS5_SA_S6_PS5_21rocsparse_index_base_b
		.amdhsa_group_segment_fixed_size 0
		.amdhsa_private_segment_fixed_size 0
		.amdhsa_kernarg_size 72
		.amdhsa_user_sgpr_count 15
		.amdhsa_user_sgpr_dispatch_ptr 0
		.amdhsa_user_sgpr_queue_ptr 0
		.amdhsa_user_sgpr_kernarg_segment_ptr 1
		.amdhsa_user_sgpr_dispatch_id 0
		.amdhsa_user_sgpr_private_segment_size 0
		.amdhsa_wavefront_size32 1
		.amdhsa_uses_dynamic_stack 0
		.amdhsa_enable_private_segment 0
		.amdhsa_system_sgpr_workgroup_id_x 1
		.amdhsa_system_sgpr_workgroup_id_y 0
		.amdhsa_system_sgpr_workgroup_id_z 0
		.amdhsa_system_sgpr_workgroup_info 0
		.amdhsa_system_vgpr_workitem_id 0
		.amdhsa_next_free_vgpr 40
		.amdhsa_next_free_sgpr 16
		.amdhsa_reserve_vcc 1
		.amdhsa_float_round_mode_32 0
		.amdhsa_float_round_mode_16_64 0
		.amdhsa_float_denorm_mode_32 3
		.amdhsa_float_denorm_mode_16_64 3
		.amdhsa_dx10_clamp 1
		.amdhsa_ieee_mode 1
		.amdhsa_fp16_overflow 0
		.amdhsa_workgroup_processor_mode 1
		.amdhsa_memory_ordered 1
		.amdhsa_forward_progress 0
		.amdhsa_shared_vgpr_count 0
		.amdhsa_exception_fp_ieee_invalid_op 0
		.amdhsa_exception_fp_denorm_src 0
		.amdhsa_exception_fp_ieee_div_zero 0
		.amdhsa_exception_fp_ieee_overflow 0
		.amdhsa_exception_fp_ieee_underflow 0
		.amdhsa_exception_fp_ieee_inexact 0
		.amdhsa_exception_int_div_zero 0
	.end_amdhsa_kernel
	.section	.text._ZN9rocsparseL19gebsrmvn_4xn_kernelILj128ELj2ELj64E21rocsparse_complex_numIfEEEvi20rocsparse_direction_NS_24const_host_device_scalarIT2_EEPKiS8_PKS5_SA_S6_PS5_21rocsparse_index_base_b,"axG",@progbits,_ZN9rocsparseL19gebsrmvn_4xn_kernelILj128ELj2ELj64E21rocsparse_complex_numIfEEEvi20rocsparse_direction_NS_24const_host_device_scalarIT2_EEPKiS8_PKS5_SA_S6_PS5_21rocsparse_index_base_b,comdat
.Lfunc_end83:
	.size	_ZN9rocsparseL19gebsrmvn_4xn_kernelILj128ELj2ELj64E21rocsparse_complex_numIfEEEvi20rocsparse_direction_NS_24const_host_device_scalarIT2_EEPKiS8_PKS5_SA_S6_PS5_21rocsparse_index_base_b, .Lfunc_end83-_ZN9rocsparseL19gebsrmvn_4xn_kernelILj128ELj2ELj64E21rocsparse_complex_numIfEEEvi20rocsparse_direction_NS_24const_host_device_scalarIT2_EEPKiS8_PKS5_SA_S6_PS5_21rocsparse_index_base_b
                                        ; -- End function
	.section	.AMDGPU.csdata,"",@progbits
; Kernel info:
; codeLenInByte = 2644
; NumSgprs: 18
; NumVgprs: 40
; ScratchSize: 0
; MemoryBound: 0
; FloatMode: 240
; IeeeMode: 1
; LDSByteSize: 0 bytes/workgroup (compile time only)
; SGPRBlocks: 2
; VGPRBlocks: 4
; NumSGPRsForWavesPerEU: 18
; NumVGPRsForWavesPerEU: 40
; Occupancy: 16
; WaveLimiterHint : 1
; COMPUTE_PGM_RSRC2:SCRATCH_EN: 0
; COMPUTE_PGM_RSRC2:USER_SGPR: 15
; COMPUTE_PGM_RSRC2:TRAP_HANDLER: 0
; COMPUTE_PGM_RSRC2:TGID_X_EN: 1
; COMPUTE_PGM_RSRC2:TGID_Y_EN: 0
; COMPUTE_PGM_RSRC2:TGID_Z_EN: 0
; COMPUTE_PGM_RSRC2:TIDIG_COMP_CNT: 0
	.section	.text._ZN9rocsparseL19gebsrmvn_4xn_kernelILj128ELj3ELj4E21rocsparse_complex_numIfEEEvi20rocsparse_direction_NS_24const_host_device_scalarIT2_EEPKiS8_PKS5_SA_S6_PS5_21rocsparse_index_base_b,"axG",@progbits,_ZN9rocsparseL19gebsrmvn_4xn_kernelILj128ELj3ELj4E21rocsparse_complex_numIfEEEvi20rocsparse_direction_NS_24const_host_device_scalarIT2_EEPKiS8_PKS5_SA_S6_PS5_21rocsparse_index_base_b,comdat
	.globl	_ZN9rocsparseL19gebsrmvn_4xn_kernelILj128ELj3ELj4E21rocsparse_complex_numIfEEEvi20rocsparse_direction_NS_24const_host_device_scalarIT2_EEPKiS8_PKS5_SA_S6_PS5_21rocsparse_index_base_b ; -- Begin function _ZN9rocsparseL19gebsrmvn_4xn_kernelILj128ELj3ELj4E21rocsparse_complex_numIfEEEvi20rocsparse_direction_NS_24const_host_device_scalarIT2_EEPKiS8_PKS5_SA_S6_PS5_21rocsparse_index_base_b
	.p2align	8
	.type	_ZN9rocsparseL19gebsrmvn_4xn_kernelILj128ELj3ELj4E21rocsparse_complex_numIfEEEvi20rocsparse_direction_NS_24const_host_device_scalarIT2_EEPKiS8_PKS5_SA_S6_PS5_21rocsparse_index_base_b,@function
_ZN9rocsparseL19gebsrmvn_4xn_kernelILj128ELj3ELj4E21rocsparse_complex_numIfEEEvi20rocsparse_direction_NS_24const_host_device_scalarIT2_EEPKiS8_PKS5_SA_S6_PS5_21rocsparse_index_base_b: ; @_ZN9rocsparseL19gebsrmvn_4xn_kernelILj128ELj3ELj4E21rocsparse_complex_numIfEEEvi20rocsparse_direction_NS_24const_host_device_scalarIT2_EEPKiS8_PKS5_SA_S6_PS5_21rocsparse_index_base_b
; %bb.0:
	s_clause 0x2
	s_load_b64 s[12:13], s[0:1], 0x40
	s_load_b64 s[4:5], s[0:1], 0x8
	s_load_b64 s[2:3], s[0:1], 0x30
	s_waitcnt lgkmcnt(0)
	s_bitcmp1_b32 s13, 0
	v_mov_b32_e32 v8, s4
	s_cselect_b32 s6, -1, 0
	s_delay_alu instid0(SALU_CYCLE_1)
	s_and_b32 vcc_lo, exec_lo, s6
	s_xor_b32 s6, s6, -1
	s_cbranch_vccz .LBB84_15
; %bb.1:
	v_cndmask_b32_e64 v1, 0, 1, s6
	v_mov_b32_e32 v9, s5
	s_and_not1_b32 vcc_lo, exec_lo, s6
	s_cbranch_vccz .LBB84_16
.LBB84_2:
	s_delay_alu instid0(VALU_DEP_2)
	v_cmp_ne_u32_e32 vcc_lo, 1, v1
	v_mov_b32_e32 v10, s2
	s_cbranch_vccz .LBB84_17
.LBB84_3:
	v_cmp_ne_u32_e32 vcc_lo, 1, v1
	v_mov_b32_e32 v11, s3
	s_cbranch_vccnz .LBB84_5
.LBB84_4:
	v_dual_mov_b32 v1, s2 :: v_dual_mov_b32 v2, s3
	flat_load_b32 v11, v[1:2] offset:4
.LBB84_5:
	s_waitcnt vmcnt(0) lgkmcnt(0)
	v_cmp_eq_f32_e32 vcc_lo, 0, v8
	v_cmp_eq_f32_e64 s2, 0, v9
	s_delay_alu instid0(VALU_DEP_1)
	s_and_b32 s4, vcc_lo, s2
	s_mov_b32 s2, -1
	s_and_saveexec_b32 s3, s4
; %bb.6:
	v_cmp_neq_f32_e32 vcc_lo, 1.0, v10
	v_cmp_neq_f32_e64 s2, 0, v11
	s_delay_alu instid0(VALU_DEP_1) | instskip(NEXT) | instid1(SALU_CYCLE_1)
	s_or_b32 s2, vcc_lo, s2
	s_or_not1_b32 s2, s2, exec_lo
; %bb.7:
	s_or_b32 exec_lo, exec_lo, s3
	s_and_saveexec_b32 s3, s2
	s_cbranch_execz .LBB84_29
; %bb.8:
	s_load_b64 s[2:3], s[0:1], 0x0
	v_lshrrev_b32_e32 v1, 2, v0
	s_delay_alu instid0(VALU_DEP_1) | instskip(SKIP_1) | instid1(VALU_DEP_1)
	v_lshl_or_b32 v1, s15, 5, v1
	s_waitcnt lgkmcnt(0)
	v_cmp_gt_i32_e32 vcc_lo, s2, v1
	s_and_b32 exec_lo, exec_lo, vcc_lo
	s_cbranch_execz .LBB84_29
; %bb.9:
	s_load_b256 s[4:11], s[0:1], 0x10
	v_ashrrev_i32_e32 v2, 31, v1
	v_and_b32_e32 v0, 3, v0
	s_cmp_lg_u32 s3, 0
	s_delay_alu instid0(VALU_DEP_2) | instskip(SKIP_1) | instid1(VALU_DEP_1)
	v_lshlrev_b64 v[2:3], 2, v[1:2]
	s_waitcnt lgkmcnt(0)
	v_add_co_u32 v2, vcc_lo, s4, v2
	s_delay_alu instid0(VALU_DEP_2) | instskip(SKIP_4) | instid1(VALU_DEP_2)
	v_add_co_ci_u32_e32 v3, vcc_lo, s5, v3, vcc_lo
	global_load_b64 v[2:3], v[2:3], off
	s_waitcnt vmcnt(0)
	v_subrev_nc_u32_e32 v2, s12, v2
	v_subrev_nc_u32_e32 v16, s12, v3
	v_add_nc_u32_e32 v2, v2, v0
	s_delay_alu instid0(VALU_DEP_1)
	v_cmp_lt_i32_e64 s2, v2, v16
	s_cbranch_scc0 .LBB84_18
; %bb.10:
	v_dual_mov_b32 v12, 0 :: v_dual_mov_b32 v17, 0
	v_dual_mov_b32 v18, 0 :: v_dual_mov_b32 v13, 0
	v_dual_mov_b32 v19, 0 :: v_dual_mov_b32 v14, 0
	v_dual_mov_b32 v20, 0 :: v_dual_mov_b32 v15, 0
	s_mov_b32 s3, 0
	s_and_saveexec_b32 s4, s2
	s_cbranch_execz .LBB84_14
; %bb.11:
	v_dual_mov_b32 v4, 0 :: v_dual_mov_b32 v5, v2
	v_mul_lo_u32 v3, v2, 12
	s_mov_b32 s5, 0
	s_delay_alu instid0(VALU_DEP_2)
	v_mov_b32_e32 v12, v4
	v_mov_b32_e32 v17, v4
	;; [unrolled: 1-line block ×8, first 2 shown]
.LBB84_12:                              ; =>This Inner Loop Header: Depth=1
	v_ashrrev_i32_e32 v6, 31, v5
	v_dual_mov_b32 v22, v4 :: v_dual_add_nc_u32 v21, 4, v3
	v_dual_mov_b32 v24, v4 :: v_dual_add_nc_u32 v23, 8, v3
	s_delay_alu instid0(VALU_DEP_3) | instskip(SKIP_1) | instid1(VALU_DEP_4)
	v_lshlrev_b64 v[6:7], 2, v[5:6]
	v_mov_b32_e32 v50, v4
	v_lshlrev_b64 v[21:22], 3, v[21:22]
	s_delay_alu instid0(VALU_DEP_4) | instskip(NEXT) | instid1(VALU_DEP_4)
	v_lshlrev_b64 v[23:24], 3, v[23:24]
	v_add_co_u32 v6, vcc_lo, s6, v6
	v_add_co_ci_u32_e32 v7, vcc_lo, s7, v7, vcc_lo
	global_load_b32 v45, v[6:7], off
	v_lshlrev_b64 v[6:7], 3, v[3:4]
	v_add_nc_u32_e32 v3, 48, v3
	s_delay_alu instid0(VALU_DEP_2) | instskip(NEXT) | instid1(VALU_DEP_3)
	v_add_co_u32 v6, vcc_lo, s8, v6
	v_add_co_ci_u32_e32 v7, vcc_lo, s9, v7, vcc_lo
	v_add_co_u32 v33, vcc_lo, s8, v21
	v_add_co_ci_u32_e32 v34, vcc_lo, s9, v22, vcc_lo
	;; [unrolled: 2-line block ×3, first 2 shown]
	s_clause 0x5
	global_load_b128 v[21:24], v[6:7], off offset:16
	global_load_b128 v[25:28], v[6:7], off
	global_load_b128 v[29:32], v[33:34], off offset:16
	global_load_b128 v[33:36], v[33:34], off
	;; [unrolled: 2-line block ×3, first 2 shown]
	s_waitcnt vmcnt(6)
	v_subrev_nc_u32_e32 v6, s12, v45
	s_delay_alu instid0(VALU_DEP_1) | instskip(SKIP_1) | instid1(VALU_DEP_2)
	v_lshl_add_u32 v45, v6, 1, v6
	v_mov_b32_e32 v46, v4
	v_dual_mov_b32 v48, v4 :: v_dual_add_nc_u32 v49, 2, v45
	v_add_nc_u32_e32 v47, 1, v45
	s_delay_alu instid0(VALU_DEP_3) | instskip(NEXT) | instid1(VALU_DEP_2)
	v_lshlrev_b64 v[6:7], 3, v[45:46]
	v_lshlrev_b64 v[45:46], 3, v[47:48]
	s_delay_alu instid0(VALU_DEP_4) | instskip(NEXT) | instid1(VALU_DEP_3)
	v_lshlrev_b64 v[47:48], 3, v[49:50]
	v_add_co_u32 v6, vcc_lo, s10, v6
	s_delay_alu instid0(VALU_DEP_4) | instskip(NEXT) | instid1(VALU_DEP_4)
	v_add_co_ci_u32_e32 v7, vcc_lo, s11, v7, vcc_lo
	v_add_co_u32 v45, vcc_lo, s10, v45
	v_add_co_ci_u32_e32 v46, vcc_lo, s11, v46, vcc_lo
	global_load_b64 v[6:7], v[6:7], off
	v_add_co_u32 v47, vcc_lo, s10, v47
	v_add_co_ci_u32_e32 v48, vcc_lo, s11, v48, vcc_lo
	s_clause 0x1
	global_load_b64 v[45:46], v[45:46], off
	global_load_b64 v[47:48], v[47:48], off
	s_waitcnt vmcnt(2)
	v_dual_fmac_f32 v12, v26, v6 :: v_dual_add_nc_u32 v5, 4, v5
	v_fmac_f32_e32 v15, v28, v6
	s_delay_alu instid0(VALU_DEP_2) | instskip(NEXT) | instid1(VALU_DEP_3)
	v_cmp_ge_i32_e32 vcc_lo, v5, v16
	v_fmac_f32_e32 v12, v25, v7
	s_delay_alu instid0(VALU_DEP_3)
	v_dual_fmac_f32 v14, v22, v6 :: v_dual_fmac_f32 v15, v27, v7
	v_fmac_f32_e32 v17, v25, v6
	v_fmac_f32_e32 v13, v24, v6
	;; [unrolled: 1-line block ×3, first 2 shown]
	s_waitcnt vmcnt(1)
	v_dual_fmac_f32 v14, v21, v7 :: v_dual_fmac_f32 v15, v36, v45
	v_dual_fmac_f32 v19, v21, v6 :: v_dual_fmac_f32 v12, v34, v45
	s_or_b32 s5, vcc_lo, s5
	s_delay_alu instid0(VALU_DEP_2) | instskip(NEXT) | instid1(VALU_DEP_2)
	v_fmac_f32_e32 v14, v30, v45
	v_fma_f32 v19, -v22, v7, v19
	v_fmac_f32_e32 v18, v23, v6
	v_fma_f32 v6, -v26, v7, v17
	;; [unrolled: 2-line block ×4, first 2 shown]
	v_fmac_f32_e32 v6, v33, v45
	v_dual_fmac_f32 v13, v32, v45 :: v_dual_fmac_f32 v14, v29, v46
	v_dual_fmac_f32 v17, v35, v45 :: v_dual_fmac_f32 v12, v33, v46
	s_delay_alu instid0(VALU_DEP_3) | instskip(SKIP_2) | instid1(VALU_DEP_4)
	v_fma_f32 v6, -v34, v46, v6
	v_fmac_f32_e32 v15, v35, v46
	v_fma_f32 v19, -v30, v46, v19
	v_fma_f32 v7, -v36, v46, v17
	s_waitcnt vmcnt(0)
	v_dual_fmac_f32 v13, v31, v46 :: v_dual_fmac_f32 v12, v42, v47
	v_fmac_f32_e32 v6, v41, v47
	v_dual_fmac_f32 v18, v31, v45 :: v_dual_fmac_f32 v15, v44, v47
	s_delay_alu instid0(VALU_DEP_3) | instskip(SKIP_1) | instid1(VALU_DEP_3)
	v_dual_fmac_f32 v7, v43, v47 :: v_dual_fmac_f32 v12, v41, v48
	v_fmac_f32_e32 v19, v37, v47
	v_fma_f32 v18, -v32, v46, v18
	s_delay_alu instid0(VALU_DEP_4) | instskip(SKIP_2) | instid1(VALU_DEP_4)
	v_dual_fmac_f32 v14, v38, v47 :: v_dual_fmac_f32 v15, v43, v48
	v_fmac_f32_e32 v13, v40, v47
	v_fma_f32 v17, -v42, v48, v6
	v_fmac_f32_e32 v18, v39, v47
	s_delay_alu instid0(VALU_DEP_4)
	v_fmac_f32_e32 v14, v37, v48
	v_fma_f32 v20, -v44, v48, v7
	v_fma_f32 v19, -v38, v48, v19
	v_fmac_f32_e32 v13, v39, v48
	v_fma_f32 v18, -v40, v48, v18
	s_and_not1_b32 exec_lo, exec_lo, s5
	s_cbranch_execnz .LBB84_12
; %bb.13:
	s_or_b32 exec_lo, exec_lo, s5
.LBB84_14:
	s_delay_alu instid0(SALU_CYCLE_1) | instskip(NEXT) | instid1(SALU_CYCLE_1)
	s_or_b32 exec_lo, exec_lo, s4
	s_and_not1_b32 vcc_lo, exec_lo, s3
	s_cbranch_vccz .LBB84_19
	s_branch .LBB84_24
.LBB84_15:
	v_dual_mov_b32 v1, s4 :: v_dual_mov_b32 v2, s5
	flat_load_b32 v8, v[1:2]
	v_cndmask_b32_e64 v1, 0, 1, s6
	v_mov_b32_e32 v9, s5
	s_and_not1_b32 vcc_lo, exec_lo, s6
	s_cbranch_vccnz .LBB84_2
.LBB84_16:
	v_dual_mov_b32 v2, s4 :: v_dual_mov_b32 v3, s5
	flat_load_b32 v9, v[2:3] offset:4
	v_cmp_ne_u32_e32 vcc_lo, 1, v1
	v_mov_b32_e32 v10, s2
	s_cbranch_vccnz .LBB84_3
.LBB84_17:
	v_dual_mov_b32 v2, s2 :: v_dual_mov_b32 v3, s3
	flat_load_b32 v10, v[2:3]
	v_cmp_ne_u32_e32 vcc_lo, 1, v1
	v_mov_b32_e32 v11, s3
	s_cbranch_vccz .LBB84_4
	s_branch .LBB84_5
.LBB84_18:
                                        ; implicit-def: $vgpr12
                                        ; implicit-def: $vgpr17
                                        ; implicit-def: $vgpr18
                                        ; implicit-def: $vgpr13
                                        ; implicit-def: $vgpr19
                                        ; implicit-def: $vgpr14
                                        ; implicit-def: $vgpr20
                                        ; implicit-def: $vgpr15
.LBB84_19:
	v_dual_mov_b32 v12, 0 :: v_dual_mov_b32 v17, 0
	v_dual_mov_b32 v18, 0 :: v_dual_mov_b32 v13, 0
	;; [unrolled: 1-line block ×4, first 2 shown]
	s_and_saveexec_b32 s3, s2
	s_cbranch_execz .LBB84_23
; %bb.20:
	v_mad_u64_u32 v[4:5], null, v2, 12, 11
	v_dual_mov_b32 v7, 0 :: v_dual_mov_b32 v12, 0
	v_dual_mov_b32 v17, 0 :: v_dual_mov_b32 v18, 0
	;; [unrolled: 1-line block ×4, first 2 shown]
	v_mov_b32_e32 v15, 0
	s_mov_b32 s2, 0
.LBB84_21:                              ; =>This Inner Loop Header: Depth=1
	v_ashrrev_i32_e32 v3, 31, v2
	v_dual_mov_b32 v30, v7 :: v_dual_add_nc_u32 v21, -5, v4
	v_dual_mov_b32 v22, v7 :: v_dual_add_nc_u32 v23, -2, v4
	s_delay_alu instid0(VALU_DEP_3) | instskip(SKIP_1) | instid1(VALU_DEP_3)
	v_lshlrev_b64 v[5:6], 2, v[2:3]
	v_mov_b32_e32 v24, v7
	v_lshlrev_b64 v[21:22], 3, v[21:22]
	s_delay_alu instid0(VALU_DEP_2) | instskip(NEXT) | instid1(VALU_DEP_4)
	v_lshlrev_b64 v[23:24], 3, v[23:24]
	v_add_co_u32 v5, vcc_lo, s6, v5
	v_add_co_ci_u32_e32 v6, vcc_lo, s7, v6, vcc_lo
	global_load_b32 v3, v[5:6], off
	v_dual_mov_b32 v5, v7 :: v_dual_add_nc_u32 v6, -11, v4
	s_delay_alu instid0(VALU_DEP_1) | instskip(NEXT) | instid1(VALU_DEP_2)
	v_lshlrev_b64 v[25:26], 3, v[6:7]
	v_lshlrev_b64 v[5:6], 3, v[4:5]
	s_delay_alu instid0(VALU_DEP_2) | instskip(NEXT) | instid1(VALU_DEP_3)
	v_add_co_u32 v25, vcc_lo, s8, v25
	v_add_co_ci_u32_e32 v26, vcc_lo, s9, v26, vcc_lo
	v_add_co_u32 v31, vcc_lo, s8, v21
	v_add_co_ci_u32_e32 v32, vcc_lo, s9, v22, vcc_lo
	v_add_co_u32 v33, vcc_lo, s8, v23
	v_add_co_ci_u32_e32 v34, vcc_lo, s9, v24, vcc_lo
	v_add_co_u32 v35, vcc_lo, s8, v5
	v_add_co_ci_u32_e32 v36, vcc_lo, s9, v6, vcc_lo
	s_clause 0x3
	global_load_b128 v[21:24], v[25:26], off offset:16
	global_load_b128 v[25:28], v[25:26], off
	global_load_b64 v[31:32], v[31:32], off
	global_load_b64 v[33:34], v[33:34], off
	s_waitcnt vmcnt(4)
	v_subrev_nc_u32_e32 v3, s12, v3
	s_delay_alu instid0(VALU_DEP_1) | instskip(NEXT) | instid1(VALU_DEP_1)
	v_lshl_add_u32 v29, v3, 1, v3
	v_lshlrev_b64 v[37:38], 3, v[29:30]
	s_delay_alu instid0(VALU_DEP_1) | instskip(NEXT) | instid1(VALU_DEP_2)
	v_add_co_u32 v37, vcc_lo, s10, v37
	v_add_co_ci_u32_e32 v38, vcc_lo, s11, v38, vcc_lo
	global_load_b64 v[37:38], v[37:38], off
	v_add_nc_u32_e32 v6, 1, v29
	s_delay_alu instid0(VALU_DEP_1) | instskip(NEXT) | instid1(VALU_DEP_1)
	v_lshlrev_b64 v[39:40], 3, v[6:7]
	v_add_co_u32 v39, vcc_lo, s10, v39
	s_delay_alu instid0(VALU_DEP_2) | instskip(SKIP_3) | instid1(VALU_DEP_1)
	v_add_co_ci_u32_e32 v40, vcc_lo, s11, v40, vcc_lo
	global_load_b64 v[39:40], v[39:40], off
	s_waitcnt vmcnt(1)
	v_dual_fmac_f32 v15, v24, v37 :: v_dual_add_nc_u32 v6, -7, v4
	v_lshlrev_b64 v[41:42], 3, v[6:7]
	v_dual_fmac_f32 v19, v31, v37 :: v_dual_add_nc_u32 v6, -4, v4
	v_fmac_f32_e32 v13, v34, v37
	v_fmac_f32_e32 v17, v25, v37
	;; [unrolled: 1-line block ×3, first 2 shown]
	s_delay_alu instid0(VALU_DEP_4) | instskip(SKIP_3) | instid1(VALU_DEP_3)
	v_lshlrev_b64 v[43:44], 3, v[6:7]
	v_add_nc_u32_e32 v6, -1, v4
	v_add_co_u32 v41, vcc_lo, s8, v41
	v_add_co_ci_u32_e32 v42, vcc_lo, s9, v42, vcc_lo
	v_lshlrev_b64 v[45:46], 3, v[6:7]
	v_dual_fmac_f32 v13, v33, v38 :: v_dual_add_nc_u32 v6, 2, v29
	v_add_co_u32 v29, vcc_lo, s8, v43
	v_add_co_ci_u32_e32 v30, vcc_lo, s9, v44, vcc_lo
	s_delay_alu instid0(VALU_DEP_4)
	v_add_co_u32 v45, vcc_lo, s8, v45
	v_add_co_ci_u32_e32 v46, vcc_lo, s9, v46, vcc_lo
	global_load_b64 v[41:42], v[41:42], off
	v_lshlrev_b64 v[43:44], 3, v[6:7]
	v_fma_f32 v3, -v26, v38, v17
	global_load_b64 v[45:46], v[45:46], off
	v_add_nc_u32_e32 v6, -6, v4
	v_fmac_f32_e32 v20, v23, v37
	global_load_b64 v[29:30], v[29:30], off
	s_waitcnt vmcnt(3)
	v_fmac_f32_e32 v3, v27, v39
	v_add_co_u32 v43, vcc_lo, s10, v43
	v_lshlrev_b64 v[47:48], 3, v[6:7]
	v_add_co_ci_u32_e32 v44, vcc_lo, s11, v44, vcc_lo
	v_add_nc_u32_e32 v2, 4, v2
	v_fma_f32 v3, -v28, v40, v3
	v_fma_f32 v19, -v32, v38, v19
	v_add_co_u32 v47, vcc_lo, s8, v47
	v_add_co_ci_u32_e32 v48, vcc_lo, s9, v48, vcc_lo
	global_load_b64 v[43:44], v[43:44], off
	s_waitcnt vmcnt(3)
	v_dual_fmac_f32 v14, v32, v37 :: v_dual_fmac_f32 v15, v42, v39
	v_fmac_f32_e32 v12, v26, v37
	s_waitcnt vmcnt(2)
	v_fmac_f32_e32 v13, v46, v39
	v_fma_f32 v17, -v24, v38, v20
	v_fmac_f32_e32 v15, v41, v40
	v_add_nc_u32_e32 v6, -3, v4
	s_waitcnt vmcnt(1)
	v_dual_fmac_f32 v19, v29, v39 :: v_dual_add_nc_u32 v4, 48, v4
	v_fmac_f32_e32 v17, v41, v39
	v_fmac_f32_e32 v13, v45, v40
	v_lshlrev_b64 v[5:6], 3, v[6:7]
	s_delay_alu instid0(VALU_DEP_4) | instskip(NEXT) | instid1(VALU_DEP_4)
	v_fma_f32 v19, -v30, v40, v19
	v_fma_f32 v20, -v42, v40, v17
	s_delay_alu instid0(VALU_DEP_3) | instskip(NEXT) | instid1(VALU_DEP_4)
	v_add_co_u32 v5, vcc_lo, s8, v5
	v_add_co_ci_u32_e32 v6, vcc_lo, s9, v6, vcc_lo
	s_clause 0x2
	global_load_b64 v[47:48], v[47:48], off
	global_load_b64 v[5:6], v[5:6], off
	global_load_b64 v[35:36], v[35:36], off
	v_fmac_f32_e32 v18, v33, v37
	v_fmac_f32_e32 v12, v25, v38
	s_waitcnt vmcnt(3)
	v_dual_fmac_f32 v3, v21, v43 :: v_dual_fmac_f32 v14, v31, v38
	v_cmp_ge_i32_e32 vcc_lo, v2, v16
	s_delay_alu instid0(VALU_DEP_2)
	v_fma_f32 v17, -v22, v44, v3
	s_or_b32 s2, vcc_lo, s2
	s_waitcnt vmcnt(2)
	v_fmac_f32_e32 v15, v48, v43
	v_fma_f32 v18, -v34, v38, v18
	s_waitcnt vmcnt(0)
	v_fmac_f32_e32 v13, v36, v43
	v_fmac_f32_e32 v12, v28, v39
	v_dual_fmac_f32 v14, v30, v39 :: v_dual_fmac_f32 v15, v47, v44
	s_delay_alu instid0(VALU_DEP_3) | instskip(NEXT) | instid1(VALU_DEP_3)
	v_dual_fmac_f32 v18, v45, v39 :: v_dual_fmac_f32 v13, v35, v44
	v_dual_fmac_f32 v12, v27, v40 :: v_dual_fmac_f32 v19, v5, v43
	s_delay_alu instid0(VALU_DEP_3) | instskip(NEXT) | instid1(VALU_DEP_3)
	v_fmac_f32_e32 v14, v29, v40
	v_fma_f32 v18, -v46, v40, v18
	v_fmac_f32_e32 v20, v47, v43
	s_delay_alu instid0(VALU_DEP_4)
	v_fmac_f32_e32 v12, v22, v43
	v_fma_f32 v19, -v6, v44, v19
	v_fmac_f32_e32 v14, v6, v43
	v_fmac_f32_e32 v18, v35, v43
	v_fma_f32 v20, -v48, v44, v20
	v_fmac_f32_e32 v12, v21, v44
	s_delay_alu instid0(VALU_DEP_4) | instskip(NEXT) | instid1(VALU_DEP_4)
	v_fmac_f32_e32 v14, v5, v44
	v_fma_f32 v18, -v36, v44, v18
	s_and_not1_b32 exec_lo, exec_lo, s2
	s_cbranch_execnz .LBB84_21
; %bb.22:
	s_or_b32 exec_lo, exec_lo, s2
.LBB84_23:
	s_delay_alu instid0(SALU_CYCLE_1)
	s_or_b32 exec_lo, exec_lo, s3
.LBB84_24:
	v_mbcnt_lo_u32_b32 v2, -1, 0
	s_delay_alu instid0(VALU_DEP_1) | instskip(NEXT) | instid1(VALU_DEP_1)
	v_xor_b32_e32 v3, 2, v2
	v_cmp_gt_i32_e32 vcc_lo, 32, v3
	v_cndmask_b32_e32 v3, v2, v3, vcc_lo
	s_delay_alu instid0(VALU_DEP_1)
	v_lshlrev_b32_e32 v3, 2, v3
	ds_bpermute_b32 v5, v3, v12
	s_waitcnt lgkmcnt(0)
	v_add_f32_e32 v6, v12, v5
	ds_bpermute_b32 v4, v3, v17
	ds_bpermute_b32 v7, v3, v20
	;; [unrolled: 1-line block ×7, first 2 shown]
	v_xor_b32_e32 v3, 1, v2
	s_delay_alu instid0(VALU_DEP_1)
	v_cmp_gt_i32_e32 vcc_lo, 32, v3
	v_cndmask_b32_e32 v2, v2, v3, vcc_lo
	v_cmp_eq_u32_e32 vcc_lo, 3, v0
	s_waitcnt lgkmcnt(5)
	v_add_f32_e32 v7, v20, v7
	s_waitcnt lgkmcnt(4)
	v_add_f32_e32 v15, v15, v16
	s_waitcnt lgkmcnt(3)
	v_dual_add_f32 v16, v19, v21 :: v_dual_lshlrev_b32 v25, 2, v2
	v_add_f32_e32 v2, v17, v4
	s_waitcnt lgkmcnt(2)
	v_add_f32_e32 v14, v14, v22
	s_waitcnt lgkmcnt(1)
	;; [unrolled: 2-line block ×3, first 2 shown]
	v_add_f32_e32 v5, v13, v24
	ds_bpermute_b32 v12, v25, v6
	ds_bpermute_b32 v4, v25, v2
	;; [unrolled: 1-line block ×8, first 2 shown]
	s_and_b32 exec_lo, exec_lo, vcc_lo
	s_cbranch_execz .LBB84_29
; %bb.25:
	s_load_b64 s[2:3], s[0:1], 0x38
	v_cmp_eq_f32_e32 vcc_lo, 0, v10
	v_cmp_eq_f32_e64 s0, 0, v11
	s_waitcnt lgkmcnt(0)
	v_add_f32_e32 v4, v2, v4
	v_dual_add_f32 v12, v6, v12 :: v_dual_add_f32 v3, v3, v13
	v_dual_add_f32 v0, v7, v18 :: v_dual_add_f32 v5, v5, v17
	;; [unrolled: 1-line block ×3, first 2 shown]
	v_add_f32_e32 v6, v14, v21
	s_and_b32 s0, vcc_lo, s0
	s_delay_alu instid0(SALU_CYCLE_1) | instskip(NEXT) | instid1(SALU_CYCLE_1)
	s_and_saveexec_b32 s1, s0
	s_xor_b32 s0, exec_lo, s1
	s_cbranch_execz .LBB84_27
; %bb.26:
	v_dual_mul_f32 v11, v12, v8 :: v_dual_lshlrev_b32 v16, 2, v1
	v_mul_f32_e64 v10, v12, -v9
	v_mul_f32_e64 v12, v7, -v9
	;; [unrolled: 1-line block ×3, first 2 shown]
	s_delay_alu instid0(VALU_DEP_4) | instskip(SKIP_2) | instid1(VALU_DEP_4)
	v_ashrrev_i32_e32 v17, 31, v16
	v_mul_f32_e32 v13, v7, v8
	v_mul_f32_e32 v15, v6, v8
	v_dual_fmac_f32 v11, v9, v4 :: v_dual_fmac_f32 v14, v8, v2
	s_delay_alu instid0(VALU_DEP_4) | instskip(SKIP_4) | instid1(VALU_DEP_4)
	v_lshlrev_b64 v[6:7], 3, v[16:17]
	v_mul_f32_e64 v16, v5, -v9
	v_mul_f32_e32 v17, v5, v8
	v_fmac_f32_e32 v12, v8, v0
	v_fmac_f32_e32 v13, v9, v0
                                        ; implicit-def: $vgpr1
                                        ; implicit-def: $vgpr0
                                        ; implicit-def: $vgpr5
	v_fmac_f32_e32 v16, v8, v3
	s_delay_alu instid0(VALU_DEP_4)
	v_fmac_f32_e32 v17, v9, v3
	v_add_co_u32 v6, vcc_lo, s2, v6
	v_dual_fmac_f32 v10, v8, v4 :: v_dual_fmac_f32 v15, v9, v2
	v_add_co_ci_u32_e32 v7, vcc_lo, s3, v7, vcc_lo
	s_clause 0x1
	global_store_b128 v[6:7], v[10:13], off
	global_store_b128 v[6:7], v[14:17], off offset:16
                                        ; implicit-def: $vgpr8
                                        ; implicit-def: $vgpr9
                                        ; implicit-def: $vgpr10
                                        ; implicit-def: $vgpr11
                                        ; implicit-def: $vgpr4
                                        ; implicit-def: $vgpr12
                                        ; implicit-def: $vgpr7
                                        ; implicit-def: $vgpr2
                                        ; implicit-def: $vgpr6
                                        ; implicit-def: $vgpr3
.LBB84_27:
	s_and_not1_saveexec_b32 s0, s0
	s_cbranch_execz .LBB84_29
; %bb.28:
	v_dual_mul_f32 v22, v12, v8 :: v_dual_lshlrev_b32 v13, 2, v1
	v_mul_f32_e64 v1, v12, -v9
	v_mul_f32_e32 v26, v6, v8
	v_mul_f32_e64 v12, v7, -v9
	s_delay_alu instid0(VALU_DEP_4)
	v_ashrrev_i32_e32 v14, 31, v13
	v_mul_f32_e32 v24, v7, v8
	v_mul_f32_e64 v7, v6, -v9
	v_mul_f32_e64 v6, v5, -v9
	v_dual_fmac_f32 v1, v8, v4 :: v_dual_fmac_f32 v26, v9, v2
	v_lshlrev_b64 v[13:14], 3, v[13:14]
	v_fmac_f32_e32 v12, v8, v0
	v_dual_fmac_f32 v7, v8, v2 :: v_dual_fmac_f32 v24, v9, v0
	v_fmac_f32_e32 v6, v8, v3
	s_delay_alu instid0(VALU_DEP_4)
	v_add_co_u32 v29, vcc_lo, s2, v13
	v_add_co_ci_u32_e32 v30, vcc_lo, s3, v14, vcc_lo
	s_clause 0x1
	global_load_b128 v[13:16], v[29:30], off
	global_load_b128 v[17:20], v[29:30], off offset:16
	v_mul_f32_e32 v28, v5, v8
	s_waitcnt vmcnt(1)
	v_dual_fmac_f32 v22, v9, v4 :: v_dual_fmac_f32 v1, v10, v13
	s_waitcnt vmcnt(0)
	s_delay_alu instid0(VALU_DEP_2) | instskip(NEXT) | instid1(VALU_DEP_2)
	v_dual_fmac_f32 v7, v10, v17 :: v_dual_fmac_f32 v28, v9, v3
	v_fmac_f32_e32 v22, v11, v13
	v_fmac_f32_e32 v12, v10, v15
	;; [unrolled: 1-line block ×6, first 2 shown]
	v_fma_f32 v21, -v11, v14, v1
	v_fmac_f32_e32 v22, v10, v14
	v_fma_f32 v23, -v11, v16, v12
	v_fmac_f32_e32 v24, v10, v16
	;; [unrolled: 2-line block ×4, first 2 shown]
	s_clause 0x1
	global_store_b128 v[29:30], v[21:24], off
	global_store_b128 v[29:30], v[25:28], off offset:16
.LBB84_29:
	s_nop 0
	s_sendmsg sendmsg(MSG_DEALLOC_VGPRS)
	s_endpgm
	.section	.rodata,"a",@progbits
	.p2align	6, 0x0
	.amdhsa_kernel _ZN9rocsparseL19gebsrmvn_4xn_kernelILj128ELj3ELj4E21rocsparse_complex_numIfEEEvi20rocsparse_direction_NS_24const_host_device_scalarIT2_EEPKiS8_PKS5_SA_S6_PS5_21rocsparse_index_base_b
		.amdhsa_group_segment_fixed_size 0
		.amdhsa_private_segment_fixed_size 0
		.amdhsa_kernarg_size 72
		.amdhsa_user_sgpr_count 15
		.amdhsa_user_sgpr_dispatch_ptr 0
		.amdhsa_user_sgpr_queue_ptr 0
		.amdhsa_user_sgpr_kernarg_segment_ptr 1
		.amdhsa_user_sgpr_dispatch_id 0
		.amdhsa_user_sgpr_private_segment_size 0
		.amdhsa_wavefront_size32 1
		.amdhsa_uses_dynamic_stack 0
		.amdhsa_enable_private_segment 0
		.amdhsa_system_sgpr_workgroup_id_x 1
		.amdhsa_system_sgpr_workgroup_id_y 0
		.amdhsa_system_sgpr_workgroup_id_z 0
		.amdhsa_system_sgpr_workgroup_info 0
		.amdhsa_system_vgpr_workitem_id 0
		.amdhsa_next_free_vgpr 51
		.amdhsa_next_free_sgpr 16
		.amdhsa_reserve_vcc 1
		.amdhsa_float_round_mode_32 0
		.amdhsa_float_round_mode_16_64 0
		.amdhsa_float_denorm_mode_32 3
		.amdhsa_float_denorm_mode_16_64 3
		.amdhsa_dx10_clamp 1
		.amdhsa_ieee_mode 1
		.amdhsa_fp16_overflow 0
		.amdhsa_workgroup_processor_mode 1
		.amdhsa_memory_ordered 1
		.amdhsa_forward_progress 0
		.amdhsa_shared_vgpr_count 0
		.amdhsa_exception_fp_ieee_invalid_op 0
		.amdhsa_exception_fp_denorm_src 0
		.amdhsa_exception_fp_ieee_div_zero 0
		.amdhsa_exception_fp_ieee_overflow 0
		.amdhsa_exception_fp_ieee_underflow 0
		.amdhsa_exception_fp_ieee_inexact 0
		.amdhsa_exception_int_div_zero 0
	.end_amdhsa_kernel
	.section	.text._ZN9rocsparseL19gebsrmvn_4xn_kernelILj128ELj3ELj4E21rocsparse_complex_numIfEEEvi20rocsparse_direction_NS_24const_host_device_scalarIT2_EEPKiS8_PKS5_SA_S6_PS5_21rocsparse_index_base_b,"axG",@progbits,_ZN9rocsparseL19gebsrmvn_4xn_kernelILj128ELj3ELj4E21rocsparse_complex_numIfEEEvi20rocsparse_direction_NS_24const_host_device_scalarIT2_EEPKiS8_PKS5_SA_S6_PS5_21rocsparse_index_base_b,comdat
.Lfunc_end84:
	.size	_ZN9rocsparseL19gebsrmvn_4xn_kernelILj128ELj3ELj4E21rocsparse_complex_numIfEEEvi20rocsparse_direction_NS_24const_host_device_scalarIT2_EEPKiS8_PKS5_SA_S6_PS5_21rocsparse_index_base_b, .Lfunc_end84-_ZN9rocsparseL19gebsrmvn_4xn_kernelILj128ELj3ELj4E21rocsparse_complex_numIfEEEvi20rocsparse_direction_NS_24const_host_device_scalarIT2_EEPKiS8_PKS5_SA_S6_PS5_21rocsparse_index_base_b
                                        ; -- End function
	.section	.AMDGPU.csdata,"",@progbits
; Kernel info:
; codeLenInByte = 2816
; NumSgprs: 18
; NumVgprs: 51
; ScratchSize: 0
; MemoryBound: 0
; FloatMode: 240
; IeeeMode: 1
; LDSByteSize: 0 bytes/workgroup (compile time only)
; SGPRBlocks: 2
; VGPRBlocks: 6
; NumSGPRsForWavesPerEU: 18
; NumVGPRsForWavesPerEU: 51
; Occupancy: 16
; WaveLimiterHint : 1
; COMPUTE_PGM_RSRC2:SCRATCH_EN: 0
; COMPUTE_PGM_RSRC2:USER_SGPR: 15
; COMPUTE_PGM_RSRC2:TRAP_HANDLER: 0
; COMPUTE_PGM_RSRC2:TGID_X_EN: 1
; COMPUTE_PGM_RSRC2:TGID_Y_EN: 0
; COMPUTE_PGM_RSRC2:TGID_Z_EN: 0
; COMPUTE_PGM_RSRC2:TIDIG_COMP_CNT: 0
	.section	.text._ZN9rocsparseL19gebsrmvn_4xn_kernelILj128ELj3ELj8E21rocsparse_complex_numIfEEEvi20rocsparse_direction_NS_24const_host_device_scalarIT2_EEPKiS8_PKS5_SA_S6_PS5_21rocsparse_index_base_b,"axG",@progbits,_ZN9rocsparseL19gebsrmvn_4xn_kernelILj128ELj3ELj8E21rocsparse_complex_numIfEEEvi20rocsparse_direction_NS_24const_host_device_scalarIT2_EEPKiS8_PKS5_SA_S6_PS5_21rocsparse_index_base_b,comdat
	.globl	_ZN9rocsparseL19gebsrmvn_4xn_kernelILj128ELj3ELj8E21rocsparse_complex_numIfEEEvi20rocsparse_direction_NS_24const_host_device_scalarIT2_EEPKiS8_PKS5_SA_S6_PS5_21rocsparse_index_base_b ; -- Begin function _ZN9rocsparseL19gebsrmvn_4xn_kernelILj128ELj3ELj8E21rocsparse_complex_numIfEEEvi20rocsparse_direction_NS_24const_host_device_scalarIT2_EEPKiS8_PKS5_SA_S6_PS5_21rocsparse_index_base_b
	.p2align	8
	.type	_ZN9rocsparseL19gebsrmvn_4xn_kernelILj128ELj3ELj8E21rocsparse_complex_numIfEEEvi20rocsparse_direction_NS_24const_host_device_scalarIT2_EEPKiS8_PKS5_SA_S6_PS5_21rocsparse_index_base_b,@function
_ZN9rocsparseL19gebsrmvn_4xn_kernelILj128ELj3ELj8E21rocsparse_complex_numIfEEEvi20rocsparse_direction_NS_24const_host_device_scalarIT2_EEPKiS8_PKS5_SA_S6_PS5_21rocsparse_index_base_b: ; @_ZN9rocsparseL19gebsrmvn_4xn_kernelILj128ELj3ELj8E21rocsparse_complex_numIfEEEvi20rocsparse_direction_NS_24const_host_device_scalarIT2_EEPKiS8_PKS5_SA_S6_PS5_21rocsparse_index_base_b
; %bb.0:
	s_clause 0x2
	s_load_b64 s[12:13], s[0:1], 0x40
	s_load_b64 s[4:5], s[0:1], 0x8
	s_load_b64 s[2:3], s[0:1], 0x30
	s_waitcnt lgkmcnt(0)
	s_bitcmp1_b32 s13, 0
	v_mov_b32_e32 v8, s4
	s_cselect_b32 s6, -1, 0
	s_delay_alu instid0(SALU_CYCLE_1)
	s_and_b32 vcc_lo, exec_lo, s6
	s_xor_b32 s6, s6, -1
	s_cbranch_vccz .LBB85_15
; %bb.1:
	v_cndmask_b32_e64 v1, 0, 1, s6
	v_mov_b32_e32 v9, s5
	s_and_not1_b32 vcc_lo, exec_lo, s6
	s_cbranch_vccz .LBB85_16
.LBB85_2:
	s_delay_alu instid0(VALU_DEP_2)
	v_cmp_ne_u32_e32 vcc_lo, 1, v1
	v_mov_b32_e32 v10, s2
	s_cbranch_vccz .LBB85_17
.LBB85_3:
	v_cmp_ne_u32_e32 vcc_lo, 1, v1
	v_mov_b32_e32 v11, s3
	s_cbranch_vccnz .LBB85_5
.LBB85_4:
	v_dual_mov_b32 v1, s2 :: v_dual_mov_b32 v2, s3
	flat_load_b32 v11, v[1:2] offset:4
.LBB85_5:
	s_waitcnt vmcnt(0) lgkmcnt(0)
	v_cmp_eq_f32_e32 vcc_lo, 0, v8
	v_cmp_eq_f32_e64 s2, 0, v9
	s_delay_alu instid0(VALU_DEP_1)
	s_and_b32 s4, vcc_lo, s2
	s_mov_b32 s2, -1
	s_and_saveexec_b32 s3, s4
; %bb.6:
	v_cmp_neq_f32_e32 vcc_lo, 1.0, v10
	v_cmp_neq_f32_e64 s2, 0, v11
	s_delay_alu instid0(VALU_DEP_1) | instskip(NEXT) | instid1(SALU_CYCLE_1)
	s_or_b32 s2, vcc_lo, s2
	s_or_not1_b32 s2, s2, exec_lo
; %bb.7:
	s_or_b32 exec_lo, exec_lo, s3
	s_and_saveexec_b32 s3, s2
	s_cbranch_execz .LBB85_29
; %bb.8:
	s_load_b64 s[2:3], s[0:1], 0x0
	v_lshrrev_b32_e32 v1, 3, v0
	s_delay_alu instid0(VALU_DEP_1) | instskip(SKIP_1) | instid1(VALU_DEP_1)
	v_lshl_or_b32 v1, s15, 4, v1
	s_waitcnt lgkmcnt(0)
	v_cmp_gt_i32_e32 vcc_lo, s2, v1
	s_and_b32 exec_lo, exec_lo, vcc_lo
	s_cbranch_execz .LBB85_29
; %bb.9:
	s_load_b256 s[4:11], s[0:1], 0x10
	v_ashrrev_i32_e32 v2, 31, v1
	v_and_b32_e32 v0, 7, v0
	s_cmp_lg_u32 s3, 0
	s_delay_alu instid0(VALU_DEP_2) | instskip(SKIP_1) | instid1(VALU_DEP_1)
	v_lshlrev_b64 v[2:3], 2, v[1:2]
	s_waitcnt lgkmcnt(0)
	v_add_co_u32 v2, vcc_lo, s4, v2
	s_delay_alu instid0(VALU_DEP_2) | instskip(SKIP_4) | instid1(VALU_DEP_2)
	v_add_co_ci_u32_e32 v3, vcc_lo, s5, v3, vcc_lo
	global_load_b64 v[2:3], v[2:3], off
	s_waitcnt vmcnt(0)
	v_subrev_nc_u32_e32 v2, s12, v2
	v_subrev_nc_u32_e32 v16, s12, v3
	v_add_nc_u32_e32 v2, v2, v0
	s_delay_alu instid0(VALU_DEP_1)
	v_cmp_lt_i32_e64 s2, v2, v16
	s_cbranch_scc0 .LBB85_18
; %bb.10:
	v_dual_mov_b32 v12, 0 :: v_dual_mov_b32 v17, 0
	v_dual_mov_b32 v18, 0 :: v_dual_mov_b32 v13, 0
	;; [unrolled: 1-line block ×4, first 2 shown]
	s_mov_b32 s3, 0
	s_and_saveexec_b32 s4, s2
	s_cbranch_execz .LBB85_14
; %bb.11:
	v_dual_mov_b32 v4, 0 :: v_dual_mov_b32 v5, v2
	v_mul_lo_u32 v3, v2, 12
	s_mov_b32 s5, 0
	s_delay_alu instid0(VALU_DEP_2)
	v_mov_b32_e32 v12, v4
	v_mov_b32_e32 v17, v4
	;; [unrolled: 1-line block ×8, first 2 shown]
.LBB85_12:                              ; =>This Inner Loop Header: Depth=1
	v_ashrrev_i32_e32 v6, 31, v5
	v_dual_mov_b32 v22, v4 :: v_dual_add_nc_u32 v21, 4, v3
	v_dual_mov_b32 v24, v4 :: v_dual_add_nc_u32 v23, 8, v3
	s_delay_alu instid0(VALU_DEP_3) | instskip(SKIP_1) | instid1(VALU_DEP_4)
	v_lshlrev_b64 v[6:7], 2, v[5:6]
	v_mov_b32_e32 v50, v4
	v_lshlrev_b64 v[21:22], 3, v[21:22]
	s_delay_alu instid0(VALU_DEP_4) | instskip(NEXT) | instid1(VALU_DEP_4)
	v_lshlrev_b64 v[23:24], 3, v[23:24]
	v_add_co_u32 v6, vcc_lo, s6, v6
	v_add_co_ci_u32_e32 v7, vcc_lo, s7, v7, vcc_lo
	global_load_b32 v45, v[6:7], off
	v_lshlrev_b64 v[6:7], 3, v[3:4]
	v_add_nc_u32_e32 v3, 0x60, v3
	s_delay_alu instid0(VALU_DEP_2) | instskip(NEXT) | instid1(VALU_DEP_3)
	v_add_co_u32 v6, vcc_lo, s8, v6
	v_add_co_ci_u32_e32 v7, vcc_lo, s9, v7, vcc_lo
	v_add_co_u32 v33, vcc_lo, s8, v21
	v_add_co_ci_u32_e32 v34, vcc_lo, s9, v22, vcc_lo
	;; [unrolled: 2-line block ×3, first 2 shown]
	s_clause 0x5
	global_load_b128 v[21:24], v[6:7], off offset:16
	global_load_b128 v[25:28], v[6:7], off
	global_load_b128 v[29:32], v[33:34], off offset:16
	global_load_b128 v[33:36], v[33:34], off
	global_load_b128 v[37:40], v[41:42], off offset:16
	global_load_b128 v[41:44], v[41:42], off
	s_waitcnt vmcnt(6)
	v_subrev_nc_u32_e32 v6, s12, v45
	s_delay_alu instid0(VALU_DEP_1) | instskip(SKIP_1) | instid1(VALU_DEP_2)
	v_lshl_add_u32 v45, v6, 1, v6
	v_mov_b32_e32 v46, v4
	v_dual_mov_b32 v48, v4 :: v_dual_add_nc_u32 v49, 2, v45
	v_add_nc_u32_e32 v47, 1, v45
	s_delay_alu instid0(VALU_DEP_3) | instskip(NEXT) | instid1(VALU_DEP_2)
	v_lshlrev_b64 v[6:7], 3, v[45:46]
	v_lshlrev_b64 v[45:46], 3, v[47:48]
	s_delay_alu instid0(VALU_DEP_4) | instskip(NEXT) | instid1(VALU_DEP_3)
	v_lshlrev_b64 v[47:48], 3, v[49:50]
	v_add_co_u32 v6, vcc_lo, s10, v6
	s_delay_alu instid0(VALU_DEP_4) | instskip(NEXT) | instid1(VALU_DEP_4)
	v_add_co_ci_u32_e32 v7, vcc_lo, s11, v7, vcc_lo
	v_add_co_u32 v45, vcc_lo, s10, v45
	v_add_co_ci_u32_e32 v46, vcc_lo, s11, v46, vcc_lo
	global_load_b64 v[6:7], v[6:7], off
	v_add_co_u32 v47, vcc_lo, s10, v47
	v_add_co_ci_u32_e32 v48, vcc_lo, s11, v48, vcc_lo
	s_clause 0x1
	global_load_b64 v[45:46], v[45:46], off
	global_load_b64 v[47:48], v[47:48], off
	s_waitcnt vmcnt(2)
	v_dual_fmac_f32 v12, v26, v6 :: v_dual_add_nc_u32 v5, 8, v5
	v_fmac_f32_e32 v15, v28, v6
	s_delay_alu instid0(VALU_DEP_2) | instskip(NEXT) | instid1(VALU_DEP_3)
	v_cmp_ge_i32_e32 vcc_lo, v5, v16
	v_fmac_f32_e32 v12, v25, v7
	s_delay_alu instid0(VALU_DEP_3)
	v_dual_fmac_f32 v14, v22, v6 :: v_dual_fmac_f32 v15, v27, v7
	v_fmac_f32_e32 v17, v25, v6
	v_fmac_f32_e32 v13, v24, v6
	;; [unrolled: 1-line block ×3, first 2 shown]
	s_waitcnt vmcnt(1)
	v_dual_fmac_f32 v14, v21, v7 :: v_dual_fmac_f32 v15, v36, v45
	v_dual_fmac_f32 v19, v21, v6 :: v_dual_fmac_f32 v12, v34, v45
	s_or_b32 s5, vcc_lo, s5
	s_delay_alu instid0(VALU_DEP_2) | instskip(NEXT) | instid1(VALU_DEP_2)
	v_fmac_f32_e32 v14, v30, v45
	v_fma_f32 v19, -v22, v7, v19
	v_fmac_f32_e32 v18, v23, v6
	v_fma_f32 v6, -v26, v7, v17
	;; [unrolled: 2-line block ×4, first 2 shown]
	v_fmac_f32_e32 v6, v33, v45
	v_dual_fmac_f32 v13, v32, v45 :: v_dual_fmac_f32 v14, v29, v46
	v_dual_fmac_f32 v17, v35, v45 :: v_dual_fmac_f32 v12, v33, v46
	s_delay_alu instid0(VALU_DEP_3) | instskip(SKIP_2) | instid1(VALU_DEP_4)
	v_fma_f32 v6, -v34, v46, v6
	v_fmac_f32_e32 v15, v35, v46
	v_fma_f32 v19, -v30, v46, v19
	v_fma_f32 v7, -v36, v46, v17
	s_waitcnt vmcnt(0)
	v_dual_fmac_f32 v13, v31, v46 :: v_dual_fmac_f32 v12, v42, v47
	v_fmac_f32_e32 v6, v41, v47
	v_dual_fmac_f32 v18, v31, v45 :: v_dual_fmac_f32 v15, v44, v47
	s_delay_alu instid0(VALU_DEP_3) | instskip(SKIP_1) | instid1(VALU_DEP_3)
	v_dual_fmac_f32 v7, v43, v47 :: v_dual_fmac_f32 v12, v41, v48
	v_fmac_f32_e32 v19, v37, v47
	v_fma_f32 v18, -v32, v46, v18
	s_delay_alu instid0(VALU_DEP_4) | instskip(SKIP_2) | instid1(VALU_DEP_4)
	v_dual_fmac_f32 v14, v38, v47 :: v_dual_fmac_f32 v15, v43, v48
	v_fmac_f32_e32 v13, v40, v47
	v_fma_f32 v17, -v42, v48, v6
	v_fmac_f32_e32 v18, v39, v47
	s_delay_alu instid0(VALU_DEP_4)
	v_fmac_f32_e32 v14, v37, v48
	v_fma_f32 v20, -v44, v48, v7
	v_fma_f32 v19, -v38, v48, v19
	v_fmac_f32_e32 v13, v39, v48
	v_fma_f32 v18, -v40, v48, v18
	s_and_not1_b32 exec_lo, exec_lo, s5
	s_cbranch_execnz .LBB85_12
; %bb.13:
	s_or_b32 exec_lo, exec_lo, s5
.LBB85_14:
	s_delay_alu instid0(SALU_CYCLE_1) | instskip(NEXT) | instid1(SALU_CYCLE_1)
	s_or_b32 exec_lo, exec_lo, s4
	s_and_not1_b32 vcc_lo, exec_lo, s3
	s_cbranch_vccz .LBB85_19
	s_branch .LBB85_24
.LBB85_15:
	v_dual_mov_b32 v1, s4 :: v_dual_mov_b32 v2, s5
	flat_load_b32 v8, v[1:2]
	v_cndmask_b32_e64 v1, 0, 1, s6
	v_mov_b32_e32 v9, s5
	s_and_not1_b32 vcc_lo, exec_lo, s6
	s_cbranch_vccnz .LBB85_2
.LBB85_16:
	v_dual_mov_b32 v2, s4 :: v_dual_mov_b32 v3, s5
	flat_load_b32 v9, v[2:3] offset:4
	v_cmp_ne_u32_e32 vcc_lo, 1, v1
	v_mov_b32_e32 v10, s2
	s_cbranch_vccnz .LBB85_3
.LBB85_17:
	v_dual_mov_b32 v2, s2 :: v_dual_mov_b32 v3, s3
	flat_load_b32 v10, v[2:3]
	v_cmp_ne_u32_e32 vcc_lo, 1, v1
	v_mov_b32_e32 v11, s3
	s_cbranch_vccz .LBB85_4
	s_branch .LBB85_5
.LBB85_18:
                                        ; implicit-def: $vgpr12
                                        ; implicit-def: $vgpr17
                                        ; implicit-def: $vgpr18
                                        ; implicit-def: $vgpr13
                                        ; implicit-def: $vgpr19
                                        ; implicit-def: $vgpr14
                                        ; implicit-def: $vgpr20
                                        ; implicit-def: $vgpr15
.LBB85_19:
	v_dual_mov_b32 v12, 0 :: v_dual_mov_b32 v17, 0
	v_dual_mov_b32 v18, 0 :: v_dual_mov_b32 v13, 0
	;; [unrolled: 1-line block ×4, first 2 shown]
	s_and_saveexec_b32 s3, s2
	s_cbranch_execz .LBB85_23
; %bb.20:
	v_mad_u64_u32 v[4:5], null, v2, 12, 11
	v_dual_mov_b32 v7, 0 :: v_dual_mov_b32 v12, 0
	v_dual_mov_b32 v17, 0 :: v_dual_mov_b32 v18, 0
	;; [unrolled: 1-line block ×4, first 2 shown]
	v_mov_b32_e32 v15, 0
	s_mov_b32 s2, 0
.LBB85_21:                              ; =>This Inner Loop Header: Depth=1
	v_ashrrev_i32_e32 v3, 31, v2
	v_dual_mov_b32 v30, v7 :: v_dual_add_nc_u32 v21, -5, v4
	v_dual_mov_b32 v22, v7 :: v_dual_add_nc_u32 v23, -2, v4
	s_delay_alu instid0(VALU_DEP_3) | instskip(SKIP_1) | instid1(VALU_DEP_3)
	v_lshlrev_b64 v[5:6], 2, v[2:3]
	v_mov_b32_e32 v24, v7
	v_lshlrev_b64 v[21:22], 3, v[21:22]
	s_delay_alu instid0(VALU_DEP_2) | instskip(NEXT) | instid1(VALU_DEP_4)
	v_lshlrev_b64 v[23:24], 3, v[23:24]
	v_add_co_u32 v5, vcc_lo, s6, v5
	v_add_co_ci_u32_e32 v6, vcc_lo, s7, v6, vcc_lo
	global_load_b32 v3, v[5:6], off
	v_dual_mov_b32 v5, v7 :: v_dual_add_nc_u32 v6, -11, v4
	s_delay_alu instid0(VALU_DEP_1) | instskip(NEXT) | instid1(VALU_DEP_2)
	v_lshlrev_b64 v[25:26], 3, v[6:7]
	v_lshlrev_b64 v[5:6], 3, v[4:5]
	s_delay_alu instid0(VALU_DEP_2) | instskip(NEXT) | instid1(VALU_DEP_3)
	v_add_co_u32 v25, vcc_lo, s8, v25
	v_add_co_ci_u32_e32 v26, vcc_lo, s9, v26, vcc_lo
	v_add_co_u32 v31, vcc_lo, s8, v21
	v_add_co_ci_u32_e32 v32, vcc_lo, s9, v22, vcc_lo
	;; [unrolled: 2-line block ×4, first 2 shown]
	s_clause 0x3
	global_load_b128 v[21:24], v[25:26], off offset:16
	global_load_b128 v[25:28], v[25:26], off
	global_load_b64 v[31:32], v[31:32], off
	global_load_b64 v[33:34], v[33:34], off
	s_waitcnt vmcnt(4)
	v_subrev_nc_u32_e32 v3, s12, v3
	s_delay_alu instid0(VALU_DEP_1) | instskip(NEXT) | instid1(VALU_DEP_1)
	v_lshl_add_u32 v29, v3, 1, v3
	v_lshlrev_b64 v[37:38], 3, v[29:30]
	s_delay_alu instid0(VALU_DEP_1) | instskip(NEXT) | instid1(VALU_DEP_2)
	v_add_co_u32 v37, vcc_lo, s10, v37
	v_add_co_ci_u32_e32 v38, vcc_lo, s11, v38, vcc_lo
	global_load_b64 v[37:38], v[37:38], off
	v_add_nc_u32_e32 v6, 1, v29
	s_delay_alu instid0(VALU_DEP_1) | instskip(NEXT) | instid1(VALU_DEP_1)
	v_lshlrev_b64 v[39:40], 3, v[6:7]
	v_add_co_u32 v39, vcc_lo, s10, v39
	s_delay_alu instid0(VALU_DEP_2) | instskip(SKIP_3) | instid1(VALU_DEP_1)
	v_add_co_ci_u32_e32 v40, vcc_lo, s11, v40, vcc_lo
	global_load_b64 v[39:40], v[39:40], off
	s_waitcnt vmcnt(1)
	v_dual_fmac_f32 v15, v24, v37 :: v_dual_add_nc_u32 v6, -7, v4
	v_lshlrev_b64 v[41:42], 3, v[6:7]
	v_dual_fmac_f32 v19, v31, v37 :: v_dual_add_nc_u32 v6, -4, v4
	v_fmac_f32_e32 v13, v34, v37
	v_fmac_f32_e32 v17, v25, v37
	;; [unrolled: 1-line block ×3, first 2 shown]
	s_delay_alu instid0(VALU_DEP_4) | instskip(SKIP_3) | instid1(VALU_DEP_3)
	v_lshlrev_b64 v[43:44], 3, v[6:7]
	v_add_nc_u32_e32 v6, -1, v4
	v_add_co_u32 v41, vcc_lo, s8, v41
	v_add_co_ci_u32_e32 v42, vcc_lo, s9, v42, vcc_lo
	v_lshlrev_b64 v[45:46], 3, v[6:7]
	v_dual_fmac_f32 v13, v33, v38 :: v_dual_add_nc_u32 v6, 2, v29
	v_add_co_u32 v29, vcc_lo, s8, v43
	v_add_co_ci_u32_e32 v30, vcc_lo, s9, v44, vcc_lo
	s_delay_alu instid0(VALU_DEP_4)
	v_add_co_u32 v45, vcc_lo, s8, v45
	v_add_co_ci_u32_e32 v46, vcc_lo, s9, v46, vcc_lo
	global_load_b64 v[41:42], v[41:42], off
	v_lshlrev_b64 v[43:44], 3, v[6:7]
	v_fma_f32 v3, -v26, v38, v17
	global_load_b64 v[45:46], v[45:46], off
	v_add_nc_u32_e32 v6, -6, v4
	v_fmac_f32_e32 v20, v23, v37
	global_load_b64 v[29:30], v[29:30], off
	s_waitcnt vmcnt(3)
	v_fmac_f32_e32 v3, v27, v39
	v_add_co_u32 v43, vcc_lo, s10, v43
	v_lshlrev_b64 v[47:48], 3, v[6:7]
	v_add_co_ci_u32_e32 v44, vcc_lo, s11, v44, vcc_lo
	v_add_nc_u32_e32 v2, 8, v2
	v_fma_f32 v3, -v28, v40, v3
	v_fma_f32 v19, -v32, v38, v19
	v_add_co_u32 v47, vcc_lo, s8, v47
	v_add_co_ci_u32_e32 v48, vcc_lo, s9, v48, vcc_lo
	global_load_b64 v[43:44], v[43:44], off
	s_waitcnt vmcnt(3)
	v_dual_fmac_f32 v14, v32, v37 :: v_dual_fmac_f32 v15, v42, v39
	v_fmac_f32_e32 v12, v26, v37
	s_waitcnt vmcnt(2)
	v_fmac_f32_e32 v13, v46, v39
	v_fma_f32 v17, -v24, v38, v20
	v_fmac_f32_e32 v15, v41, v40
	v_add_nc_u32_e32 v6, -3, v4
	s_waitcnt vmcnt(1)
	v_dual_fmac_f32 v19, v29, v39 :: v_dual_add_nc_u32 v4, 0x60, v4
	v_fmac_f32_e32 v17, v41, v39
	v_fmac_f32_e32 v13, v45, v40
	v_lshlrev_b64 v[5:6], 3, v[6:7]
	s_delay_alu instid0(VALU_DEP_4) | instskip(NEXT) | instid1(VALU_DEP_4)
	v_fma_f32 v19, -v30, v40, v19
	v_fma_f32 v20, -v42, v40, v17
	s_delay_alu instid0(VALU_DEP_3) | instskip(NEXT) | instid1(VALU_DEP_4)
	v_add_co_u32 v5, vcc_lo, s8, v5
	v_add_co_ci_u32_e32 v6, vcc_lo, s9, v6, vcc_lo
	s_clause 0x2
	global_load_b64 v[47:48], v[47:48], off
	global_load_b64 v[5:6], v[5:6], off
	;; [unrolled: 1-line block ×3, first 2 shown]
	v_fmac_f32_e32 v18, v33, v37
	v_fmac_f32_e32 v12, v25, v38
	s_waitcnt vmcnt(3)
	v_dual_fmac_f32 v3, v21, v43 :: v_dual_fmac_f32 v14, v31, v38
	v_cmp_ge_i32_e32 vcc_lo, v2, v16
	s_delay_alu instid0(VALU_DEP_2)
	v_fma_f32 v17, -v22, v44, v3
	s_or_b32 s2, vcc_lo, s2
	s_waitcnt vmcnt(2)
	v_fmac_f32_e32 v15, v48, v43
	v_fma_f32 v18, -v34, v38, v18
	s_waitcnt vmcnt(0)
	v_fmac_f32_e32 v13, v36, v43
	v_fmac_f32_e32 v12, v28, v39
	v_dual_fmac_f32 v14, v30, v39 :: v_dual_fmac_f32 v15, v47, v44
	s_delay_alu instid0(VALU_DEP_3) | instskip(NEXT) | instid1(VALU_DEP_3)
	v_dual_fmac_f32 v18, v45, v39 :: v_dual_fmac_f32 v13, v35, v44
	v_dual_fmac_f32 v12, v27, v40 :: v_dual_fmac_f32 v19, v5, v43
	s_delay_alu instid0(VALU_DEP_3) | instskip(NEXT) | instid1(VALU_DEP_3)
	v_fmac_f32_e32 v14, v29, v40
	v_fma_f32 v18, -v46, v40, v18
	v_fmac_f32_e32 v20, v47, v43
	s_delay_alu instid0(VALU_DEP_4)
	v_fmac_f32_e32 v12, v22, v43
	v_fma_f32 v19, -v6, v44, v19
	v_fmac_f32_e32 v14, v6, v43
	v_fmac_f32_e32 v18, v35, v43
	v_fma_f32 v20, -v48, v44, v20
	v_fmac_f32_e32 v12, v21, v44
	s_delay_alu instid0(VALU_DEP_4) | instskip(NEXT) | instid1(VALU_DEP_4)
	v_fmac_f32_e32 v14, v5, v44
	v_fma_f32 v18, -v36, v44, v18
	s_and_not1_b32 exec_lo, exec_lo, s2
	s_cbranch_execnz .LBB85_21
; %bb.22:
	s_or_b32 exec_lo, exec_lo, s2
.LBB85_23:
	s_delay_alu instid0(SALU_CYCLE_1)
	s_or_b32 exec_lo, exec_lo, s3
.LBB85_24:
	v_mbcnt_lo_u32_b32 v2, -1, 0
	s_delay_alu instid0(VALU_DEP_1) | instskip(SKIP_1) | instid1(VALU_DEP_2)
	v_xor_b32_e32 v3, 4, v2
	v_xor_b32_e32 v23, 2, v2
	v_cmp_gt_i32_e32 vcc_lo, 32, v3
	v_cndmask_b32_e32 v3, v2, v3, vcc_lo
	s_delay_alu instid0(VALU_DEP_3) | instskip(NEXT) | instid1(VALU_DEP_2)
	v_cmp_gt_i32_e32 vcc_lo, 32, v23
	v_lshlrev_b32_e32 v3, 2, v3
	ds_bpermute_b32 v5, v3, v12
	ds_bpermute_b32 v6, v3, v20
	s_waitcnt lgkmcnt(1)
	v_add_f32_e32 v5, v12, v5
	s_waitcnt lgkmcnt(0)
	v_add_f32_e32 v12, v20, v6
	ds_bpermute_b32 v4, v3, v17
	ds_bpermute_b32 v16, v3, v19
	;; [unrolled: 1-line block ×6, first 2 shown]
	s_waitcnt lgkmcnt(5)
	v_dual_cndmask_b32 v23, v2, v23 :: v_dual_add_f32 v4, v17, v4
	s_waitcnt lgkmcnt(4)
	s_delay_alu instid0(VALU_DEP_1)
	v_dual_add_f32 v16, v19, v16 :: v_dual_lshlrev_b32 v23, 2, v23
	s_waitcnt lgkmcnt(0)
	v_dual_add_f32 v18, v18, v22 :: v_dual_add_f32 v19, v13, v3
	ds_bpermute_b32 v3, v23, v4
	v_add_f32_e32 v17, v14, v21
	ds_bpermute_b32 v14, v23, v16
	ds_bpermute_b32 v6, v23, v5
	v_add_f32_e32 v15, v15, v7
	ds_bpermute_b32 v7, v23, v12
	ds_bpermute_b32 v20, v23, v17
	;; [unrolled: 1-line block ×4, first 2 shown]
	s_waitcnt lgkmcnt(5)
	v_add_f32_e32 v14, v16, v14
	ds_bpermute_b32 v22, v23, v19
	v_xor_b32_e32 v23, 1, v2
	s_waitcnt lgkmcnt(4)
	v_add_f32_e32 v7, v12, v7
	s_delay_alu instid0(VALU_DEP_2) | instskip(SKIP_4) | instid1(VALU_DEP_3)
	v_cmp_gt_i32_e32 vcc_lo, 32, v23
	v_cndmask_b32_e32 v2, v2, v23, vcc_lo
	s_waitcnt lgkmcnt(1)
	v_dual_add_f32 v6, v5, v6 :: v_dual_add_f32 v13, v15, v13
	v_cmp_eq_u32_e32 vcc_lo, 7, v0
	v_dual_add_f32 v2, v4, v3 :: v_dual_lshlrev_b32 v23, 2, v2
	v_add_f32_e32 v15, v17, v20
	v_add_f32_e32 v3, v18, v21
	s_waitcnt lgkmcnt(0)
	v_add_f32_e32 v5, v19, v22
	ds_bpermute_b32 v12, v23, v6
	ds_bpermute_b32 v4, v23, v2
	;; [unrolled: 1-line block ×8, first 2 shown]
	s_and_b32 exec_lo, exec_lo, vcc_lo
	s_cbranch_execz .LBB85_29
; %bb.25:
	s_load_b64 s[2:3], s[0:1], 0x38
	v_cmp_eq_f32_e32 vcc_lo, 0, v10
	v_cmp_eq_f32_e64 s0, 0, v11
	s_waitcnt lgkmcnt(0)
	v_add_f32_e32 v4, v2, v4
	v_dual_add_f32 v12, v6, v12 :: v_dual_add_f32 v5, v5, v17
	v_dual_add_f32 v0, v7, v18 :: v_dual_add_f32 v7, v13, v19
	v_add_f32_e32 v2, v14, v20
	v_add_f32_e32 v6, v15, v21
	;; [unrolled: 1-line block ×3, first 2 shown]
	s_and_b32 s0, vcc_lo, s0
	s_delay_alu instid0(SALU_CYCLE_1) | instskip(NEXT) | instid1(SALU_CYCLE_1)
	s_and_saveexec_b32 s1, s0
	s_xor_b32 s0, exec_lo, s1
	s_cbranch_execz .LBB85_27
; %bb.26:
	v_dual_mul_f32 v11, v12, v8 :: v_dual_lshlrev_b32 v16, 2, v1
	v_mul_f32_e64 v10, v12, -v9
	v_mul_f32_e64 v12, v7, -v9
	;; [unrolled: 1-line block ×3, first 2 shown]
	s_delay_alu instid0(VALU_DEP_4) | instskip(SKIP_2) | instid1(VALU_DEP_4)
	v_ashrrev_i32_e32 v17, 31, v16
	v_mul_f32_e32 v13, v7, v8
	v_mul_f32_e32 v15, v6, v8
	v_dual_fmac_f32 v11, v9, v4 :: v_dual_fmac_f32 v14, v8, v2
	s_delay_alu instid0(VALU_DEP_4) | instskip(SKIP_4) | instid1(VALU_DEP_4)
	v_lshlrev_b64 v[6:7], 3, v[16:17]
	v_mul_f32_e64 v16, v5, -v9
	v_mul_f32_e32 v17, v5, v8
	v_fmac_f32_e32 v12, v8, v0
	v_fmac_f32_e32 v13, v9, v0
                                        ; implicit-def: $vgpr1
                                        ; implicit-def: $vgpr0
                                        ; implicit-def: $vgpr5
	v_fmac_f32_e32 v16, v8, v3
	s_delay_alu instid0(VALU_DEP_4)
	v_fmac_f32_e32 v17, v9, v3
	v_add_co_u32 v6, vcc_lo, s2, v6
	v_dual_fmac_f32 v10, v8, v4 :: v_dual_fmac_f32 v15, v9, v2
	v_add_co_ci_u32_e32 v7, vcc_lo, s3, v7, vcc_lo
	s_clause 0x1
	global_store_b128 v[6:7], v[10:13], off
	global_store_b128 v[6:7], v[14:17], off offset:16
                                        ; implicit-def: $vgpr8
                                        ; implicit-def: $vgpr9
                                        ; implicit-def: $vgpr10
                                        ; implicit-def: $vgpr11
                                        ; implicit-def: $vgpr4
                                        ; implicit-def: $vgpr12
                                        ; implicit-def: $vgpr7
                                        ; implicit-def: $vgpr2
                                        ; implicit-def: $vgpr6
                                        ; implicit-def: $vgpr3
.LBB85_27:
	s_and_not1_saveexec_b32 s0, s0
	s_cbranch_execz .LBB85_29
; %bb.28:
	v_dual_mul_f32 v22, v12, v8 :: v_dual_lshlrev_b32 v13, 2, v1
	v_mul_f32_e64 v1, v12, -v9
	v_mul_f32_e32 v26, v6, v8
	v_mul_f32_e64 v12, v7, -v9
	s_delay_alu instid0(VALU_DEP_4)
	v_ashrrev_i32_e32 v14, 31, v13
	v_mul_f32_e32 v24, v7, v8
	v_mul_f32_e64 v7, v6, -v9
	v_mul_f32_e64 v6, v5, -v9
	v_dual_fmac_f32 v1, v8, v4 :: v_dual_fmac_f32 v26, v9, v2
	v_lshlrev_b64 v[13:14], 3, v[13:14]
	v_fmac_f32_e32 v12, v8, v0
	v_dual_fmac_f32 v7, v8, v2 :: v_dual_fmac_f32 v24, v9, v0
	v_fmac_f32_e32 v6, v8, v3
	s_delay_alu instid0(VALU_DEP_4)
	v_add_co_u32 v29, vcc_lo, s2, v13
	v_add_co_ci_u32_e32 v30, vcc_lo, s3, v14, vcc_lo
	s_clause 0x1
	global_load_b128 v[13:16], v[29:30], off
	global_load_b128 v[17:20], v[29:30], off offset:16
	v_mul_f32_e32 v28, v5, v8
	s_waitcnt vmcnt(1)
	v_dual_fmac_f32 v22, v9, v4 :: v_dual_fmac_f32 v1, v10, v13
	s_waitcnt vmcnt(0)
	s_delay_alu instid0(VALU_DEP_2) | instskip(NEXT) | instid1(VALU_DEP_2)
	v_dual_fmac_f32 v7, v10, v17 :: v_dual_fmac_f32 v28, v9, v3
	v_fmac_f32_e32 v22, v11, v13
	v_fmac_f32_e32 v12, v10, v15
	;; [unrolled: 1-line block ×6, first 2 shown]
	v_fma_f32 v21, -v11, v14, v1
	v_fmac_f32_e32 v22, v10, v14
	v_fma_f32 v23, -v11, v16, v12
	v_fmac_f32_e32 v24, v10, v16
	;; [unrolled: 2-line block ×4, first 2 shown]
	s_clause 0x1
	global_store_b128 v[29:30], v[21:24], off
	global_store_b128 v[29:30], v[25:28], off offset:16
.LBB85_29:
	s_nop 0
	s_sendmsg sendmsg(MSG_DEALLOC_VGPRS)
	s_endpgm
	.section	.rodata,"a",@progbits
	.p2align	6, 0x0
	.amdhsa_kernel _ZN9rocsparseL19gebsrmvn_4xn_kernelILj128ELj3ELj8E21rocsparse_complex_numIfEEEvi20rocsparse_direction_NS_24const_host_device_scalarIT2_EEPKiS8_PKS5_SA_S6_PS5_21rocsparse_index_base_b
		.amdhsa_group_segment_fixed_size 0
		.amdhsa_private_segment_fixed_size 0
		.amdhsa_kernarg_size 72
		.amdhsa_user_sgpr_count 15
		.amdhsa_user_sgpr_dispatch_ptr 0
		.amdhsa_user_sgpr_queue_ptr 0
		.amdhsa_user_sgpr_kernarg_segment_ptr 1
		.amdhsa_user_sgpr_dispatch_id 0
		.amdhsa_user_sgpr_private_segment_size 0
		.amdhsa_wavefront_size32 1
		.amdhsa_uses_dynamic_stack 0
		.amdhsa_enable_private_segment 0
		.amdhsa_system_sgpr_workgroup_id_x 1
		.amdhsa_system_sgpr_workgroup_id_y 0
		.amdhsa_system_sgpr_workgroup_id_z 0
		.amdhsa_system_sgpr_workgroup_info 0
		.amdhsa_system_vgpr_workitem_id 0
		.amdhsa_next_free_vgpr 51
		.amdhsa_next_free_sgpr 16
		.amdhsa_reserve_vcc 1
		.amdhsa_float_round_mode_32 0
		.amdhsa_float_round_mode_16_64 0
		.amdhsa_float_denorm_mode_32 3
		.amdhsa_float_denorm_mode_16_64 3
		.amdhsa_dx10_clamp 1
		.amdhsa_ieee_mode 1
		.amdhsa_fp16_overflow 0
		.amdhsa_workgroup_processor_mode 1
		.amdhsa_memory_ordered 1
		.amdhsa_forward_progress 0
		.amdhsa_shared_vgpr_count 0
		.amdhsa_exception_fp_ieee_invalid_op 0
		.amdhsa_exception_fp_denorm_src 0
		.amdhsa_exception_fp_ieee_div_zero 0
		.amdhsa_exception_fp_ieee_overflow 0
		.amdhsa_exception_fp_ieee_underflow 0
		.amdhsa_exception_fp_ieee_inexact 0
		.amdhsa_exception_int_div_zero 0
	.end_amdhsa_kernel
	.section	.text._ZN9rocsparseL19gebsrmvn_4xn_kernelILj128ELj3ELj8E21rocsparse_complex_numIfEEEvi20rocsparse_direction_NS_24const_host_device_scalarIT2_EEPKiS8_PKS5_SA_S6_PS5_21rocsparse_index_base_b,"axG",@progbits,_ZN9rocsparseL19gebsrmvn_4xn_kernelILj128ELj3ELj8E21rocsparse_complex_numIfEEEvi20rocsparse_direction_NS_24const_host_device_scalarIT2_EEPKiS8_PKS5_SA_S6_PS5_21rocsparse_index_base_b,comdat
.Lfunc_end85:
	.size	_ZN9rocsparseL19gebsrmvn_4xn_kernelILj128ELj3ELj8E21rocsparse_complex_numIfEEEvi20rocsparse_direction_NS_24const_host_device_scalarIT2_EEPKiS8_PKS5_SA_S6_PS5_21rocsparse_index_base_b, .Lfunc_end85-_ZN9rocsparseL19gebsrmvn_4xn_kernelILj128ELj3ELj8E21rocsparse_complex_numIfEEEvi20rocsparse_direction_NS_24const_host_device_scalarIT2_EEPKiS8_PKS5_SA_S6_PS5_21rocsparse_index_base_b
                                        ; -- End function
	.section	.AMDGPU.csdata,"",@progbits
; Kernel info:
; codeLenInByte = 2948
; NumSgprs: 18
; NumVgprs: 51
; ScratchSize: 0
; MemoryBound: 0
; FloatMode: 240
; IeeeMode: 1
; LDSByteSize: 0 bytes/workgroup (compile time only)
; SGPRBlocks: 2
; VGPRBlocks: 6
; NumSGPRsForWavesPerEU: 18
; NumVGPRsForWavesPerEU: 51
; Occupancy: 16
; WaveLimiterHint : 1
; COMPUTE_PGM_RSRC2:SCRATCH_EN: 0
; COMPUTE_PGM_RSRC2:USER_SGPR: 15
; COMPUTE_PGM_RSRC2:TRAP_HANDLER: 0
; COMPUTE_PGM_RSRC2:TGID_X_EN: 1
; COMPUTE_PGM_RSRC2:TGID_Y_EN: 0
; COMPUTE_PGM_RSRC2:TGID_Z_EN: 0
; COMPUTE_PGM_RSRC2:TIDIG_COMP_CNT: 0
	.section	.text._ZN9rocsparseL19gebsrmvn_4xn_kernelILj128ELj3ELj16E21rocsparse_complex_numIfEEEvi20rocsparse_direction_NS_24const_host_device_scalarIT2_EEPKiS8_PKS5_SA_S6_PS5_21rocsparse_index_base_b,"axG",@progbits,_ZN9rocsparseL19gebsrmvn_4xn_kernelILj128ELj3ELj16E21rocsparse_complex_numIfEEEvi20rocsparse_direction_NS_24const_host_device_scalarIT2_EEPKiS8_PKS5_SA_S6_PS5_21rocsparse_index_base_b,comdat
	.globl	_ZN9rocsparseL19gebsrmvn_4xn_kernelILj128ELj3ELj16E21rocsparse_complex_numIfEEEvi20rocsparse_direction_NS_24const_host_device_scalarIT2_EEPKiS8_PKS5_SA_S6_PS5_21rocsparse_index_base_b ; -- Begin function _ZN9rocsparseL19gebsrmvn_4xn_kernelILj128ELj3ELj16E21rocsparse_complex_numIfEEEvi20rocsparse_direction_NS_24const_host_device_scalarIT2_EEPKiS8_PKS5_SA_S6_PS5_21rocsparse_index_base_b
	.p2align	8
	.type	_ZN9rocsparseL19gebsrmvn_4xn_kernelILj128ELj3ELj16E21rocsparse_complex_numIfEEEvi20rocsparse_direction_NS_24const_host_device_scalarIT2_EEPKiS8_PKS5_SA_S6_PS5_21rocsparse_index_base_b,@function
_ZN9rocsparseL19gebsrmvn_4xn_kernelILj128ELj3ELj16E21rocsparse_complex_numIfEEEvi20rocsparse_direction_NS_24const_host_device_scalarIT2_EEPKiS8_PKS5_SA_S6_PS5_21rocsparse_index_base_b: ; @_ZN9rocsparseL19gebsrmvn_4xn_kernelILj128ELj3ELj16E21rocsparse_complex_numIfEEEvi20rocsparse_direction_NS_24const_host_device_scalarIT2_EEPKiS8_PKS5_SA_S6_PS5_21rocsparse_index_base_b
; %bb.0:
	s_clause 0x2
	s_load_b64 s[12:13], s[0:1], 0x40
	s_load_b64 s[4:5], s[0:1], 0x8
	;; [unrolled: 1-line block ×3, first 2 shown]
	s_waitcnt lgkmcnt(0)
	s_bitcmp1_b32 s13, 0
	v_mov_b32_e32 v8, s4
	s_cselect_b32 s6, -1, 0
	s_delay_alu instid0(SALU_CYCLE_1)
	s_and_b32 vcc_lo, exec_lo, s6
	s_xor_b32 s6, s6, -1
	s_cbranch_vccz .LBB86_15
; %bb.1:
	v_cndmask_b32_e64 v1, 0, 1, s6
	v_mov_b32_e32 v9, s5
	s_and_not1_b32 vcc_lo, exec_lo, s6
	s_cbranch_vccz .LBB86_16
.LBB86_2:
	s_delay_alu instid0(VALU_DEP_2)
	v_cmp_ne_u32_e32 vcc_lo, 1, v1
	v_mov_b32_e32 v10, s2
	s_cbranch_vccz .LBB86_17
.LBB86_3:
	v_cmp_ne_u32_e32 vcc_lo, 1, v1
	v_mov_b32_e32 v11, s3
	s_cbranch_vccnz .LBB86_5
.LBB86_4:
	v_dual_mov_b32 v1, s2 :: v_dual_mov_b32 v2, s3
	flat_load_b32 v11, v[1:2] offset:4
.LBB86_5:
	s_waitcnt vmcnt(0) lgkmcnt(0)
	v_cmp_eq_f32_e32 vcc_lo, 0, v8
	v_cmp_eq_f32_e64 s2, 0, v9
	s_delay_alu instid0(VALU_DEP_1)
	s_and_b32 s4, vcc_lo, s2
	s_mov_b32 s2, -1
	s_and_saveexec_b32 s3, s4
; %bb.6:
	v_cmp_neq_f32_e32 vcc_lo, 1.0, v10
	v_cmp_neq_f32_e64 s2, 0, v11
	s_delay_alu instid0(VALU_DEP_1) | instskip(NEXT) | instid1(SALU_CYCLE_1)
	s_or_b32 s2, vcc_lo, s2
	s_or_not1_b32 s2, s2, exec_lo
; %bb.7:
	s_or_b32 exec_lo, exec_lo, s3
	s_and_saveexec_b32 s3, s2
	s_cbranch_execz .LBB86_29
; %bb.8:
	s_load_b64 s[2:3], s[0:1], 0x0
	v_lshrrev_b32_e32 v1, 4, v0
	s_delay_alu instid0(VALU_DEP_1) | instskip(SKIP_1) | instid1(VALU_DEP_1)
	v_lshl_or_b32 v1, s15, 3, v1
	s_waitcnt lgkmcnt(0)
	v_cmp_gt_i32_e32 vcc_lo, s2, v1
	s_and_b32 exec_lo, exec_lo, vcc_lo
	s_cbranch_execz .LBB86_29
; %bb.9:
	s_load_b256 s[4:11], s[0:1], 0x10
	v_ashrrev_i32_e32 v2, 31, v1
	v_and_b32_e32 v0, 15, v0
	s_cmp_lg_u32 s3, 0
	s_delay_alu instid0(VALU_DEP_2) | instskip(SKIP_1) | instid1(VALU_DEP_1)
	v_lshlrev_b64 v[2:3], 2, v[1:2]
	s_waitcnt lgkmcnt(0)
	v_add_co_u32 v2, vcc_lo, s4, v2
	s_delay_alu instid0(VALU_DEP_2) | instskip(SKIP_4) | instid1(VALU_DEP_2)
	v_add_co_ci_u32_e32 v3, vcc_lo, s5, v3, vcc_lo
	global_load_b64 v[2:3], v[2:3], off
	s_waitcnt vmcnt(0)
	v_subrev_nc_u32_e32 v2, s12, v2
	v_subrev_nc_u32_e32 v19, s12, v3
	v_add_nc_u32_e32 v2, v2, v0
	s_delay_alu instid0(VALU_DEP_1)
	v_cmp_lt_i32_e64 s2, v2, v19
	s_cbranch_scc0 .LBB86_18
; %bb.10:
	v_dual_mov_b32 v12, 0 :: v_dual_mov_b32 v17, 0
	v_dual_mov_b32 v16, 0 :: v_dual_mov_b32 v13, 0
	;; [unrolled: 1-line block ×3, first 2 shown]
	v_mov_b32_e32 v14, 0
	v_mov_b32_e32 v20, 0
	s_mov_b32 s3, 0
	s_and_saveexec_b32 s4, s2
	s_cbranch_execz .LBB86_14
; %bb.11:
	v_dual_mov_b32 v4, 0 :: v_dual_mov_b32 v5, v2
	v_mul_lo_u32 v3, v2, 12
	s_mov_b32 s5, 0
	s_delay_alu instid0(VALU_DEP_2)
	v_mov_b32_e32 v12, v4
	v_mov_b32_e32 v16, v4
	;; [unrolled: 1-line block ×8, first 2 shown]
.LBB86_12:                              ; =>This Inner Loop Header: Depth=1
	v_ashrrev_i32_e32 v6, 31, v5
	v_dual_mov_b32 v22, v4 :: v_dual_add_nc_u32 v21, 4, v3
	v_dual_mov_b32 v24, v4 :: v_dual_add_nc_u32 v23, 8, v3
	s_delay_alu instid0(VALU_DEP_3) | instskip(SKIP_1) | instid1(VALU_DEP_4)
	v_lshlrev_b64 v[6:7], 2, v[5:6]
	v_mov_b32_e32 v50, v4
	v_lshlrev_b64 v[21:22], 3, v[21:22]
	s_delay_alu instid0(VALU_DEP_4) | instskip(NEXT) | instid1(VALU_DEP_4)
	v_lshlrev_b64 v[23:24], 3, v[23:24]
	v_add_co_u32 v6, vcc_lo, s6, v6
	v_add_co_ci_u32_e32 v7, vcc_lo, s7, v7, vcc_lo
	global_load_b32 v45, v[6:7], off
	v_lshlrev_b64 v[6:7], 3, v[3:4]
	v_add_nc_u32_e32 v3, 0xc0, v3
	s_delay_alu instid0(VALU_DEP_2) | instskip(NEXT) | instid1(VALU_DEP_3)
	v_add_co_u32 v6, vcc_lo, s8, v6
	v_add_co_ci_u32_e32 v7, vcc_lo, s9, v7, vcc_lo
	v_add_co_u32 v33, vcc_lo, s8, v21
	v_add_co_ci_u32_e32 v34, vcc_lo, s9, v22, vcc_lo
	;; [unrolled: 2-line block ×3, first 2 shown]
	s_clause 0x5
	global_load_b128 v[21:24], v[6:7], off offset:16
	global_load_b128 v[25:28], v[6:7], off
	global_load_b128 v[29:32], v[33:34], off offset:16
	global_load_b128 v[33:36], v[33:34], off
	;; [unrolled: 2-line block ×3, first 2 shown]
	s_waitcnt vmcnt(6)
	v_subrev_nc_u32_e32 v6, s12, v45
	s_delay_alu instid0(VALU_DEP_1) | instskip(SKIP_1) | instid1(VALU_DEP_2)
	v_lshl_add_u32 v45, v6, 1, v6
	v_mov_b32_e32 v46, v4
	v_dual_mov_b32 v48, v4 :: v_dual_add_nc_u32 v49, 2, v45
	v_add_nc_u32_e32 v47, 1, v45
	s_delay_alu instid0(VALU_DEP_3) | instskip(NEXT) | instid1(VALU_DEP_2)
	v_lshlrev_b64 v[6:7], 3, v[45:46]
	v_lshlrev_b64 v[45:46], 3, v[47:48]
	s_delay_alu instid0(VALU_DEP_4) | instskip(NEXT) | instid1(VALU_DEP_3)
	v_lshlrev_b64 v[47:48], 3, v[49:50]
	v_add_co_u32 v6, vcc_lo, s10, v6
	s_delay_alu instid0(VALU_DEP_4) | instskip(NEXT) | instid1(VALU_DEP_4)
	v_add_co_ci_u32_e32 v7, vcc_lo, s11, v7, vcc_lo
	v_add_co_u32 v45, vcc_lo, s10, v45
	v_add_co_ci_u32_e32 v46, vcc_lo, s11, v46, vcc_lo
	global_load_b64 v[6:7], v[6:7], off
	v_add_co_u32 v47, vcc_lo, s10, v47
	v_add_co_ci_u32_e32 v48, vcc_lo, s11, v48, vcc_lo
	s_clause 0x1
	global_load_b64 v[45:46], v[45:46], off
	global_load_b64 v[47:48], v[47:48], off
	s_waitcnt vmcnt(2)
	v_dual_fmac_f32 v16, v25, v6 :: v_dual_add_nc_u32 v5, 16, v5
	v_fmac_f32_e32 v15, v28, v6
	v_fmac_f32_e32 v12, v26, v6
	;; [unrolled: 1-line block ×4, first 2 shown]
	s_delay_alu instid0(VALU_DEP_4)
	v_dual_fmac_f32 v18, v21, v6 :: v_dual_fmac_f32 v15, v27, v7
	v_fmac_f32_e32 v20, v27, v6
	v_fmac_f32_e32 v12, v25, v7
	v_fma_f32 v17, -v24, v7, v17
	v_fmac_f32_e32 v14, v22, v6
	v_fma_f32 v6, -v26, v7, v16
	s_waitcnt vmcnt(1)
	v_fmac_f32_e32 v15, v36, v45
	v_fma_f32 v16, -v28, v7, v20
	v_dual_fmac_f32 v17, v31, v45 :: v_dual_fmac_f32 v14, v21, v7
	v_dual_fmac_f32 v6, v33, v45 :: v_dual_fmac_f32 v13, v23, v7
	v_fma_f32 v18, -v22, v7, v18
	v_dual_fmac_f32 v12, v34, v45 :: v_dual_fmac_f32 v15, v35, v46
	v_fmac_f32_e32 v16, v35, v45
	s_delay_alu instid0(VALU_DEP_4) | instskip(SKIP_1) | instid1(VALU_DEP_4)
	v_fmac_f32_e32 v13, v32, v45
	v_fma_f32 v6, -v34, v46, v6
	v_fmac_f32_e32 v12, v33, v46
	s_waitcnt vmcnt(0)
	v_dual_fmac_f32 v18, v29, v45 :: v_dual_fmac_f32 v15, v44, v47
	v_fmac_f32_e32 v13, v31, v46
	v_fma_f32 v7, -v36, v46, v16
	v_fmac_f32_e32 v14, v30, v45
	s_delay_alu instid0(VALU_DEP_4) | instskip(SKIP_2) | instid1(VALU_DEP_4)
	v_fma_f32 v18, -v30, v46, v18
	v_fma_f32 v17, -v32, v46, v17
	v_dual_fmac_f32 v6, v41, v47 :: v_dual_fmac_f32 v15, v43, v48
	v_dual_fmac_f32 v7, v43, v47 :: v_dual_fmac_f32 v14, v29, v46
	s_delay_alu instid0(VALU_DEP_3)
	v_fmac_f32_e32 v17, v39, v47
	v_fmac_f32_e32 v18, v37, v47
	;; [unrolled: 1-line block ×5, first 2 shown]
	v_cmp_ge_i32_e32 vcc_lo, v5, v19
	v_fma_f32 v16, -v42, v48, v6
	v_fmac_f32_e32 v13, v39, v48
	v_fmac_f32_e32 v12, v41, v48
	v_fma_f32 v20, -v44, v48, v7
	v_fma_f32 v18, -v38, v48, v18
	v_fmac_f32_e32 v14, v37, v48
	v_fma_f32 v17, -v40, v48, v17
	s_or_b32 s5, vcc_lo, s5
	s_delay_alu instid0(SALU_CYCLE_1)
	s_and_not1_b32 exec_lo, exec_lo, s5
	s_cbranch_execnz .LBB86_12
; %bb.13:
	s_or_b32 exec_lo, exec_lo, s5
.LBB86_14:
	s_delay_alu instid0(SALU_CYCLE_1) | instskip(NEXT) | instid1(SALU_CYCLE_1)
	s_or_b32 exec_lo, exec_lo, s4
	s_and_not1_b32 vcc_lo, exec_lo, s3
	s_cbranch_vccz .LBB86_19
	s_branch .LBB86_24
.LBB86_15:
	v_dual_mov_b32 v1, s4 :: v_dual_mov_b32 v2, s5
	flat_load_b32 v8, v[1:2]
	v_cndmask_b32_e64 v1, 0, 1, s6
	v_mov_b32_e32 v9, s5
	s_and_not1_b32 vcc_lo, exec_lo, s6
	s_cbranch_vccnz .LBB86_2
.LBB86_16:
	v_dual_mov_b32 v2, s4 :: v_dual_mov_b32 v3, s5
	flat_load_b32 v9, v[2:3] offset:4
	v_cmp_ne_u32_e32 vcc_lo, 1, v1
	v_mov_b32_e32 v10, s2
	s_cbranch_vccnz .LBB86_3
.LBB86_17:
	v_dual_mov_b32 v2, s2 :: v_dual_mov_b32 v3, s3
	flat_load_b32 v10, v[2:3]
	v_cmp_ne_u32_e32 vcc_lo, 1, v1
	v_mov_b32_e32 v11, s3
	s_cbranch_vccz .LBB86_4
	s_branch .LBB86_5
.LBB86_18:
                                        ; implicit-def: $vgpr12
                                        ; implicit-def: $vgpr16
                                        ; implicit-def: $vgpr17
                                        ; implicit-def: $vgpr13
                                        ; implicit-def: $vgpr18
                                        ; implicit-def: $vgpr14
                                        ; implicit-def: $vgpr20
                                        ; implicit-def: $vgpr15
.LBB86_19:
	v_dual_mov_b32 v12, 0 :: v_dual_mov_b32 v17, 0
	v_dual_mov_b32 v16, 0 :: v_dual_mov_b32 v13, 0
	;; [unrolled: 1-line block ×3, first 2 shown]
	v_mov_b32_e32 v14, 0
	v_mov_b32_e32 v20, 0
	s_and_saveexec_b32 s3, s2
	s_cbranch_execz .LBB86_23
; %bb.20:
	v_mad_u64_u32 v[4:5], null, v2, 12, 11
	v_dual_mov_b32 v7, 0 :: v_dual_mov_b32 v12, 0
	v_dual_mov_b32 v16, 0 :: v_dual_mov_b32 v17, 0
	;; [unrolled: 1-line block ×4, first 2 shown]
	v_mov_b32_e32 v20, 0
	s_mov_b32 s2, 0
.LBB86_21:                              ; =>This Inner Loop Header: Depth=1
	v_ashrrev_i32_e32 v3, 31, v2
	v_dual_mov_b32 v30, v7 :: v_dual_add_nc_u32 v21, -5, v4
	v_dual_mov_b32 v22, v7 :: v_dual_add_nc_u32 v23, -2, v4
	s_delay_alu instid0(VALU_DEP_3) | instskip(SKIP_1) | instid1(VALU_DEP_3)
	v_lshlrev_b64 v[5:6], 2, v[2:3]
	v_mov_b32_e32 v24, v7
	v_lshlrev_b64 v[21:22], 3, v[21:22]
	s_delay_alu instid0(VALU_DEP_2) | instskip(NEXT) | instid1(VALU_DEP_4)
	v_lshlrev_b64 v[23:24], 3, v[23:24]
	v_add_co_u32 v5, vcc_lo, s6, v5
	v_add_co_ci_u32_e32 v6, vcc_lo, s7, v6, vcc_lo
	global_load_b32 v3, v[5:6], off
	v_dual_mov_b32 v5, v7 :: v_dual_add_nc_u32 v6, -11, v4
	s_delay_alu instid0(VALU_DEP_1) | instskip(NEXT) | instid1(VALU_DEP_2)
	v_lshlrev_b64 v[25:26], 3, v[6:7]
	v_lshlrev_b64 v[5:6], 3, v[4:5]
	s_delay_alu instid0(VALU_DEP_2) | instskip(NEXT) | instid1(VALU_DEP_3)
	v_add_co_u32 v25, vcc_lo, s8, v25
	v_add_co_ci_u32_e32 v26, vcc_lo, s9, v26, vcc_lo
	v_add_co_u32 v31, vcc_lo, s8, v21
	v_add_co_ci_u32_e32 v32, vcc_lo, s9, v22, vcc_lo
	;; [unrolled: 2-line block ×4, first 2 shown]
	s_clause 0x3
	global_load_b128 v[21:24], v[25:26], off offset:16
	global_load_b128 v[25:28], v[25:26], off
	global_load_b64 v[31:32], v[31:32], off
	global_load_b64 v[33:34], v[33:34], off
	s_waitcnt vmcnt(4)
	v_subrev_nc_u32_e32 v3, s12, v3
	s_delay_alu instid0(VALU_DEP_1) | instskip(NEXT) | instid1(VALU_DEP_1)
	v_lshl_add_u32 v29, v3, 1, v3
	v_lshlrev_b64 v[37:38], 3, v[29:30]
	s_delay_alu instid0(VALU_DEP_1) | instskip(NEXT) | instid1(VALU_DEP_2)
	v_add_co_u32 v37, vcc_lo, s10, v37
	v_add_co_ci_u32_e32 v38, vcc_lo, s11, v38, vcc_lo
	global_load_b64 v[37:38], v[37:38], off
	v_add_nc_u32_e32 v6, 1, v29
	s_delay_alu instid0(VALU_DEP_1) | instskip(NEXT) | instid1(VALU_DEP_1)
	v_lshlrev_b64 v[39:40], 3, v[6:7]
	v_add_co_u32 v39, vcc_lo, s10, v39
	s_delay_alu instid0(VALU_DEP_2) | instskip(SKIP_3) | instid1(VALU_DEP_1)
	v_add_co_ci_u32_e32 v40, vcc_lo, s11, v40, vcc_lo
	global_load_b64 v[39:40], v[39:40], off
	s_waitcnt vmcnt(1)
	v_dual_fmac_f32 v15, v24, v37 :: v_dual_add_nc_u32 v6, -7, v4
	v_lshlrev_b64 v[41:42], 3, v[6:7]
	v_dual_fmac_f32 v13, v34, v37 :: v_dual_add_nc_u32 v6, -4, v4
	v_fmac_f32_e32 v16, v25, v37
	v_fmac_f32_e32 v17, v33, v37
	;; [unrolled: 1-line block ×3, first 2 shown]
	s_delay_alu instid0(VALU_DEP_4) | instskip(SKIP_3) | instid1(VALU_DEP_3)
	v_lshlrev_b64 v[43:44], 3, v[6:7]
	v_dual_fmac_f32 v13, v33, v38 :: v_dual_add_nc_u32 v6, -1, v4
	v_add_co_u32 v41, vcc_lo, s8, v41
	v_add_co_ci_u32_e32 v42, vcc_lo, s9, v42, vcc_lo
	v_lshlrev_b64 v[45:46], 3, v[6:7]
	v_fma_f32 v3, -v26, v38, v16
	v_add_nc_u32_e32 v6, 2, v29
	v_add_co_u32 v29, vcc_lo, s8, v43
	v_add_co_ci_u32_e32 v30, vcc_lo, s9, v44, vcc_lo
	s_waitcnt vmcnt(0)
	v_fmac_f32_e32 v3, v27, v39
	v_add_co_u32 v45, vcc_lo, s8, v45
	global_load_b64 v[41:42], v[41:42], off
	v_add_co_ci_u32_e32 v46, vcc_lo, s9, v46, vcc_lo
	v_lshlrev_b64 v[43:44], 3, v[6:7]
	v_add_nc_u32_e32 v6, -6, v4
	v_fma_f32 v17, -v34, v38, v17
	s_clause 0x1
	global_load_b64 v[45:46], v[45:46], off
	global_load_b64 v[29:30], v[29:30], off
	v_fma_f32 v3, -v28, v40, v3
	v_add_co_u32 v43, vcc_lo, s10, v43
	v_add_co_ci_u32_e32 v44, vcc_lo, s11, v44, vcc_lo
	global_load_b64 v[43:44], v[43:44], off
	v_fmac_f32_e32 v12, v26, v37
	s_waitcnt vmcnt(3)
	v_fmac_f32_e32 v15, v42, v39
	v_lshlrev_b64 v[47:48], 3, v[6:7]
	v_add_nc_u32_e32 v6, -3, v4
	v_add_nc_u32_e32 v4, 0xc0, v4
	s_delay_alu instid0(VALU_DEP_4)
	v_dual_fmac_f32 v15, v41, v40 :: v_dual_add_nc_u32 v2, 16, v2
	s_waitcnt vmcnt(2)
	v_fmac_f32_e32 v17, v45, v39
	v_lshlrev_b64 v[5:6], 3, v[6:7]
	v_add_co_u32 v47, vcc_lo, s8, v47
	v_add_co_ci_u32_e32 v48, vcc_lo, s9, v48, vcc_lo
	v_fmac_f32_e32 v13, v46, v39
	s_delay_alu instid0(VALU_DEP_4)
	v_add_co_u32 v5, vcc_lo, s8, v5
	v_add_co_ci_u32_e32 v6, vcc_lo, s9, v6, vcc_lo
	s_clause 0x2
	global_load_b64 v[47:48], v[47:48], off
	global_load_b64 v[5:6], v[5:6], off
	;; [unrolled: 1-line block ×3, first 2 shown]
	v_dual_fmac_f32 v20, v23, v37 :: v_dual_fmac_f32 v13, v45, v40
	v_fmac_f32_e32 v18, v31, v37
	v_fma_f32 v17, -v46, v40, v17
	v_fmac_f32_e32 v14, v32, v37
	s_delay_alu instid0(VALU_DEP_4) | instskip(SKIP_3) | instid1(VALU_DEP_3)
	v_fma_f32 v16, -v24, v38, v20
	s_waitcnt vmcnt(3)
	v_fmac_f32_e32 v3, v21, v43
	v_cmp_ge_i32_e32 vcc_lo, v2, v19
	v_fmac_f32_e32 v16, v41, v39
	s_or_b32 s2, vcc_lo, s2
	s_delay_alu instid0(VALU_DEP_1)
	v_fma_f32 v20, -v42, v40, v16
	v_fma_f32 v16, -v22, v44, v3
	s_waitcnt vmcnt(2)
	v_dual_fmac_f32 v15, v48, v43 :: v_dual_fmac_f32 v12, v25, v38
	s_waitcnt vmcnt(0)
	v_fmac_f32_e32 v17, v35, v43
	v_dual_fmac_f32 v14, v31, v38 :: v_dual_fmac_f32 v13, v36, v43
	s_delay_alu instid0(VALU_DEP_3) | instskip(SKIP_2) | instid1(VALU_DEP_4)
	v_fmac_f32_e32 v15, v47, v44
	v_fma_f32 v18, -v32, v38, v18
	v_fmac_f32_e32 v12, v28, v39
	v_dual_fmac_f32 v14, v30, v39 :: v_dual_fmac_f32 v13, v35, v44
	v_fmac_f32_e32 v20, v47, v43
	s_delay_alu instid0(VALU_DEP_4) | instskip(NEXT) | instid1(VALU_DEP_4)
	v_fmac_f32_e32 v18, v29, v39
	v_fmac_f32_e32 v12, v27, v40
	s_delay_alu instid0(VALU_DEP_4)
	v_fmac_f32_e32 v14, v29, v40
	v_fma_f32 v17, -v36, v44, v17
	v_fma_f32 v20, -v48, v44, v20
	;; [unrolled: 1-line block ×3, first 2 shown]
	v_fmac_f32_e32 v12, v22, v43
	v_fmac_f32_e32 v14, v6, v43
	s_delay_alu instid0(VALU_DEP_3) | instskip(NEXT) | instid1(VALU_DEP_3)
	v_fmac_f32_e32 v18, v5, v43
	v_fmac_f32_e32 v12, v21, v44
	s_delay_alu instid0(VALU_DEP_3) | instskip(NEXT) | instid1(VALU_DEP_3)
	v_fmac_f32_e32 v14, v5, v44
	v_fma_f32 v18, -v6, v44, v18
	s_and_not1_b32 exec_lo, exec_lo, s2
	s_cbranch_execnz .LBB86_21
; %bb.22:
	s_or_b32 exec_lo, exec_lo, s2
.LBB86_23:
	s_delay_alu instid0(SALU_CYCLE_1)
	s_or_b32 exec_lo, exec_lo, s3
.LBB86_24:
	v_mbcnt_lo_u32_b32 v2, -1, 0
	s_delay_alu instid0(VALU_DEP_1) | instskip(SKIP_1) | instid1(VALU_DEP_2)
	v_xor_b32_e32 v3, 8, v2
	v_xor_b32_e32 v23, 4, v2
	v_cmp_gt_i32_e32 vcc_lo, 32, v3
	v_cndmask_b32_e32 v3, v2, v3, vcc_lo
	s_delay_alu instid0(VALU_DEP_3) | instskip(NEXT) | instid1(VALU_DEP_2)
	v_cmp_gt_i32_e32 vcc_lo, 32, v23
	v_lshlrev_b32_e32 v3, 2, v3
	ds_bpermute_b32 v6, v3, v20
	s_waitcnt lgkmcnt(0)
	v_add_f32_e32 v6, v20, v6
	ds_bpermute_b32 v4, v3, v16
	ds_bpermute_b32 v5, v3, v12
	;; [unrolled: 1-line block ×7, first 2 shown]
	s_waitcnt lgkmcnt(6)
	v_dual_add_f32 v4, v16, v4 :: v_dual_cndmask_b32 v23, v2, v23
	s_waitcnt lgkmcnt(4)
	v_dual_add_f32 v5, v12, v5 :: v_dual_add_f32 v12, v18, v19
	s_waitcnt lgkmcnt(3)
	s_delay_alu instid0(VALU_DEP_2)
	v_dual_add_f32 v14, v14, v21 :: v_dual_lshlrev_b32 v23, 2, v23
	ds_bpermute_b32 v16, v23, v5
	ds_bpermute_b32 v19, v23, v12
	;; [unrolled: 1-line block ×3, first 2 shown]
	s_waitcnt lgkmcnt(2)
	v_add_f32_e32 v5, v5, v16
	v_add_f32_e32 v7, v15, v7
	s_waitcnt lgkmcnt(1)
	v_dual_add_f32 v15, v17, v22 :: v_dual_add_f32 v12, v12, v19
	ds_bpermute_b32 v17, v23, v6
	ds_bpermute_b32 v18, v23, v7
	v_add_f32_e32 v3, v13, v3
	ds_bpermute_b32 v13, v23, v4
	ds_bpermute_b32 v21, v23, v15
	;; [unrolled: 1-line block ×3, first 2 shown]
	v_xor_b32_e32 v23, 2, v2
	s_delay_alu instid0(VALU_DEP_1) | instskip(SKIP_2) | instid1(VALU_DEP_1)
	v_cmp_gt_i32_e32 vcc_lo, 32, v23
	v_cndmask_b32_e32 v23, v2, v23, vcc_lo
	s_waitcnt lgkmcnt(2)
	v_dual_add_f32 v4, v4, v13 :: v_dual_lshlrev_b32 v23, 2, v23
	v_add_f32_e32 v13, v6, v17
	ds_bpermute_b32 v6, v23, v5
	s_waitcnt lgkmcnt(0)
	v_add_f32_e32 v6, v5, v6
	v_add_f32_e32 v16, v7, v18
	;; [unrolled: 1-line block ×4, first 2 shown]
	ds_bpermute_b32 v15, v23, v12
	v_add_f32_e32 v17, v14, v20
	ds_bpermute_b32 v3, v23, v4
	ds_bpermute_b32 v7, v23, v13
	;; [unrolled: 1-line block ×6, first 2 shown]
	v_xor_b32_e32 v23, 1, v2
	s_delay_alu instid0(VALU_DEP_1) | instskip(SKIP_3) | instid1(VALU_DEP_2)
	v_cmp_gt_i32_e32 vcc_lo, 32, v23
	v_cndmask_b32_e32 v2, v2, v23, vcc_lo
	v_cmp_eq_u32_e32 vcc_lo, 15, v0
	s_waitcnt lgkmcnt(5)
	v_dual_add_f32 v2, v4, v3 :: v_dual_lshlrev_b32 v23, 2, v2
	s_waitcnt lgkmcnt(4)
	v_add_f32_e32 v7, v13, v7
	s_waitcnt lgkmcnt(3)
	v_add_f32_e32 v13, v16, v14
	s_waitcnt lgkmcnt(1)
	v_dual_add_f32 v14, v12, v15 :: v_dual_add_f32 v15, v17, v20
	v_add_f32_e32 v3, v18, v21
	s_waitcnt lgkmcnt(0)
	v_add_f32_e32 v5, v19, v22
	ds_bpermute_b32 v4, v23, v2
	ds_bpermute_b32 v12, v23, v6
	;; [unrolled: 1-line block ×8, first 2 shown]
	s_and_b32 exec_lo, exec_lo, vcc_lo
	s_cbranch_execz .LBB86_29
; %bb.25:
	s_load_b64 s[2:3], s[0:1], 0x38
	v_cmp_eq_f32_e32 vcc_lo, 0, v10
	v_cmp_eq_f32_e64 s0, 0, v11
	s_waitcnt lgkmcnt(0)
	v_add_f32_e32 v4, v2, v4
	v_dual_add_f32 v12, v6, v12 :: v_dual_add_f32 v5, v5, v17
	v_dual_add_f32 v0, v7, v18 :: v_dual_add_f32 v7, v13, v19
	v_add_f32_e32 v2, v14, v20
	v_add_f32_e32 v6, v15, v21
	;; [unrolled: 1-line block ×3, first 2 shown]
	s_and_b32 s0, vcc_lo, s0
	s_delay_alu instid0(SALU_CYCLE_1) | instskip(NEXT) | instid1(SALU_CYCLE_1)
	s_and_saveexec_b32 s1, s0
	s_xor_b32 s0, exec_lo, s1
	s_cbranch_execz .LBB86_27
; %bb.26:
	v_dual_mul_f32 v11, v12, v8 :: v_dual_lshlrev_b32 v16, 2, v1
	v_mul_f32_e64 v10, v12, -v9
	v_mul_f32_e64 v12, v7, -v9
	;; [unrolled: 1-line block ×3, first 2 shown]
	s_delay_alu instid0(VALU_DEP_4) | instskip(SKIP_2) | instid1(VALU_DEP_4)
	v_ashrrev_i32_e32 v17, 31, v16
	v_mul_f32_e32 v13, v7, v8
	v_mul_f32_e32 v15, v6, v8
	v_dual_fmac_f32 v11, v9, v4 :: v_dual_fmac_f32 v14, v8, v2
	s_delay_alu instid0(VALU_DEP_4) | instskip(SKIP_4) | instid1(VALU_DEP_4)
	v_lshlrev_b64 v[6:7], 3, v[16:17]
	v_mul_f32_e64 v16, v5, -v9
	v_mul_f32_e32 v17, v5, v8
	v_fmac_f32_e32 v12, v8, v0
	v_fmac_f32_e32 v13, v9, v0
                                        ; implicit-def: $vgpr1
                                        ; implicit-def: $vgpr0
                                        ; implicit-def: $vgpr5
	v_fmac_f32_e32 v16, v8, v3
	s_delay_alu instid0(VALU_DEP_4)
	v_fmac_f32_e32 v17, v9, v3
	v_add_co_u32 v6, vcc_lo, s2, v6
	v_dual_fmac_f32 v10, v8, v4 :: v_dual_fmac_f32 v15, v9, v2
	v_add_co_ci_u32_e32 v7, vcc_lo, s3, v7, vcc_lo
	s_clause 0x1
	global_store_b128 v[6:7], v[10:13], off
	global_store_b128 v[6:7], v[14:17], off offset:16
                                        ; implicit-def: $vgpr8
                                        ; implicit-def: $vgpr9
                                        ; implicit-def: $vgpr10
                                        ; implicit-def: $vgpr11
                                        ; implicit-def: $vgpr4
                                        ; implicit-def: $vgpr12
                                        ; implicit-def: $vgpr7
                                        ; implicit-def: $vgpr2
                                        ; implicit-def: $vgpr6
                                        ; implicit-def: $vgpr3
.LBB86_27:
	s_and_not1_saveexec_b32 s0, s0
	s_cbranch_execz .LBB86_29
; %bb.28:
	v_dual_mul_f32 v22, v12, v8 :: v_dual_lshlrev_b32 v13, 2, v1
	v_mul_f32_e64 v1, v12, -v9
	v_mul_f32_e32 v26, v6, v8
	v_mul_f32_e64 v12, v7, -v9
	s_delay_alu instid0(VALU_DEP_4)
	v_ashrrev_i32_e32 v14, 31, v13
	v_mul_f32_e32 v24, v7, v8
	v_mul_f32_e64 v7, v6, -v9
	v_mul_f32_e64 v6, v5, -v9
	v_dual_fmac_f32 v1, v8, v4 :: v_dual_fmac_f32 v26, v9, v2
	v_lshlrev_b64 v[13:14], 3, v[13:14]
	v_fmac_f32_e32 v12, v8, v0
	v_dual_fmac_f32 v7, v8, v2 :: v_dual_fmac_f32 v24, v9, v0
	v_fmac_f32_e32 v6, v8, v3
	s_delay_alu instid0(VALU_DEP_4)
	v_add_co_u32 v29, vcc_lo, s2, v13
	v_add_co_ci_u32_e32 v30, vcc_lo, s3, v14, vcc_lo
	s_clause 0x1
	global_load_b128 v[13:16], v[29:30], off
	global_load_b128 v[17:20], v[29:30], off offset:16
	v_mul_f32_e32 v28, v5, v8
	s_waitcnt vmcnt(1)
	v_dual_fmac_f32 v22, v9, v4 :: v_dual_fmac_f32 v1, v10, v13
	s_waitcnt vmcnt(0)
	s_delay_alu instid0(VALU_DEP_2) | instskip(NEXT) | instid1(VALU_DEP_2)
	v_dual_fmac_f32 v7, v10, v17 :: v_dual_fmac_f32 v28, v9, v3
	v_fmac_f32_e32 v22, v11, v13
	v_fmac_f32_e32 v12, v10, v15
	;; [unrolled: 1-line block ×6, first 2 shown]
	v_fma_f32 v21, -v11, v14, v1
	v_fmac_f32_e32 v22, v10, v14
	v_fma_f32 v23, -v11, v16, v12
	v_fmac_f32_e32 v24, v10, v16
	;; [unrolled: 2-line block ×4, first 2 shown]
	s_clause 0x1
	global_store_b128 v[29:30], v[21:24], off
	global_store_b128 v[29:30], v[25:28], off offset:16
.LBB86_29:
	s_nop 0
	s_sendmsg sendmsg(MSG_DEALLOC_VGPRS)
	s_endpgm
	.section	.rodata,"a",@progbits
	.p2align	6, 0x0
	.amdhsa_kernel _ZN9rocsparseL19gebsrmvn_4xn_kernelILj128ELj3ELj16E21rocsparse_complex_numIfEEEvi20rocsparse_direction_NS_24const_host_device_scalarIT2_EEPKiS8_PKS5_SA_S6_PS5_21rocsparse_index_base_b
		.amdhsa_group_segment_fixed_size 0
		.amdhsa_private_segment_fixed_size 0
		.amdhsa_kernarg_size 72
		.amdhsa_user_sgpr_count 15
		.amdhsa_user_sgpr_dispatch_ptr 0
		.amdhsa_user_sgpr_queue_ptr 0
		.amdhsa_user_sgpr_kernarg_segment_ptr 1
		.amdhsa_user_sgpr_dispatch_id 0
		.amdhsa_user_sgpr_private_segment_size 0
		.amdhsa_wavefront_size32 1
		.amdhsa_uses_dynamic_stack 0
		.amdhsa_enable_private_segment 0
		.amdhsa_system_sgpr_workgroup_id_x 1
		.amdhsa_system_sgpr_workgroup_id_y 0
		.amdhsa_system_sgpr_workgroup_id_z 0
		.amdhsa_system_sgpr_workgroup_info 0
		.amdhsa_system_vgpr_workitem_id 0
		.amdhsa_next_free_vgpr 51
		.amdhsa_next_free_sgpr 16
		.amdhsa_reserve_vcc 1
		.amdhsa_float_round_mode_32 0
		.amdhsa_float_round_mode_16_64 0
		.amdhsa_float_denorm_mode_32 3
		.amdhsa_float_denorm_mode_16_64 3
		.amdhsa_dx10_clamp 1
		.amdhsa_ieee_mode 1
		.amdhsa_fp16_overflow 0
		.amdhsa_workgroup_processor_mode 1
		.amdhsa_memory_ordered 1
		.amdhsa_forward_progress 0
		.amdhsa_shared_vgpr_count 0
		.amdhsa_exception_fp_ieee_invalid_op 0
		.amdhsa_exception_fp_denorm_src 0
		.amdhsa_exception_fp_ieee_div_zero 0
		.amdhsa_exception_fp_ieee_overflow 0
		.amdhsa_exception_fp_ieee_underflow 0
		.amdhsa_exception_fp_ieee_inexact 0
		.amdhsa_exception_int_div_zero 0
	.end_amdhsa_kernel
	.section	.text._ZN9rocsparseL19gebsrmvn_4xn_kernelILj128ELj3ELj16E21rocsparse_complex_numIfEEEvi20rocsparse_direction_NS_24const_host_device_scalarIT2_EEPKiS8_PKS5_SA_S6_PS5_21rocsparse_index_base_b,"axG",@progbits,_ZN9rocsparseL19gebsrmvn_4xn_kernelILj128ELj3ELj16E21rocsparse_complex_numIfEEEvi20rocsparse_direction_NS_24const_host_device_scalarIT2_EEPKiS8_PKS5_SA_S6_PS5_21rocsparse_index_base_b,comdat
.Lfunc_end86:
	.size	_ZN9rocsparseL19gebsrmvn_4xn_kernelILj128ELj3ELj16E21rocsparse_complex_numIfEEEvi20rocsparse_direction_NS_24const_host_device_scalarIT2_EEPKiS8_PKS5_SA_S6_PS5_21rocsparse_index_base_b, .Lfunc_end86-_ZN9rocsparseL19gebsrmvn_4xn_kernelILj128ELj3ELj16E21rocsparse_complex_numIfEEEvi20rocsparse_direction_NS_24const_host_device_scalarIT2_EEPKiS8_PKS5_SA_S6_PS5_21rocsparse_index_base_b
                                        ; -- End function
	.section	.AMDGPU.csdata,"",@progbits
; Kernel info:
; codeLenInByte = 3076
; NumSgprs: 18
; NumVgprs: 51
; ScratchSize: 0
; MemoryBound: 0
; FloatMode: 240
; IeeeMode: 1
; LDSByteSize: 0 bytes/workgroup (compile time only)
; SGPRBlocks: 2
; VGPRBlocks: 6
; NumSGPRsForWavesPerEU: 18
; NumVGPRsForWavesPerEU: 51
; Occupancy: 16
; WaveLimiterHint : 1
; COMPUTE_PGM_RSRC2:SCRATCH_EN: 0
; COMPUTE_PGM_RSRC2:USER_SGPR: 15
; COMPUTE_PGM_RSRC2:TRAP_HANDLER: 0
; COMPUTE_PGM_RSRC2:TGID_X_EN: 1
; COMPUTE_PGM_RSRC2:TGID_Y_EN: 0
; COMPUTE_PGM_RSRC2:TGID_Z_EN: 0
; COMPUTE_PGM_RSRC2:TIDIG_COMP_CNT: 0
	.section	.text._ZN9rocsparseL19gebsrmvn_4xn_kernelILj128ELj3ELj32E21rocsparse_complex_numIfEEEvi20rocsparse_direction_NS_24const_host_device_scalarIT2_EEPKiS8_PKS5_SA_S6_PS5_21rocsparse_index_base_b,"axG",@progbits,_ZN9rocsparseL19gebsrmvn_4xn_kernelILj128ELj3ELj32E21rocsparse_complex_numIfEEEvi20rocsparse_direction_NS_24const_host_device_scalarIT2_EEPKiS8_PKS5_SA_S6_PS5_21rocsparse_index_base_b,comdat
	.globl	_ZN9rocsparseL19gebsrmvn_4xn_kernelILj128ELj3ELj32E21rocsparse_complex_numIfEEEvi20rocsparse_direction_NS_24const_host_device_scalarIT2_EEPKiS8_PKS5_SA_S6_PS5_21rocsparse_index_base_b ; -- Begin function _ZN9rocsparseL19gebsrmvn_4xn_kernelILj128ELj3ELj32E21rocsparse_complex_numIfEEEvi20rocsparse_direction_NS_24const_host_device_scalarIT2_EEPKiS8_PKS5_SA_S6_PS5_21rocsparse_index_base_b
	.p2align	8
	.type	_ZN9rocsparseL19gebsrmvn_4xn_kernelILj128ELj3ELj32E21rocsparse_complex_numIfEEEvi20rocsparse_direction_NS_24const_host_device_scalarIT2_EEPKiS8_PKS5_SA_S6_PS5_21rocsparse_index_base_b,@function
_ZN9rocsparseL19gebsrmvn_4xn_kernelILj128ELj3ELj32E21rocsparse_complex_numIfEEEvi20rocsparse_direction_NS_24const_host_device_scalarIT2_EEPKiS8_PKS5_SA_S6_PS5_21rocsparse_index_base_b: ; @_ZN9rocsparseL19gebsrmvn_4xn_kernelILj128ELj3ELj32E21rocsparse_complex_numIfEEEvi20rocsparse_direction_NS_24const_host_device_scalarIT2_EEPKiS8_PKS5_SA_S6_PS5_21rocsparse_index_base_b
; %bb.0:
	s_clause 0x2
	s_load_b64 s[12:13], s[0:1], 0x40
	s_load_b64 s[4:5], s[0:1], 0x8
	;; [unrolled: 1-line block ×3, first 2 shown]
	s_waitcnt lgkmcnt(0)
	s_bitcmp1_b32 s13, 0
	v_mov_b32_e32 v8, s4
	s_cselect_b32 s6, -1, 0
	s_delay_alu instid0(SALU_CYCLE_1)
	s_and_b32 vcc_lo, exec_lo, s6
	s_xor_b32 s6, s6, -1
	s_cbranch_vccz .LBB87_15
; %bb.1:
	v_cndmask_b32_e64 v1, 0, 1, s6
	v_mov_b32_e32 v9, s5
	s_and_not1_b32 vcc_lo, exec_lo, s6
	s_cbranch_vccz .LBB87_16
.LBB87_2:
	s_delay_alu instid0(VALU_DEP_2)
	v_cmp_ne_u32_e32 vcc_lo, 1, v1
	v_mov_b32_e32 v10, s2
	s_cbranch_vccz .LBB87_17
.LBB87_3:
	v_cmp_ne_u32_e32 vcc_lo, 1, v1
	v_mov_b32_e32 v11, s3
	s_cbranch_vccnz .LBB87_5
.LBB87_4:
	v_dual_mov_b32 v1, s2 :: v_dual_mov_b32 v2, s3
	flat_load_b32 v11, v[1:2] offset:4
.LBB87_5:
	s_waitcnt vmcnt(0) lgkmcnt(0)
	v_cmp_eq_f32_e32 vcc_lo, 0, v8
	v_cmp_eq_f32_e64 s2, 0, v9
	s_delay_alu instid0(VALU_DEP_1)
	s_and_b32 s4, vcc_lo, s2
	s_mov_b32 s2, -1
	s_and_saveexec_b32 s3, s4
; %bb.6:
	v_cmp_neq_f32_e32 vcc_lo, 1.0, v10
	v_cmp_neq_f32_e64 s2, 0, v11
	s_delay_alu instid0(VALU_DEP_1) | instskip(NEXT) | instid1(SALU_CYCLE_1)
	s_or_b32 s2, vcc_lo, s2
	s_or_not1_b32 s2, s2, exec_lo
; %bb.7:
	s_or_b32 exec_lo, exec_lo, s3
	s_and_saveexec_b32 s3, s2
	s_cbranch_execz .LBB87_29
; %bb.8:
	s_load_b64 s[2:3], s[0:1], 0x0
	v_lshrrev_b32_e32 v1, 5, v0
	s_delay_alu instid0(VALU_DEP_1) | instskip(SKIP_1) | instid1(VALU_DEP_1)
	v_lshl_or_b32 v1, s15, 2, v1
	s_waitcnt lgkmcnt(0)
	v_cmp_gt_i32_e32 vcc_lo, s2, v1
	s_and_b32 exec_lo, exec_lo, vcc_lo
	s_cbranch_execz .LBB87_29
; %bb.9:
	s_load_b256 s[4:11], s[0:1], 0x10
	v_ashrrev_i32_e32 v2, 31, v1
	v_and_b32_e32 v0, 31, v0
	s_cmp_lg_u32 s3, 0
	s_delay_alu instid0(VALU_DEP_2) | instskip(SKIP_1) | instid1(VALU_DEP_1)
	v_lshlrev_b64 v[2:3], 2, v[1:2]
	s_waitcnt lgkmcnt(0)
	v_add_co_u32 v2, vcc_lo, s4, v2
	s_delay_alu instid0(VALU_DEP_2) | instskip(SKIP_4) | instid1(VALU_DEP_2)
	v_add_co_ci_u32_e32 v3, vcc_lo, s5, v3, vcc_lo
	global_load_b64 v[2:3], v[2:3], off
	s_waitcnt vmcnt(0)
	v_subrev_nc_u32_e32 v2, s12, v2
	v_subrev_nc_u32_e32 v20, s12, v3
	v_add_nc_u32_e32 v2, v2, v0
	s_delay_alu instid0(VALU_DEP_1)
	v_cmp_lt_i32_e64 s2, v2, v20
	s_cbranch_scc0 .LBB87_18
; %bb.10:
	v_dual_mov_b32 v12, 0 :: v_dual_mov_b32 v17, 0
	v_dual_mov_b32 v16, 0 :: v_dual_mov_b32 v13, 0
	;; [unrolled: 1-line block ×4, first 2 shown]
	s_mov_b32 s3, 0
	s_and_saveexec_b32 s4, s2
	s_cbranch_execz .LBB87_14
; %bb.11:
	v_dual_mov_b32 v4, 0 :: v_dual_mov_b32 v5, v2
	v_mul_lo_u32 v3, v2, 12
	s_mov_b32 s5, 0
	s_delay_alu instid0(VALU_DEP_2)
	v_mov_b32_e32 v12, v4
	v_mov_b32_e32 v16, v4
	;; [unrolled: 1-line block ×8, first 2 shown]
.LBB87_12:                              ; =>This Inner Loop Header: Depth=1
	v_ashrrev_i32_e32 v6, 31, v5
	v_dual_mov_b32 v22, v4 :: v_dual_add_nc_u32 v21, 4, v3
	v_dual_mov_b32 v24, v4 :: v_dual_add_nc_u32 v23, 8, v3
	s_delay_alu instid0(VALU_DEP_3) | instskip(SKIP_1) | instid1(VALU_DEP_4)
	v_lshlrev_b64 v[6:7], 2, v[5:6]
	v_mov_b32_e32 v50, v4
	v_lshlrev_b64 v[21:22], 3, v[21:22]
	s_delay_alu instid0(VALU_DEP_4) | instskip(NEXT) | instid1(VALU_DEP_4)
	v_lshlrev_b64 v[23:24], 3, v[23:24]
	v_add_co_u32 v6, vcc_lo, s6, v6
	v_add_co_ci_u32_e32 v7, vcc_lo, s7, v7, vcc_lo
	global_load_b32 v45, v[6:7], off
	v_lshlrev_b64 v[6:7], 3, v[3:4]
	v_add_nc_u32_e32 v3, 0x180, v3
	s_delay_alu instid0(VALU_DEP_2) | instskip(NEXT) | instid1(VALU_DEP_3)
	v_add_co_u32 v6, vcc_lo, s8, v6
	v_add_co_ci_u32_e32 v7, vcc_lo, s9, v7, vcc_lo
	v_add_co_u32 v33, vcc_lo, s8, v21
	v_add_co_ci_u32_e32 v34, vcc_lo, s9, v22, vcc_lo
	;; [unrolled: 2-line block ×3, first 2 shown]
	s_clause 0x5
	global_load_b128 v[21:24], v[6:7], off offset:16
	global_load_b128 v[25:28], v[6:7], off
	global_load_b128 v[29:32], v[33:34], off offset:16
	global_load_b128 v[33:36], v[33:34], off
	;; [unrolled: 2-line block ×3, first 2 shown]
	s_waitcnt vmcnt(6)
	v_subrev_nc_u32_e32 v6, s12, v45
	s_delay_alu instid0(VALU_DEP_1) | instskip(SKIP_1) | instid1(VALU_DEP_2)
	v_lshl_add_u32 v45, v6, 1, v6
	v_mov_b32_e32 v46, v4
	v_dual_mov_b32 v48, v4 :: v_dual_add_nc_u32 v49, 2, v45
	v_add_nc_u32_e32 v47, 1, v45
	s_delay_alu instid0(VALU_DEP_3) | instskip(NEXT) | instid1(VALU_DEP_2)
	v_lshlrev_b64 v[6:7], 3, v[45:46]
	v_lshlrev_b64 v[45:46], 3, v[47:48]
	s_delay_alu instid0(VALU_DEP_4) | instskip(NEXT) | instid1(VALU_DEP_3)
	v_lshlrev_b64 v[47:48], 3, v[49:50]
	v_add_co_u32 v6, vcc_lo, s10, v6
	s_delay_alu instid0(VALU_DEP_4) | instskip(NEXT) | instid1(VALU_DEP_4)
	v_add_co_ci_u32_e32 v7, vcc_lo, s11, v7, vcc_lo
	v_add_co_u32 v45, vcc_lo, s10, v45
	v_add_co_ci_u32_e32 v46, vcc_lo, s11, v46, vcc_lo
	global_load_b64 v[6:7], v[6:7], off
	v_add_co_u32 v47, vcc_lo, s10, v47
	v_add_co_ci_u32_e32 v48, vcc_lo, s11, v48, vcc_lo
	s_clause 0x1
	global_load_b64 v[45:46], v[45:46], off
	global_load_b64 v[47:48], v[47:48], off
	s_waitcnt vmcnt(2)
	v_dual_fmac_f32 v16, v25, v6 :: v_dual_add_nc_u32 v5, 32, v5
	v_fmac_f32_e32 v14, v22, v6
	v_fmac_f32_e32 v15, v28, v6
	;; [unrolled: 1-line block ×3, first 2 shown]
	s_delay_alu instid0(VALU_DEP_4) | instskip(NEXT) | instid1(VALU_DEP_4)
	v_cmp_ge_i32_e32 vcc_lo, v5, v20
	v_fmac_f32_e32 v14, v21, v7
	s_delay_alu instid0(VALU_DEP_4) | instskip(SKIP_2) | instid1(VALU_DEP_2)
	v_dual_fmac_f32 v12, v26, v6 :: v_dual_fmac_f32 v15, v27, v7
	v_fmac_f32_e32 v19, v27, v6
	s_or_b32 s5, vcc_lo, s5
	v_dual_fmac_f32 v12, v25, v7 :: v_dual_fmac_f32 v13, v24, v6
	s_waitcnt vmcnt(1)
	v_fmac_f32_e32 v15, v36, v45
	s_delay_alu instid0(VALU_DEP_2) | instskip(NEXT) | instid1(VALU_DEP_3)
	v_fmac_f32_e32 v12, v34, v45
	v_dual_fmac_f32 v18, v21, v6 :: v_dual_fmac_f32 v13, v23, v7
	v_fma_f32 v6, -v26, v7, v16
	v_fma_f32 v16, -v28, v7, v19
	v_fmac_f32_e32 v15, v35, v46
	s_delay_alu instid0(VALU_DEP_4)
	v_fma_f32 v18, -v22, v7, v18
	v_fmac_f32_e32 v13, v32, v45
	v_fmac_f32_e32 v6, v33, v45
	v_fma_f32 v17, -v24, v7, v17
	s_waitcnt vmcnt(0)
	v_dual_fmac_f32 v16, v35, v45 :: v_dual_fmac_f32 v15, v44, v47
	v_fmac_f32_e32 v18, v29, v45
	v_dual_fmac_f32 v14, v30, v45 :: v_dual_fmac_f32 v13, v31, v46
	v_dual_fmac_f32 v17, v31, v45 :: v_dual_fmac_f32 v12, v33, v46
	v_fma_f32 v6, -v34, v46, v6
	v_fma_f32 v7, -v36, v46, v16
	;; [unrolled: 1-line block ×3, first 2 shown]
	v_fmac_f32_e32 v14, v29, v46
	v_fma_f32 v17, -v32, v46, v17
	v_fmac_f32_e32 v13, v40, v47
	v_dual_fmac_f32 v6, v41, v47 :: v_dual_fmac_f32 v15, v43, v48
	v_fmac_f32_e32 v12, v42, v47
	s_delay_alu instid0(VALU_DEP_3) | instskip(SKIP_2) | instid1(VALU_DEP_4)
	v_dual_fmac_f32 v18, v37, v47 :: v_dual_fmac_f32 v13, v39, v48
	v_fmac_f32_e32 v7, v43, v47
	v_fmac_f32_e32 v14, v38, v47
	v_dual_fmac_f32 v12, v41, v48 :: v_dual_fmac_f32 v17, v39, v47
	v_fma_f32 v16, -v42, v48, v6
	s_delay_alu instid0(VALU_DEP_4) | instskip(NEXT) | instid1(VALU_DEP_4)
	v_fma_f32 v19, -v44, v48, v7
	v_fmac_f32_e32 v14, v37, v48
	v_fma_f32 v18, -v38, v48, v18
	v_fma_f32 v17, -v40, v48, v17
	s_and_not1_b32 exec_lo, exec_lo, s5
	s_cbranch_execnz .LBB87_12
; %bb.13:
	s_or_b32 exec_lo, exec_lo, s5
.LBB87_14:
	s_delay_alu instid0(SALU_CYCLE_1) | instskip(NEXT) | instid1(SALU_CYCLE_1)
	s_or_b32 exec_lo, exec_lo, s4
	s_and_not1_b32 vcc_lo, exec_lo, s3
	s_cbranch_vccz .LBB87_19
	s_branch .LBB87_24
.LBB87_15:
	v_dual_mov_b32 v1, s4 :: v_dual_mov_b32 v2, s5
	flat_load_b32 v8, v[1:2]
	v_cndmask_b32_e64 v1, 0, 1, s6
	v_mov_b32_e32 v9, s5
	s_and_not1_b32 vcc_lo, exec_lo, s6
	s_cbranch_vccnz .LBB87_2
.LBB87_16:
	v_dual_mov_b32 v2, s4 :: v_dual_mov_b32 v3, s5
	flat_load_b32 v9, v[2:3] offset:4
	v_cmp_ne_u32_e32 vcc_lo, 1, v1
	v_mov_b32_e32 v10, s2
	s_cbranch_vccnz .LBB87_3
.LBB87_17:
	v_dual_mov_b32 v2, s2 :: v_dual_mov_b32 v3, s3
	flat_load_b32 v10, v[2:3]
	v_cmp_ne_u32_e32 vcc_lo, 1, v1
	v_mov_b32_e32 v11, s3
	s_cbranch_vccz .LBB87_4
	s_branch .LBB87_5
.LBB87_18:
                                        ; implicit-def: $vgpr12
                                        ; implicit-def: $vgpr16
                                        ; implicit-def: $vgpr17
                                        ; implicit-def: $vgpr13
                                        ; implicit-def: $vgpr18
                                        ; implicit-def: $vgpr14
                                        ; implicit-def: $vgpr19
                                        ; implicit-def: $vgpr15
.LBB87_19:
	v_dual_mov_b32 v12, 0 :: v_dual_mov_b32 v17, 0
	v_dual_mov_b32 v16, 0 :: v_dual_mov_b32 v13, 0
	;; [unrolled: 1-line block ×4, first 2 shown]
	s_and_saveexec_b32 s3, s2
	s_cbranch_execz .LBB87_23
; %bb.20:
	v_mad_u64_u32 v[4:5], null, v2, 12, 11
	v_dual_mov_b32 v7, 0 :: v_dual_mov_b32 v12, 0
	v_dual_mov_b32 v16, 0 :: v_dual_mov_b32 v17, 0
	;; [unrolled: 1-line block ×4, first 2 shown]
	v_mov_b32_e32 v15, 0
	s_mov_b32 s2, 0
.LBB87_21:                              ; =>This Inner Loop Header: Depth=1
	v_ashrrev_i32_e32 v3, 31, v2
	v_dual_mov_b32 v30, v7 :: v_dual_add_nc_u32 v21, -5, v4
	v_dual_mov_b32 v22, v7 :: v_dual_add_nc_u32 v23, -2, v4
	s_delay_alu instid0(VALU_DEP_3) | instskip(SKIP_1) | instid1(VALU_DEP_3)
	v_lshlrev_b64 v[5:6], 2, v[2:3]
	v_mov_b32_e32 v24, v7
	v_lshlrev_b64 v[21:22], 3, v[21:22]
	s_delay_alu instid0(VALU_DEP_2) | instskip(NEXT) | instid1(VALU_DEP_4)
	v_lshlrev_b64 v[23:24], 3, v[23:24]
	v_add_co_u32 v5, vcc_lo, s6, v5
	v_add_co_ci_u32_e32 v6, vcc_lo, s7, v6, vcc_lo
	global_load_b32 v3, v[5:6], off
	v_dual_mov_b32 v5, v7 :: v_dual_add_nc_u32 v6, -11, v4
	s_delay_alu instid0(VALU_DEP_1) | instskip(NEXT) | instid1(VALU_DEP_2)
	v_lshlrev_b64 v[25:26], 3, v[6:7]
	v_lshlrev_b64 v[5:6], 3, v[4:5]
	s_delay_alu instid0(VALU_DEP_2) | instskip(NEXT) | instid1(VALU_DEP_3)
	v_add_co_u32 v25, vcc_lo, s8, v25
	v_add_co_ci_u32_e32 v26, vcc_lo, s9, v26, vcc_lo
	v_add_co_u32 v31, vcc_lo, s8, v21
	v_add_co_ci_u32_e32 v32, vcc_lo, s9, v22, vcc_lo
	v_add_co_u32 v33, vcc_lo, s8, v23
	v_add_co_ci_u32_e32 v34, vcc_lo, s9, v24, vcc_lo
	v_add_co_u32 v35, vcc_lo, s8, v5
	v_add_co_ci_u32_e32 v36, vcc_lo, s9, v6, vcc_lo
	s_clause 0x3
	global_load_b128 v[21:24], v[25:26], off offset:16
	global_load_b128 v[25:28], v[25:26], off
	global_load_b64 v[31:32], v[31:32], off
	global_load_b64 v[33:34], v[33:34], off
	s_waitcnt vmcnt(4)
	v_subrev_nc_u32_e32 v3, s12, v3
	s_delay_alu instid0(VALU_DEP_1) | instskip(NEXT) | instid1(VALU_DEP_1)
	v_lshl_add_u32 v29, v3, 1, v3
	v_lshlrev_b64 v[37:38], 3, v[29:30]
	s_delay_alu instid0(VALU_DEP_1) | instskip(NEXT) | instid1(VALU_DEP_2)
	v_add_co_u32 v37, vcc_lo, s10, v37
	v_add_co_ci_u32_e32 v38, vcc_lo, s11, v38, vcc_lo
	global_load_b64 v[37:38], v[37:38], off
	v_add_nc_u32_e32 v6, 1, v29
	s_delay_alu instid0(VALU_DEP_1) | instskip(NEXT) | instid1(VALU_DEP_1)
	v_lshlrev_b64 v[39:40], 3, v[6:7]
	v_add_co_u32 v39, vcc_lo, s10, v39
	s_delay_alu instid0(VALU_DEP_2) | instskip(SKIP_3) | instid1(VALU_DEP_1)
	v_add_co_ci_u32_e32 v40, vcc_lo, s11, v40, vcc_lo
	global_load_b64 v[39:40], v[39:40], off
	s_waitcnt vmcnt(1)
	v_dual_fmac_f32 v19, v23, v37 :: v_dual_add_nc_u32 v6, -7, v4
	v_lshlrev_b64 v[41:42], 3, v[6:7]
	v_dual_fmac_f32 v15, v24, v37 :: v_dual_add_nc_u32 v6, -4, v4
	v_fmac_f32_e32 v13, v34, v37
	v_fmac_f32_e32 v17, v33, v37
	s_delay_alu instid0(VALU_DEP_3) | instskip(SKIP_3) | instid1(VALU_DEP_3)
	v_lshlrev_b64 v[43:44], 3, v[6:7]
	v_add_nc_u32_e32 v6, -1, v4
	v_add_co_u32 v41, vcc_lo, s8, v41
	v_add_co_ci_u32_e32 v42, vcc_lo, s9, v42, vcc_lo
	v_lshlrev_b64 v[45:46], 3, v[6:7]
	v_dual_fmac_f32 v13, v33, v38 :: v_dual_add_nc_u32 v6, 2, v29
	v_add_co_u32 v29, vcc_lo, s8, v43
	v_add_co_ci_u32_e32 v30, vcc_lo, s9, v44, vcc_lo
	s_delay_alu instid0(VALU_DEP_4)
	v_add_co_u32 v45, vcc_lo, s8, v45
	v_add_co_ci_u32_e32 v46, vcc_lo, s9, v46, vcc_lo
	global_load_b64 v[41:42], v[41:42], off
	v_lshlrev_b64 v[43:44], 3, v[6:7]
	v_fmac_f32_e32 v15, v23, v38
	global_load_b64 v[45:46], v[45:46], off
	v_fmac_f32_e32 v16, v25, v37
	global_load_b64 v[29:30], v[29:30], off
	v_fma_f32 v17, -v34, v38, v17
	v_add_co_u32 v43, vcc_lo, s10, v43
	v_add_co_ci_u32_e32 v44, vcc_lo, s11, v44, vcc_lo
	global_load_b64 v[43:44], v[43:44], off
	s_waitcnt vmcnt(3)
	v_dual_fmac_f32 v15, v42, v39 :: v_dual_add_nc_u32 v2, 32, v2
	s_waitcnt vmcnt(2)
	v_fmac_f32_e32 v13, v46, v39
	v_fma_f32 v3, -v26, v38, v16
	s_delay_alu instid0(VALU_DEP_3) | instskip(SKIP_4) | instid1(VALU_DEP_4)
	v_fmac_f32_e32 v15, v41, v40
	v_add_nc_u32_e32 v6, -6, v4
	v_fma_f32 v16, -v24, v38, v19
	v_dual_fmac_f32 v18, v31, v37 :: v_dual_fmac_f32 v13, v45, v40
	v_fmac_f32_e32 v3, v27, v39
	v_lshlrev_b64 v[47:48], 3, v[6:7]
	v_add_nc_u32_e32 v6, -3, v4
	s_delay_alu instid0(VALU_DEP_4) | instskip(SKIP_2) | instid1(VALU_DEP_4)
	v_fma_f32 v18, -v32, v38, v18
	v_dual_fmac_f32 v17, v45, v39 :: v_dual_add_nc_u32 v4, 0x180, v4
	v_fma_f32 v3, -v28, v40, v3
	v_lshlrev_b64 v[5:6], 3, v[6:7]
	v_add_co_u32 v47, vcc_lo, s8, v47
	v_add_co_ci_u32_e32 v48, vcc_lo, s9, v48, vcc_lo
	s_waitcnt vmcnt(0)
	v_dual_fmac_f32 v12, v26, v37 :: v_dual_fmac_f32 v3, v21, v43
	s_delay_alu instid0(VALU_DEP_4)
	v_add_co_u32 v5, vcc_lo, s8, v5
	v_add_co_ci_u32_e32 v6, vcc_lo, s9, v6, vcc_lo
	s_clause 0x2
	global_load_b64 v[47:48], v[47:48], off
	global_load_b64 v[5:6], v[5:6], off
	;; [unrolled: 1-line block ×3, first 2 shown]
	v_fmac_f32_e32 v16, v41, v39
	v_fmac_f32_e32 v12, v25, v38
	;; [unrolled: 1-line block ×3, first 2 shown]
	v_fma_f32 v17, -v46, v40, v17
	v_cmp_ge_i32_e32 vcc_lo, v2, v20
	v_fma_f32 v19, -v42, v40, v16
	v_fmac_f32_e32 v14, v32, v37
	v_fma_f32 v18, -v30, v40, v18
	v_fma_f32 v16, -v22, v44, v3
	s_or_b32 s2, vcc_lo, s2
	s_waitcnt vmcnt(2)
	v_fmac_f32_e32 v19, v47, v43
	s_waitcnt vmcnt(0)
	v_dual_fmac_f32 v14, v31, v38 :: v_dual_fmac_f32 v13, v36, v43
	v_fmac_f32_e32 v15, v48, v43
	v_fmac_f32_e32 v12, v28, v39
	;; [unrolled: 1-line block ×3, first 2 shown]
	s_delay_alu instid0(VALU_DEP_4)
	v_fmac_f32_e32 v14, v30, v39
	v_fmac_f32_e32 v17, v35, v43
	;; [unrolled: 1-line block ×4, first 2 shown]
	v_fma_f32 v19, -v48, v44, v19
	v_fmac_f32_e32 v14, v29, v40
	v_fma_f32 v18, -v6, v44, v18
	v_fma_f32 v17, -v36, v44, v17
	v_dual_fmac_f32 v12, v22, v43 :: v_dual_fmac_f32 v13, v35, v44
	s_delay_alu instid0(VALU_DEP_4) | instskip(NEXT) | instid1(VALU_DEP_2)
	v_fmac_f32_e32 v14, v6, v43
	v_fmac_f32_e32 v12, v21, v44
	s_delay_alu instid0(VALU_DEP_2)
	v_fmac_f32_e32 v14, v5, v44
	s_and_not1_b32 exec_lo, exec_lo, s2
	s_cbranch_execnz .LBB87_21
; %bb.22:
	s_or_b32 exec_lo, exec_lo, s2
.LBB87_23:
	s_delay_alu instid0(SALU_CYCLE_1)
	s_or_b32 exec_lo, exec_lo, s3
.LBB87_24:
	v_mbcnt_lo_u32_b32 v2, -1, 0
	s_delay_alu instid0(VALU_DEP_1) | instskip(SKIP_1) | instid1(VALU_DEP_2)
	v_xor_b32_e32 v3, 16, v2
	v_xor_b32_e32 v23, 8, v2
	v_cmp_gt_i32_e32 vcc_lo, 32, v3
	v_cndmask_b32_e32 v3, v2, v3, vcc_lo
	s_delay_alu instid0(VALU_DEP_3) | instskip(NEXT) | instid1(VALU_DEP_2)
	v_cmp_gt_i32_e32 vcc_lo, 32, v23
	v_lshlrev_b32_e32 v3, 2, v3
	ds_bpermute_b32 v6, v3, v19
	s_waitcnt lgkmcnt(0)
	v_add_f32_e32 v6, v19, v6
	ds_bpermute_b32 v4, v3, v16
	ds_bpermute_b32 v5, v3, v12
	ds_bpermute_b32 v7, v3, v15
	ds_bpermute_b32 v20, v3, v18
	ds_bpermute_b32 v22, v3, v17
	ds_bpermute_b32 v21, v3, v14
	ds_bpermute_b32 v3, v3, v13
	s_waitcnt lgkmcnt(6)
	v_dual_add_f32 v4, v16, v4 :: v_dual_cndmask_b32 v23, v2, v23
	s_waitcnt lgkmcnt(5)
	v_add_f32_e32 v5, v12, v5
	s_waitcnt lgkmcnt(3)
	v_dual_add_f32 v7, v15, v7 :: v_dual_add_f32 v12, v18, v20
	s_waitcnt lgkmcnt(1)
	v_dual_add_f32 v14, v14, v21 :: v_dual_lshlrev_b32 v23, 2, v23
	v_add_f32_e32 v15, v17, v22
	ds_bpermute_b32 v17, v23, v6
	ds_bpermute_b32 v16, v23, v5
	;; [unrolled: 1-line block ×5, first 2 shown]
	s_waitcnt lgkmcnt(4)
	v_add_f32_e32 v6, v6, v17
	ds_bpermute_b32 v21, v23, v15
	v_add_f32_e32 v3, v13, v3
	ds_bpermute_b32 v13, v23, v4
	s_waitcnt lgkmcnt(4)
	v_dual_add_f32 v5, v5, v16 :: v_dual_add_f32 v12, v12, v19
	s_waitcnt lgkmcnt(0)
	v_dual_add_f32 v4, v4, v13 :: v_dual_add_f32 v13, v14, v20
	v_add_f32_e32 v14, v15, v21
	ds_bpermute_b32 v22, v23, v3
	v_xor_b32_e32 v23, 4, v2
	v_add_f32_e32 v7, v7, v18
	s_delay_alu instid0(VALU_DEP_2) | instskip(SKIP_1) | instid1(VALU_DEP_1)
	v_cmp_gt_i32_e32 vcc_lo, 32, v23
	v_cndmask_b32_e32 v23, v2, v23, vcc_lo
	v_lshlrev_b32_e32 v23, 2, v23
	s_waitcnt lgkmcnt(0)
	v_add_f32_e32 v3, v3, v22
	ds_bpermute_b32 v16, v23, v5
	ds_bpermute_b32 v18, v23, v7
	;; [unrolled: 1-line block ×3, first 2 shown]
	s_waitcnt lgkmcnt(1)
	v_dual_add_f32 v5, v5, v16 :: v_dual_add_f32 v16, v7, v18
	s_waitcnt lgkmcnt(0)
	v_add_f32_e32 v18, v14, v21
	ds_bpermute_b32 v19, v23, v12
	ds_bpermute_b32 v15, v23, v4
	;; [unrolled: 1-line block ×4, first 2 shown]
	s_waitcnt lgkmcnt(3)
	v_add_f32_e32 v12, v12, v19
	ds_bpermute_b32 v20, v23, v13
	v_xor_b32_e32 v23, 2, v2
	s_waitcnt lgkmcnt(2)
	v_dual_add_f32 v4, v4, v15 :: v_dual_add_f32 v15, v6, v17
	s_waitcnt lgkmcnt(1)
	v_add_f32_e32 v19, v3, v22
	v_cmp_gt_i32_e32 vcc_lo, 32, v23
	v_cndmask_b32_e32 v23, v2, v23, vcc_lo
	s_delay_alu instid0(VALU_DEP_1)
	v_lshlrev_b32_e32 v23, 2, v23
	s_waitcnt lgkmcnt(0)
	v_add_f32_e32 v17, v13, v20
	ds_bpermute_b32 v3, v23, v4
	ds_bpermute_b32 v6, v23, v5
	;; [unrolled: 1-line block ×8, first 2 shown]
	v_xor_b32_e32 v23, 1, v2
	s_delay_alu instid0(VALU_DEP_1) | instskip(SKIP_4) | instid1(VALU_DEP_3)
	v_cmp_gt_i32_e32 vcc_lo, 32, v23
	v_cndmask_b32_e32 v2, v2, v23, vcc_lo
	v_cmp_eq_u32_e32 vcc_lo, 31, v0
	s_waitcnt lgkmcnt(5)
	v_add_f32_e32 v7, v15, v7
	v_lshlrev_b32_e32 v23, 2, v2
	s_waitcnt lgkmcnt(3)
	v_add_f32_e32 v14, v12, v14
	v_add_f32_e32 v2, v4, v3
	v_dual_add_f32 v6, v5, v6 :: v_dual_add_f32 v13, v16, v13
	s_waitcnt lgkmcnt(2)
	v_add_f32_e32 v15, v17, v20
	s_waitcnt lgkmcnt(1)
	v_add_f32_e32 v3, v18, v21
	;; [unrolled: 2-line block ×3, first 2 shown]
	ds_bpermute_b32 v4, v23, v2
	ds_bpermute_b32 v12, v23, v6
	ds_bpermute_b32 v18, v23, v7
	ds_bpermute_b32 v19, v23, v13
	ds_bpermute_b32 v20, v23, v14
	ds_bpermute_b32 v21, v23, v15
	ds_bpermute_b32 v16, v23, v3
	ds_bpermute_b32 v17, v23, v5
	s_and_b32 exec_lo, exec_lo, vcc_lo
	s_cbranch_execz .LBB87_29
; %bb.25:
	s_load_b64 s[2:3], s[0:1], 0x38
	v_cmp_eq_f32_e32 vcc_lo, 0, v10
	v_cmp_eq_f32_e64 s0, 0, v11
	s_waitcnt lgkmcnt(0)
	v_add_f32_e32 v4, v2, v4
	v_dual_add_f32 v12, v6, v12 :: v_dual_add_f32 v5, v5, v17
	v_dual_add_f32 v0, v7, v18 :: v_dual_add_f32 v7, v13, v19
	v_add_f32_e32 v2, v14, v20
	v_add_f32_e32 v6, v15, v21
	;; [unrolled: 1-line block ×3, first 2 shown]
	s_and_b32 s0, vcc_lo, s0
	s_delay_alu instid0(SALU_CYCLE_1) | instskip(NEXT) | instid1(SALU_CYCLE_1)
	s_and_saveexec_b32 s1, s0
	s_xor_b32 s0, exec_lo, s1
	s_cbranch_execz .LBB87_27
; %bb.26:
	v_dual_mul_f32 v11, v12, v8 :: v_dual_lshlrev_b32 v16, 2, v1
	v_mul_f32_e64 v10, v12, -v9
	v_mul_f32_e64 v12, v7, -v9
	;; [unrolled: 1-line block ×3, first 2 shown]
	s_delay_alu instid0(VALU_DEP_4) | instskip(SKIP_2) | instid1(VALU_DEP_4)
	v_ashrrev_i32_e32 v17, 31, v16
	v_mul_f32_e32 v13, v7, v8
	v_mul_f32_e32 v15, v6, v8
	v_dual_fmac_f32 v11, v9, v4 :: v_dual_fmac_f32 v14, v8, v2
	s_delay_alu instid0(VALU_DEP_4) | instskip(SKIP_4) | instid1(VALU_DEP_4)
	v_lshlrev_b64 v[6:7], 3, v[16:17]
	v_mul_f32_e64 v16, v5, -v9
	v_mul_f32_e32 v17, v5, v8
	v_fmac_f32_e32 v12, v8, v0
	v_fmac_f32_e32 v13, v9, v0
                                        ; implicit-def: $vgpr1
                                        ; implicit-def: $vgpr0
                                        ; implicit-def: $vgpr5
	v_fmac_f32_e32 v16, v8, v3
	s_delay_alu instid0(VALU_DEP_4)
	v_fmac_f32_e32 v17, v9, v3
	v_add_co_u32 v6, vcc_lo, s2, v6
	v_dual_fmac_f32 v10, v8, v4 :: v_dual_fmac_f32 v15, v9, v2
	v_add_co_ci_u32_e32 v7, vcc_lo, s3, v7, vcc_lo
	s_clause 0x1
	global_store_b128 v[6:7], v[10:13], off
	global_store_b128 v[6:7], v[14:17], off offset:16
                                        ; implicit-def: $vgpr8
                                        ; implicit-def: $vgpr9
                                        ; implicit-def: $vgpr10
                                        ; implicit-def: $vgpr11
                                        ; implicit-def: $vgpr4
                                        ; implicit-def: $vgpr12
                                        ; implicit-def: $vgpr7
                                        ; implicit-def: $vgpr2
                                        ; implicit-def: $vgpr6
                                        ; implicit-def: $vgpr3
.LBB87_27:
	s_and_not1_saveexec_b32 s0, s0
	s_cbranch_execz .LBB87_29
; %bb.28:
	v_dual_mul_f32 v22, v12, v8 :: v_dual_lshlrev_b32 v13, 2, v1
	v_mul_f32_e64 v1, v12, -v9
	v_mul_f32_e32 v26, v6, v8
	v_mul_f32_e64 v12, v7, -v9
	s_delay_alu instid0(VALU_DEP_4)
	v_ashrrev_i32_e32 v14, 31, v13
	v_mul_f32_e32 v24, v7, v8
	v_mul_f32_e64 v7, v6, -v9
	v_mul_f32_e64 v6, v5, -v9
	v_dual_fmac_f32 v1, v8, v4 :: v_dual_fmac_f32 v26, v9, v2
	v_lshlrev_b64 v[13:14], 3, v[13:14]
	v_fmac_f32_e32 v12, v8, v0
	v_dual_fmac_f32 v7, v8, v2 :: v_dual_fmac_f32 v24, v9, v0
	v_fmac_f32_e32 v6, v8, v3
	s_delay_alu instid0(VALU_DEP_4)
	v_add_co_u32 v29, vcc_lo, s2, v13
	v_add_co_ci_u32_e32 v30, vcc_lo, s3, v14, vcc_lo
	s_clause 0x1
	global_load_b128 v[13:16], v[29:30], off
	global_load_b128 v[17:20], v[29:30], off offset:16
	v_mul_f32_e32 v28, v5, v8
	s_waitcnt vmcnt(1)
	v_dual_fmac_f32 v22, v9, v4 :: v_dual_fmac_f32 v1, v10, v13
	s_waitcnt vmcnt(0)
	s_delay_alu instid0(VALU_DEP_2) | instskip(NEXT) | instid1(VALU_DEP_2)
	v_dual_fmac_f32 v7, v10, v17 :: v_dual_fmac_f32 v28, v9, v3
	v_fmac_f32_e32 v22, v11, v13
	v_fmac_f32_e32 v12, v10, v15
	;; [unrolled: 1-line block ×6, first 2 shown]
	v_fma_f32 v21, -v11, v14, v1
	v_fmac_f32_e32 v22, v10, v14
	v_fma_f32 v23, -v11, v16, v12
	v_fmac_f32_e32 v24, v10, v16
	;; [unrolled: 2-line block ×4, first 2 shown]
	s_clause 0x1
	global_store_b128 v[29:30], v[21:24], off
	global_store_b128 v[29:30], v[25:28], off offset:16
.LBB87_29:
	s_nop 0
	s_sendmsg sendmsg(MSG_DEALLOC_VGPRS)
	s_endpgm
	.section	.rodata,"a",@progbits
	.p2align	6, 0x0
	.amdhsa_kernel _ZN9rocsparseL19gebsrmvn_4xn_kernelILj128ELj3ELj32E21rocsparse_complex_numIfEEEvi20rocsparse_direction_NS_24const_host_device_scalarIT2_EEPKiS8_PKS5_SA_S6_PS5_21rocsparse_index_base_b
		.amdhsa_group_segment_fixed_size 0
		.amdhsa_private_segment_fixed_size 0
		.amdhsa_kernarg_size 72
		.amdhsa_user_sgpr_count 15
		.amdhsa_user_sgpr_dispatch_ptr 0
		.amdhsa_user_sgpr_queue_ptr 0
		.amdhsa_user_sgpr_kernarg_segment_ptr 1
		.amdhsa_user_sgpr_dispatch_id 0
		.amdhsa_user_sgpr_private_segment_size 0
		.amdhsa_wavefront_size32 1
		.amdhsa_uses_dynamic_stack 0
		.amdhsa_enable_private_segment 0
		.amdhsa_system_sgpr_workgroup_id_x 1
		.amdhsa_system_sgpr_workgroup_id_y 0
		.amdhsa_system_sgpr_workgroup_id_z 0
		.amdhsa_system_sgpr_workgroup_info 0
		.amdhsa_system_vgpr_workitem_id 0
		.amdhsa_next_free_vgpr 51
		.amdhsa_next_free_sgpr 16
		.amdhsa_reserve_vcc 1
		.amdhsa_float_round_mode_32 0
		.amdhsa_float_round_mode_16_64 0
		.amdhsa_float_denorm_mode_32 3
		.amdhsa_float_denorm_mode_16_64 3
		.amdhsa_dx10_clamp 1
		.amdhsa_ieee_mode 1
		.amdhsa_fp16_overflow 0
		.amdhsa_workgroup_processor_mode 1
		.amdhsa_memory_ordered 1
		.amdhsa_forward_progress 0
		.amdhsa_shared_vgpr_count 0
		.amdhsa_exception_fp_ieee_invalid_op 0
		.amdhsa_exception_fp_denorm_src 0
		.amdhsa_exception_fp_ieee_div_zero 0
		.amdhsa_exception_fp_ieee_overflow 0
		.amdhsa_exception_fp_ieee_underflow 0
		.amdhsa_exception_fp_ieee_inexact 0
		.amdhsa_exception_int_div_zero 0
	.end_amdhsa_kernel
	.section	.text._ZN9rocsparseL19gebsrmvn_4xn_kernelILj128ELj3ELj32E21rocsparse_complex_numIfEEEvi20rocsparse_direction_NS_24const_host_device_scalarIT2_EEPKiS8_PKS5_SA_S6_PS5_21rocsparse_index_base_b,"axG",@progbits,_ZN9rocsparseL19gebsrmvn_4xn_kernelILj128ELj3ELj32E21rocsparse_complex_numIfEEEvi20rocsparse_direction_NS_24const_host_device_scalarIT2_EEPKiS8_PKS5_SA_S6_PS5_21rocsparse_index_base_b,comdat
.Lfunc_end87:
	.size	_ZN9rocsparseL19gebsrmvn_4xn_kernelILj128ELj3ELj32E21rocsparse_complex_numIfEEEvi20rocsparse_direction_NS_24const_host_device_scalarIT2_EEPKiS8_PKS5_SA_S6_PS5_21rocsparse_index_base_b, .Lfunc_end87-_ZN9rocsparseL19gebsrmvn_4xn_kernelILj128ELj3ELj32E21rocsparse_complex_numIfEEEvi20rocsparse_direction_NS_24const_host_device_scalarIT2_EEPKiS8_PKS5_SA_S6_PS5_21rocsparse_index_base_b
                                        ; -- End function
	.section	.AMDGPU.csdata,"",@progbits
; Kernel info:
; codeLenInByte = 3204
; NumSgprs: 18
; NumVgprs: 51
; ScratchSize: 0
; MemoryBound: 0
; FloatMode: 240
; IeeeMode: 1
; LDSByteSize: 0 bytes/workgroup (compile time only)
; SGPRBlocks: 2
; VGPRBlocks: 6
; NumSGPRsForWavesPerEU: 18
; NumVGPRsForWavesPerEU: 51
; Occupancy: 16
; WaveLimiterHint : 1
; COMPUTE_PGM_RSRC2:SCRATCH_EN: 0
; COMPUTE_PGM_RSRC2:USER_SGPR: 15
; COMPUTE_PGM_RSRC2:TRAP_HANDLER: 0
; COMPUTE_PGM_RSRC2:TGID_X_EN: 1
; COMPUTE_PGM_RSRC2:TGID_Y_EN: 0
; COMPUTE_PGM_RSRC2:TGID_Z_EN: 0
; COMPUTE_PGM_RSRC2:TIDIG_COMP_CNT: 0
	.section	.text._ZN9rocsparseL19gebsrmvn_4xn_kernelILj128ELj3ELj64E21rocsparse_complex_numIfEEEvi20rocsparse_direction_NS_24const_host_device_scalarIT2_EEPKiS8_PKS5_SA_S6_PS5_21rocsparse_index_base_b,"axG",@progbits,_ZN9rocsparseL19gebsrmvn_4xn_kernelILj128ELj3ELj64E21rocsparse_complex_numIfEEEvi20rocsparse_direction_NS_24const_host_device_scalarIT2_EEPKiS8_PKS5_SA_S6_PS5_21rocsparse_index_base_b,comdat
	.globl	_ZN9rocsparseL19gebsrmvn_4xn_kernelILj128ELj3ELj64E21rocsparse_complex_numIfEEEvi20rocsparse_direction_NS_24const_host_device_scalarIT2_EEPKiS8_PKS5_SA_S6_PS5_21rocsparse_index_base_b ; -- Begin function _ZN9rocsparseL19gebsrmvn_4xn_kernelILj128ELj3ELj64E21rocsparse_complex_numIfEEEvi20rocsparse_direction_NS_24const_host_device_scalarIT2_EEPKiS8_PKS5_SA_S6_PS5_21rocsparse_index_base_b
	.p2align	8
	.type	_ZN9rocsparseL19gebsrmvn_4xn_kernelILj128ELj3ELj64E21rocsparse_complex_numIfEEEvi20rocsparse_direction_NS_24const_host_device_scalarIT2_EEPKiS8_PKS5_SA_S6_PS5_21rocsparse_index_base_b,@function
_ZN9rocsparseL19gebsrmvn_4xn_kernelILj128ELj3ELj64E21rocsparse_complex_numIfEEEvi20rocsparse_direction_NS_24const_host_device_scalarIT2_EEPKiS8_PKS5_SA_S6_PS5_21rocsparse_index_base_b: ; @_ZN9rocsparseL19gebsrmvn_4xn_kernelILj128ELj3ELj64E21rocsparse_complex_numIfEEEvi20rocsparse_direction_NS_24const_host_device_scalarIT2_EEPKiS8_PKS5_SA_S6_PS5_21rocsparse_index_base_b
; %bb.0:
	s_clause 0x2
	s_load_b64 s[12:13], s[0:1], 0x40
	s_load_b64 s[4:5], s[0:1], 0x8
	;; [unrolled: 1-line block ×3, first 2 shown]
	s_waitcnt lgkmcnt(0)
	s_bitcmp1_b32 s13, 0
	v_mov_b32_e32 v8, s4
	s_cselect_b32 s6, -1, 0
	s_delay_alu instid0(SALU_CYCLE_1)
	s_and_b32 vcc_lo, exec_lo, s6
	s_xor_b32 s6, s6, -1
	s_cbranch_vccz .LBB88_15
; %bb.1:
	v_cndmask_b32_e64 v1, 0, 1, s6
	v_mov_b32_e32 v9, s5
	s_and_not1_b32 vcc_lo, exec_lo, s6
	s_cbranch_vccz .LBB88_16
.LBB88_2:
	s_delay_alu instid0(VALU_DEP_2)
	v_cmp_ne_u32_e32 vcc_lo, 1, v1
	v_mov_b32_e32 v10, s2
	s_cbranch_vccz .LBB88_17
.LBB88_3:
	v_cmp_ne_u32_e32 vcc_lo, 1, v1
	v_mov_b32_e32 v11, s3
	s_cbranch_vccnz .LBB88_5
.LBB88_4:
	v_dual_mov_b32 v1, s2 :: v_dual_mov_b32 v2, s3
	flat_load_b32 v11, v[1:2] offset:4
.LBB88_5:
	s_waitcnt vmcnt(0) lgkmcnt(0)
	v_cmp_eq_f32_e32 vcc_lo, 0, v8
	v_cmp_eq_f32_e64 s2, 0, v9
	s_delay_alu instid0(VALU_DEP_1)
	s_and_b32 s4, vcc_lo, s2
	s_mov_b32 s2, -1
	s_and_saveexec_b32 s3, s4
; %bb.6:
	v_cmp_neq_f32_e32 vcc_lo, 1.0, v10
	v_cmp_neq_f32_e64 s2, 0, v11
	s_delay_alu instid0(VALU_DEP_1) | instskip(NEXT) | instid1(SALU_CYCLE_1)
	s_or_b32 s2, vcc_lo, s2
	s_or_not1_b32 s2, s2, exec_lo
; %bb.7:
	s_or_b32 exec_lo, exec_lo, s3
	s_and_saveexec_b32 s3, s2
	s_cbranch_execz .LBB88_29
; %bb.8:
	s_load_b64 s[2:3], s[0:1], 0x0
	v_lshrrev_b32_e32 v1, 6, v0
	s_delay_alu instid0(VALU_DEP_1) | instskip(SKIP_1) | instid1(VALU_DEP_1)
	v_lshl_or_b32 v1, s15, 1, v1
	s_waitcnt lgkmcnt(0)
	v_cmp_gt_i32_e32 vcc_lo, s2, v1
	s_and_b32 exec_lo, exec_lo, vcc_lo
	s_cbranch_execz .LBB88_29
; %bb.9:
	s_load_b256 s[4:11], s[0:1], 0x10
	v_ashrrev_i32_e32 v2, 31, v1
	v_and_b32_e32 v0, 63, v0
	s_cmp_lg_u32 s3, 0
	s_delay_alu instid0(VALU_DEP_2) | instskip(SKIP_1) | instid1(VALU_DEP_1)
	v_lshlrev_b64 v[2:3], 2, v[1:2]
	s_waitcnt lgkmcnt(0)
	v_add_co_u32 v2, vcc_lo, s4, v2
	s_delay_alu instid0(VALU_DEP_2) | instskip(SKIP_4) | instid1(VALU_DEP_2)
	v_add_co_ci_u32_e32 v3, vcc_lo, s5, v3, vcc_lo
	global_load_b64 v[2:3], v[2:3], off
	s_waitcnt vmcnt(0)
	v_subrev_nc_u32_e32 v2, s12, v2
	v_subrev_nc_u32_e32 v20, s12, v3
	v_add_nc_u32_e32 v2, v2, v0
	s_delay_alu instid0(VALU_DEP_1)
	v_cmp_lt_i32_e64 s2, v2, v20
	s_cbranch_scc0 .LBB88_18
; %bb.10:
	v_dual_mov_b32 v12, 0 :: v_dual_mov_b32 v17, 0
	v_dual_mov_b32 v16, 0 :: v_dual_mov_b32 v13, 0
	;; [unrolled: 1-line block ×4, first 2 shown]
	s_mov_b32 s3, 0
	s_and_saveexec_b32 s4, s2
	s_cbranch_execz .LBB88_14
; %bb.11:
	v_dual_mov_b32 v4, 0 :: v_dual_mov_b32 v5, v2
	v_mul_lo_u32 v3, v2, 12
	s_mov_b32 s5, 0
	s_delay_alu instid0(VALU_DEP_2)
	v_mov_b32_e32 v12, v4
	v_mov_b32_e32 v16, v4
	;; [unrolled: 1-line block ×8, first 2 shown]
.LBB88_12:                              ; =>This Inner Loop Header: Depth=1
	v_ashrrev_i32_e32 v6, 31, v5
	v_dual_mov_b32 v22, v4 :: v_dual_add_nc_u32 v21, 4, v3
	v_dual_mov_b32 v24, v4 :: v_dual_add_nc_u32 v23, 8, v3
	s_delay_alu instid0(VALU_DEP_3) | instskip(SKIP_1) | instid1(VALU_DEP_4)
	v_lshlrev_b64 v[6:7], 2, v[5:6]
	v_mov_b32_e32 v50, v4
	v_lshlrev_b64 v[21:22], 3, v[21:22]
	s_delay_alu instid0(VALU_DEP_4) | instskip(NEXT) | instid1(VALU_DEP_4)
	v_lshlrev_b64 v[23:24], 3, v[23:24]
	v_add_co_u32 v6, vcc_lo, s6, v6
	v_add_co_ci_u32_e32 v7, vcc_lo, s7, v7, vcc_lo
	global_load_b32 v45, v[6:7], off
	v_lshlrev_b64 v[6:7], 3, v[3:4]
	v_add_nc_u32_e32 v3, 0x300, v3
	s_delay_alu instid0(VALU_DEP_2) | instskip(NEXT) | instid1(VALU_DEP_3)
	v_add_co_u32 v6, vcc_lo, s8, v6
	v_add_co_ci_u32_e32 v7, vcc_lo, s9, v7, vcc_lo
	v_add_co_u32 v33, vcc_lo, s8, v21
	v_add_co_ci_u32_e32 v34, vcc_lo, s9, v22, vcc_lo
	;; [unrolled: 2-line block ×3, first 2 shown]
	s_clause 0x5
	global_load_b128 v[21:24], v[6:7], off offset:16
	global_load_b128 v[25:28], v[6:7], off
	global_load_b128 v[29:32], v[33:34], off offset:16
	global_load_b128 v[33:36], v[33:34], off
	;; [unrolled: 2-line block ×3, first 2 shown]
	s_waitcnt vmcnt(6)
	v_subrev_nc_u32_e32 v6, s12, v45
	s_delay_alu instid0(VALU_DEP_1) | instskip(SKIP_1) | instid1(VALU_DEP_2)
	v_lshl_add_u32 v45, v6, 1, v6
	v_mov_b32_e32 v46, v4
	v_dual_mov_b32 v48, v4 :: v_dual_add_nc_u32 v49, 2, v45
	v_add_nc_u32_e32 v47, 1, v45
	s_delay_alu instid0(VALU_DEP_3) | instskip(NEXT) | instid1(VALU_DEP_2)
	v_lshlrev_b64 v[6:7], 3, v[45:46]
	v_lshlrev_b64 v[45:46], 3, v[47:48]
	s_delay_alu instid0(VALU_DEP_4) | instskip(NEXT) | instid1(VALU_DEP_3)
	v_lshlrev_b64 v[47:48], 3, v[49:50]
	v_add_co_u32 v6, vcc_lo, s10, v6
	s_delay_alu instid0(VALU_DEP_4) | instskip(NEXT) | instid1(VALU_DEP_4)
	v_add_co_ci_u32_e32 v7, vcc_lo, s11, v7, vcc_lo
	v_add_co_u32 v45, vcc_lo, s10, v45
	v_add_co_ci_u32_e32 v46, vcc_lo, s11, v46, vcc_lo
	global_load_b64 v[6:7], v[6:7], off
	v_add_co_u32 v47, vcc_lo, s10, v47
	v_add_co_ci_u32_e32 v48, vcc_lo, s11, v48, vcc_lo
	s_clause 0x1
	global_load_b64 v[45:46], v[45:46], off
	global_load_b64 v[47:48], v[47:48], off
	s_waitcnt vmcnt(2)
	v_dual_fmac_f32 v16, v25, v6 :: v_dual_add_nc_u32 v5, 64, v5
	v_fmac_f32_e32 v14, v22, v6
	v_fmac_f32_e32 v15, v28, v6
	;; [unrolled: 1-line block ×3, first 2 shown]
	s_delay_alu instid0(VALU_DEP_4) | instskip(NEXT) | instid1(VALU_DEP_4)
	v_cmp_ge_i32_e32 vcc_lo, v5, v20
	v_fmac_f32_e32 v14, v21, v7
	s_delay_alu instid0(VALU_DEP_4) | instskip(SKIP_2) | instid1(VALU_DEP_2)
	v_dual_fmac_f32 v12, v26, v6 :: v_dual_fmac_f32 v15, v27, v7
	v_fmac_f32_e32 v19, v27, v6
	s_or_b32 s5, vcc_lo, s5
	v_dual_fmac_f32 v12, v25, v7 :: v_dual_fmac_f32 v13, v24, v6
	s_waitcnt vmcnt(1)
	v_fmac_f32_e32 v15, v36, v45
	s_delay_alu instid0(VALU_DEP_2) | instskip(NEXT) | instid1(VALU_DEP_3)
	v_fmac_f32_e32 v12, v34, v45
	v_dual_fmac_f32 v18, v21, v6 :: v_dual_fmac_f32 v13, v23, v7
	v_fma_f32 v6, -v26, v7, v16
	v_fma_f32 v16, -v28, v7, v19
	v_fmac_f32_e32 v15, v35, v46
	s_delay_alu instid0(VALU_DEP_4)
	v_fma_f32 v18, -v22, v7, v18
	v_fmac_f32_e32 v13, v32, v45
	v_fmac_f32_e32 v6, v33, v45
	v_fma_f32 v17, -v24, v7, v17
	s_waitcnt vmcnt(0)
	v_dual_fmac_f32 v16, v35, v45 :: v_dual_fmac_f32 v15, v44, v47
	v_fmac_f32_e32 v18, v29, v45
	v_dual_fmac_f32 v14, v30, v45 :: v_dual_fmac_f32 v13, v31, v46
	v_dual_fmac_f32 v17, v31, v45 :: v_dual_fmac_f32 v12, v33, v46
	v_fma_f32 v6, -v34, v46, v6
	v_fma_f32 v7, -v36, v46, v16
	;; [unrolled: 1-line block ×3, first 2 shown]
	v_fmac_f32_e32 v14, v29, v46
	v_fma_f32 v17, -v32, v46, v17
	v_fmac_f32_e32 v13, v40, v47
	v_dual_fmac_f32 v6, v41, v47 :: v_dual_fmac_f32 v15, v43, v48
	v_fmac_f32_e32 v12, v42, v47
	s_delay_alu instid0(VALU_DEP_3) | instskip(SKIP_2) | instid1(VALU_DEP_4)
	v_dual_fmac_f32 v18, v37, v47 :: v_dual_fmac_f32 v13, v39, v48
	v_fmac_f32_e32 v7, v43, v47
	v_fmac_f32_e32 v14, v38, v47
	v_dual_fmac_f32 v12, v41, v48 :: v_dual_fmac_f32 v17, v39, v47
	v_fma_f32 v16, -v42, v48, v6
	s_delay_alu instid0(VALU_DEP_4) | instskip(NEXT) | instid1(VALU_DEP_4)
	v_fma_f32 v19, -v44, v48, v7
	v_fmac_f32_e32 v14, v37, v48
	v_fma_f32 v18, -v38, v48, v18
	v_fma_f32 v17, -v40, v48, v17
	s_and_not1_b32 exec_lo, exec_lo, s5
	s_cbranch_execnz .LBB88_12
; %bb.13:
	s_or_b32 exec_lo, exec_lo, s5
.LBB88_14:
	s_delay_alu instid0(SALU_CYCLE_1) | instskip(NEXT) | instid1(SALU_CYCLE_1)
	s_or_b32 exec_lo, exec_lo, s4
	s_and_not1_b32 vcc_lo, exec_lo, s3
	s_cbranch_vccz .LBB88_19
	s_branch .LBB88_24
.LBB88_15:
	v_dual_mov_b32 v1, s4 :: v_dual_mov_b32 v2, s5
	flat_load_b32 v8, v[1:2]
	v_cndmask_b32_e64 v1, 0, 1, s6
	v_mov_b32_e32 v9, s5
	s_and_not1_b32 vcc_lo, exec_lo, s6
	s_cbranch_vccnz .LBB88_2
.LBB88_16:
	v_dual_mov_b32 v2, s4 :: v_dual_mov_b32 v3, s5
	flat_load_b32 v9, v[2:3] offset:4
	v_cmp_ne_u32_e32 vcc_lo, 1, v1
	v_mov_b32_e32 v10, s2
	s_cbranch_vccnz .LBB88_3
.LBB88_17:
	v_dual_mov_b32 v2, s2 :: v_dual_mov_b32 v3, s3
	flat_load_b32 v10, v[2:3]
	v_cmp_ne_u32_e32 vcc_lo, 1, v1
	v_mov_b32_e32 v11, s3
	s_cbranch_vccz .LBB88_4
	s_branch .LBB88_5
.LBB88_18:
                                        ; implicit-def: $vgpr12
                                        ; implicit-def: $vgpr16
                                        ; implicit-def: $vgpr17
                                        ; implicit-def: $vgpr13
                                        ; implicit-def: $vgpr18
                                        ; implicit-def: $vgpr14
                                        ; implicit-def: $vgpr19
                                        ; implicit-def: $vgpr15
.LBB88_19:
	v_dual_mov_b32 v12, 0 :: v_dual_mov_b32 v17, 0
	v_dual_mov_b32 v16, 0 :: v_dual_mov_b32 v13, 0
	;; [unrolled: 1-line block ×4, first 2 shown]
	s_and_saveexec_b32 s3, s2
	s_cbranch_execz .LBB88_23
; %bb.20:
	v_mad_u64_u32 v[4:5], null, v2, 12, 11
	v_dual_mov_b32 v7, 0 :: v_dual_mov_b32 v12, 0
	v_dual_mov_b32 v16, 0 :: v_dual_mov_b32 v17, 0
	;; [unrolled: 1-line block ×4, first 2 shown]
	v_mov_b32_e32 v15, 0
	s_mov_b32 s2, 0
.LBB88_21:                              ; =>This Inner Loop Header: Depth=1
	v_ashrrev_i32_e32 v3, 31, v2
	v_dual_mov_b32 v30, v7 :: v_dual_add_nc_u32 v21, -5, v4
	v_dual_mov_b32 v22, v7 :: v_dual_add_nc_u32 v23, -2, v4
	s_delay_alu instid0(VALU_DEP_3) | instskip(SKIP_1) | instid1(VALU_DEP_3)
	v_lshlrev_b64 v[5:6], 2, v[2:3]
	v_mov_b32_e32 v24, v7
	v_lshlrev_b64 v[21:22], 3, v[21:22]
	s_delay_alu instid0(VALU_DEP_2) | instskip(NEXT) | instid1(VALU_DEP_4)
	v_lshlrev_b64 v[23:24], 3, v[23:24]
	v_add_co_u32 v5, vcc_lo, s6, v5
	v_add_co_ci_u32_e32 v6, vcc_lo, s7, v6, vcc_lo
	global_load_b32 v3, v[5:6], off
	v_dual_mov_b32 v5, v7 :: v_dual_add_nc_u32 v6, -11, v4
	s_delay_alu instid0(VALU_DEP_1) | instskip(NEXT) | instid1(VALU_DEP_2)
	v_lshlrev_b64 v[25:26], 3, v[6:7]
	v_lshlrev_b64 v[5:6], 3, v[4:5]
	s_delay_alu instid0(VALU_DEP_2) | instskip(NEXT) | instid1(VALU_DEP_3)
	v_add_co_u32 v25, vcc_lo, s8, v25
	v_add_co_ci_u32_e32 v26, vcc_lo, s9, v26, vcc_lo
	v_add_co_u32 v31, vcc_lo, s8, v21
	v_add_co_ci_u32_e32 v32, vcc_lo, s9, v22, vcc_lo
	;; [unrolled: 2-line block ×4, first 2 shown]
	s_clause 0x3
	global_load_b128 v[21:24], v[25:26], off offset:16
	global_load_b128 v[25:28], v[25:26], off
	global_load_b64 v[31:32], v[31:32], off
	global_load_b64 v[33:34], v[33:34], off
	s_waitcnt vmcnt(4)
	v_subrev_nc_u32_e32 v3, s12, v3
	s_delay_alu instid0(VALU_DEP_1) | instskip(NEXT) | instid1(VALU_DEP_1)
	v_lshl_add_u32 v29, v3, 1, v3
	v_lshlrev_b64 v[37:38], 3, v[29:30]
	s_delay_alu instid0(VALU_DEP_1) | instskip(NEXT) | instid1(VALU_DEP_2)
	v_add_co_u32 v37, vcc_lo, s10, v37
	v_add_co_ci_u32_e32 v38, vcc_lo, s11, v38, vcc_lo
	global_load_b64 v[37:38], v[37:38], off
	v_add_nc_u32_e32 v6, 1, v29
	s_delay_alu instid0(VALU_DEP_1) | instskip(NEXT) | instid1(VALU_DEP_1)
	v_lshlrev_b64 v[39:40], 3, v[6:7]
	v_add_co_u32 v39, vcc_lo, s10, v39
	s_delay_alu instid0(VALU_DEP_2) | instskip(SKIP_3) | instid1(VALU_DEP_1)
	v_add_co_ci_u32_e32 v40, vcc_lo, s11, v40, vcc_lo
	global_load_b64 v[39:40], v[39:40], off
	s_waitcnt vmcnt(1)
	v_dual_fmac_f32 v19, v23, v37 :: v_dual_add_nc_u32 v6, -7, v4
	v_lshlrev_b64 v[41:42], 3, v[6:7]
	v_dual_fmac_f32 v15, v24, v37 :: v_dual_add_nc_u32 v6, -4, v4
	v_fmac_f32_e32 v13, v34, v37
	v_fmac_f32_e32 v17, v33, v37
	s_delay_alu instid0(VALU_DEP_3) | instskip(SKIP_3) | instid1(VALU_DEP_3)
	v_lshlrev_b64 v[43:44], 3, v[6:7]
	v_add_nc_u32_e32 v6, -1, v4
	v_add_co_u32 v41, vcc_lo, s8, v41
	v_add_co_ci_u32_e32 v42, vcc_lo, s9, v42, vcc_lo
	v_lshlrev_b64 v[45:46], 3, v[6:7]
	v_dual_fmac_f32 v13, v33, v38 :: v_dual_add_nc_u32 v6, 2, v29
	v_add_co_u32 v29, vcc_lo, s8, v43
	v_add_co_ci_u32_e32 v30, vcc_lo, s9, v44, vcc_lo
	s_delay_alu instid0(VALU_DEP_4)
	v_add_co_u32 v45, vcc_lo, s8, v45
	v_add_co_ci_u32_e32 v46, vcc_lo, s9, v46, vcc_lo
	global_load_b64 v[41:42], v[41:42], off
	v_lshlrev_b64 v[43:44], 3, v[6:7]
	v_fmac_f32_e32 v15, v23, v38
	global_load_b64 v[45:46], v[45:46], off
	v_fmac_f32_e32 v16, v25, v37
	global_load_b64 v[29:30], v[29:30], off
	v_fma_f32 v17, -v34, v38, v17
	v_add_co_u32 v43, vcc_lo, s10, v43
	v_add_co_ci_u32_e32 v44, vcc_lo, s11, v44, vcc_lo
	global_load_b64 v[43:44], v[43:44], off
	s_waitcnt vmcnt(3)
	v_dual_fmac_f32 v15, v42, v39 :: v_dual_add_nc_u32 v2, 64, v2
	s_waitcnt vmcnt(2)
	v_fmac_f32_e32 v13, v46, v39
	v_fma_f32 v3, -v26, v38, v16
	s_delay_alu instid0(VALU_DEP_3) | instskip(SKIP_4) | instid1(VALU_DEP_4)
	v_fmac_f32_e32 v15, v41, v40
	v_add_nc_u32_e32 v6, -6, v4
	v_fma_f32 v16, -v24, v38, v19
	v_dual_fmac_f32 v18, v31, v37 :: v_dual_fmac_f32 v13, v45, v40
	v_fmac_f32_e32 v3, v27, v39
	v_lshlrev_b64 v[47:48], 3, v[6:7]
	v_add_nc_u32_e32 v6, -3, v4
	s_delay_alu instid0(VALU_DEP_4) | instskip(SKIP_2) | instid1(VALU_DEP_4)
	v_fma_f32 v18, -v32, v38, v18
	v_dual_fmac_f32 v17, v45, v39 :: v_dual_add_nc_u32 v4, 0x300, v4
	v_fma_f32 v3, -v28, v40, v3
	v_lshlrev_b64 v[5:6], 3, v[6:7]
	v_add_co_u32 v47, vcc_lo, s8, v47
	v_add_co_ci_u32_e32 v48, vcc_lo, s9, v48, vcc_lo
	s_waitcnt vmcnt(0)
	v_dual_fmac_f32 v12, v26, v37 :: v_dual_fmac_f32 v3, v21, v43
	s_delay_alu instid0(VALU_DEP_4)
	v_add_co_u32 v5, vcc_lo, s8, v5
	v_add_co_ci_u32_e32 v6, vcc_lo, s9, v6, vcc_lo
	s_clause 0x2
	global_load_b64 v[47:48], v[47:48], off
	global_load_b64 v[5:6], v[5:6], off
	global_load_b64 v[35:36], v[35:36], off
	v_fmac_f32_e32 v16, v41, v39
	v_fmac_f32_e32 v12, v25, v38
	;; [unrolled: 1-line block ×3, first 2 shown]
	v_fma_f32 v17, -v46, v40, v17
	v_cmp_ge_i32_e32 vcc_lo, v2, v20
	v_fma_f32 v19, -v42, v40, v16
	v_fmac_f32_e32 v14, v32, v37
	v_fma_f32 v18, -v30, v40, v18
	v_fma_f32 v16, -v22, v44, v3
	s_or_b32 s2, vcc_lo, s2
	s_waitcnt vmcnt(2)
	v_fmac_f32_e32 v19, v47, v43
	s_waitcnt vmcnt(0)
	v_dual_fmac_f32 v14, v31, v38 :: v_dual_fmac_f32 v13, v36, v43
	v_fmac_f32_e32 v15, v48, v43
	v_fmac_f32_e32 v12, v28, v39
	;; [unrolled: 1-line block ×3, first 2 shown]
	s_delay_alu instid0(VALU_DEP_4)
	v_fmac_f32_e32 v14, v30, v39
	v_fmac_f32_e32 v17, v35, v43
	;; [unrolled: 1-line block ×4, first 2 shown]
	v_fma_f32 v19, -v48, v44, v19
	v_fmac_f32_e32 v14, v29, v40
	v_fma_f32 v18, -v6, v44, v18
	v_fma_f32 v17, -v36, v44, v17
	v_dual_fmac_f32 v12, v22, v43 :: v_dual_fmac_f32 v13, v35, v44
	s_delay_alu instid0(VALU_DEP_4) | instskip(NEXT) | instid1(VALU_DEP_2)
	v_fmac_f32_e32 v14, v6, v43
	v_fmac_f32_e32 v12, v21, v44
	s_delay_alu instid0(VALU_DEP_2)
	v_fmac_f32_e32 v14, v5, v44
	s_and_not1_b32 exec_lo, exec_lo, s2
	s_cbranch_execnz .LBB88_21
; %bb.22:
	s_or_b32 exec_lo, exec_lo, s2
.LBB88_23:
	s_delay_alu instid0(SALU_CYCLE_1)
	s_or_b32 exec_lo, exec_lo, s3
.LBB88_24:
	v_mbcnt_lo_u32_b32 v2, -1, 0
	s_delay_alu instid0(VALU_DEP_1) | instskip(SKIP_1) | instid1(VALU_DEP_2)
	v_or_b32_e32 v3, 32, v2
	v_xor_b32_e32 v23, 16, v2
	v_cmp_gt_i32_e32 vcc_lo, 32, v3
	v_cndmask_b32_e32 v3, v2, v3, vcc_lo
	s_delay_alu instid0(VALU_DEP_3) | instskip(NEXT) | instid1(VALU_DEP_2)
	v_cmp_gt_i32_e32 vcc_lo, 32, v23
	v_lshlrev_b32_e32 v3, 2, v3
	ds_bpermute_b32 v6, v3, v19
	s_waitcnt lgkmcnt(0)
	v_add_f32_e32 v6, v19, v6
	ds_bpermute_b32 v4, v3, v16
	ds_bpermute_b32 v5, v3, v12
	;; [unrolled: 1-line block ×7, first 2 shown]
	s_waitcnt lgkmcnt(6)
	v_dual_add_f32 v4, v16, v4 :: v_dual_cndmask_b32 v23, v2, v23
	s_waitcnt lgkmcnt(5)
	v_add_f32_e32 v5, v12, v5
	s_waitcnt lgkmcnt(3)
	v_dual_add_f32 v7, v15, v7 :: v_dual_add_f32 v12, v18, v20
	s_waitcnt lgkmcnt(1)
	v_dual_add_f32 v14, v14, v21 :: v_dual_lshlrev_b32 v23, 2, v23
	v_add_f32_e32 v15, v17, v22
	ds_bpermute_b32 v17, v23, v6
	ds_bpermute_b32 v16, v23, v5
	;; [unrolled: 1-line block ×5, first 2 shown]
	s_waitcnt lgkmcnt(4)
	v_add_f32_e32 v6, v6, v17
	ds_bpermute_b32 v21, v23, v15
	v_add_f32_e32 v3, v13, v3
	ds_bpermute_b32 v13, v23, v4
	s_waitcnt lgkmcnt(4)
	v_dual_add_f32 v5, v5, v16 :: v_dual_add_f32 v12, v12, v19
	s_waitcnt lgkmcnt(0)
	v_dual_add_f32 v4, v4, v13 :: v_dual_add_f32 v13, v14, v20
	v_add_f32_e32 v14, v15, v21
	ds_bpermute_b32 v22, v23, v3
	v_xor_b32_e32 v23, 8, v2
	s_delay_alu instid0(VALU_DEP_1) | instskip(SKIP_1) | instid1(VALU_DEP_1)
	v_cmp_gt_i32_e32 vcc_lo, 32, v23
	v_cndmask_b32_e32 v23, v2, v23, vcc_lo
	v_lshlrev_b32_e32 v23, 2, v23
	ds_bpermute_b32 v17, v23, v6
	s_waitcnt lgkmcnt(0)
	v_add_f32_e32 v6, v6, v17
	ds_bpermute_b32 v15, v23, v4
	ds_bpermute_b32 v19, v23, v12
	;; [unrolled: 1-line block ×3, first 2 shown]
	v_add_f32_e32 v7, v7, v18
	v_add_f32_e32 v3, v3, v22
	ds_bpermute_b32 v16, v23, v5
	s_waitcnt lgkmcnt(3)
	v_add_f32_e32 v4, v4, v15
	ds_bpermute_b32 v18, v23, v7
	s_waitcnt lgkmcnt(2)
	v_add_f32_e32 v14, v14, v21
	ds_bpermute_b32 v22, v23, v3
	v_add_f32_e32 v12, v12, v19
	ds_bpermute_b32 v20, v23, v13
	v_xor_b32_e32 v23, 4, v2
	s_waitcnt lgkmcnt(3)
	v_add_f32_e32 v5, v5, v16
	s_delay_alu instid0(VALU_DEP_2) | instskip(SKIP_1) | instid1(VALU_DEP_1)
	v_cmp_gt_i32_e32 vcc_lo, 32, v23
	v_cndmask_b32_e32 v23, v2, v23, vcc_lo
	v_lshlrev_b32_e32 v23, 2, v23
	s_waitcnt lgkmcnt(2)
	v_add_f32_e32 v7, v7, v18
	s_waitcnt lgkmcnt(1)
	v_add_f32_e32 v3, v3, v22
	;; [unrolled: 2-line block ×3, first 2 shown]
	ds_bpermute_b32 v16, v23, v5
	ds_bpermute_b32 v18, v23, v7
	;; [unrolled: 1-line block ×3, first 2 shown]
	s_waitcnt lgkmcnt(1)
	v_dual_add_f32 v5, v5, v16 :: v_dual_add_f32 v16, v7, v18
	s_waitcnt lgkmcnt(0)
	v_add_f32_e32 v18, v14, v21
	ds_bpermute_b32 v15, v23, v4
	ds_bpermute_b32 v17, v23, v6
	;; [unrolled: 1-line block ×5, first 2 shown]
	v_xor_b32_e32 v23, 2, v2
	s_delay_alu instid0(VALU_DEP_1) | instskip(SKIP_1) | instid1(VALU_DEP_1)
	v_cmp_gt_i32_e32 vcc_lo, 32, v23
	v_cndmask_b32_e32 v23, v2, v23, vcc_lo
	v_lshlrev_b32_e32 v23, 2, v23
	s_waitcnt lgkmcnt(3)
	v_dual_add_f32 v4, v4, v15 :: v_dual_add_f32 v15, v6, v17
	s_waitcnt lgkmcnt(1)
	v_dual_add_f32 v12, v12, v19 :: v_dual_add_f32 v17, v13, v20
	s_waitcnt lgkmcnt(0)
	v_add_f32_e32 v19, v3, v22
	ds_bpermute_b32 v3, v23, v4
	ds_bpermute_b32 v6, v23, v5
	;; [unrolled: 1-line block ×8, first 2 shown]
	v_xor_b32_e32 v23, 1, v2
	s_delay_alu instid0(VALU_DEP_1) | instskip(SKIP_4) | instid1(VALU_DEP_3)
	v_cmp_gt_i32_e32 vcc_lo, 32, v23
	v_cndmask_b32_e32 v2, v2, v23, vcc_lo
	v_cmp_eq_u32_e32 vcc_lo, 63, v0
	s_waitcnt lgkmcnt(5)
	v_add_f32_e32 v7, v15, v7
	v_dual_add_f32 v2, v4, v3 :: v_dual_lshlrev_b32 v23, 2, v2
	s_waitcnt lgkmcnt(4)
	v_dual_add_f32 v6, v5, v6 :: v_dual_add_f32 v13, v16, v13
	s_waitcnt lgkmcnt(2)
	v_dual_add_f32 v14, v12, v14 :: v_dual_add_f32 v15, v17, v20
	s_waitcnt lgkmcnt(1)
	v_add_f32_e32 v3, v18, v21
	s_waitcnt lgkmcnt(0)
	v_add_f32_e32 v5, v19, v22
	ds_bpermute_b32 v4, v23, v2
	ds_bpermute_b32 v12, v23, v6
	;; [unrolled: 1-line block ×8, first 2 shown]
	s_and_b32 exec_lo, exec_lo, vcc_lo
	s_cbranch_execz .LBB88_29
; %bb.25:
	s_load_b64 s[2:3], s[0:1], 0x38
	v_cmp_eq_f32_e32 vcc_lo, 0, v10
	v_cmp_eq_f32_e64 s0, 0, v11
	s_waitcnt lgkmcnt(0)
	v_add_f32_e32 v4, v2, v4
	v_dual_add_f32 v12, v6, v12 :: v_dual_add_f32 v5, v5, v17
	v_dual_add_f32 v0, v7, v18 :: v_dual_add_f32 v7, v13, v19
	v_add_f32_e32 v2, v14, v20
	v_add_f32_e32 v6, v15, v21
	v_add_f32_e32 v3, v3, v16
	s_and_b32 s0, vcc_lo, s0
	s_delay_alu instid0(SALU_CYCLE_1) | instskip(NEXT) | instid1(SALU_CYCLE_1)
	s_and_saveexec_b32 s1, s0
	s_xor_b32 s0, exec_lo, s1
	s_cbranch_execz .LBB88_27
; %bb.26:
	v_dual_mul_f32 v11, v12, v8 :: v_dual_lshlrev_b32 v16, 2, v1
	v_mul_f32_e64 v10, v12, -v9
	v_mul_f32_e64 v12, v7, -v9
	;; [unrolled: 1-line block ×3, first 2 shown]
	s_delay_alu instid0(VALU_DEP_4) | instskip(SKIP_2) | instid1(VALU_DEP_4)
	v_ashrrev_i32_e32 v17, 31, v16
	v_mul_f32_e32 v13, v7, v8
	v_mul_f32_e32 v15, v6, v8
	v_dual_fmac_f32 v11, v9, v4 :: v_dual_fmac_f32 v14, v8, v2
	s_delay_alu instid0(VALU_DEP_4) | instskip(SKIP_4) | instid1(VALU_DEP_4)
	v_lshlrev_b64 v[6:7], 3, v[16:17]
	v_mul_f32_e64 v16, v5, -v9
	v_mul_f32_e32 v17, v5, v8
	v_fmac_f32_e32 v12, v8, v0
	v_fmac_f32_e32 v13, v9, v0
                                        ; implicit-def: $vgpr1
                                        ; implicit-def: $vgpr0
                                        ; implicit-def: $vgpr5
	v_fmac_f32_e32 v16, v8, v3
	s_delay_alu instid0(VALU_DEP_4)
	v_fmac_f32_e32 v17, v9, v3
	v_add_co_u32 v6, vcc_lo, s2, v6
	v_dual_fmac_f32 v10, v8, v4 :: v_dual_fmac_f32 v15, v9, v2
	v_add_co_ci_u32_e32 v7, vcc_lo, s3, v7, vcc_lo
	s_clause 0x1
	global_store_b128 v[6:7], v[10:13], off
	global_store_b128 v[6:7], v[14:17], off offset:16
                                        ; implicit-def: $vgpr8
                                        ; implicit-def: $vgpr9
                                        ; implicit-def: $vgpr10
                                        ; implicit-def: $vgpr11
                                        ; implicit-def: $vgpr4
                                        ; implicit-def: $vgpr12
                                        ; implicit-def: $vgpr7
                                        ; implicit-def: $vgpr2
                                        ; implicit-def: $vgpr6
                                        ; implicit-def: $vgpr3
.LBB88_27:
	s_and_not1_saveexec_b32 s0, s0
	s_cbranch_execz .LBB88_29
; %bb.28:
	v_dual_mul_f32 v22, v12, v8 :: v_dual_lshlrev_b32 v13, 2, v1
	v_mul_f32_e64 v1, v12, -v9
	v_mul_f32_e32 v26, v6, v8
	v_mul_f32_e64 v12, v7, -v9
	s_delay_alu instid0(VALU_DEP_4)
	v_ashrrev_i32_e32 v14, 31, v13
	v_mul_f32_e32 v24, v7, v8
	v_mul_f32_e64 v7, v6, -v9
	v_mul_f32_e64 v6, v5, -v9
	v_dual_fmac_f32 v1, v8, v4 :: v_dual_fmac_f32 v26, v9, v2
	v_lshlrev_b64 v[13:14], 3, v[13:14]
	v_fmac_f32_e32 v12, v8, v0
	v_dual_fmac_f32 v7, v8, v2 :: v_dual_fmac_f32 v24, v9, v0
	v_fmac_f32_e32 v6, v8, v3
	s_delay_alu instid0(VALU_DEP_4)
	v_add_co_u32 v29, vcc_lo, s2, v13
	v_add_co_ci_u32_e32 v30, vcc_lo, s3, v14, vcc_lo
	s_clause 0x1
	global_load_b128 v[13:16], v[29:30], off
	global_load_b128 v[17:20], v[29:30], off offset:16
	v_mul_f32_e32 v28, v5, v8
	s_waitcnt vmcnt(1)
	v_dual_fmac_f32 v22, v9, v4 :: v_dual_fmac_f32 v1, v10, v13
	s_waitcnt vmcnt(0)
	s_delay_alu instid0(VALU_DEP_2) | instskip(NEXT) | instid1(VALU_DEP_2)
	v_dual_fmac_f32 v7, v10, v17 :: v_dual_fmac_f32 v28, v9, v3
	v_fmac_f32_e32 v22, v11, v13
	v_fmac_f32_e32 v12, v10, v15
	;; [unrolled: 1-line block ×6, first 2 shown]
	v_fma_f32 v21, -v11, v14, v1
	v_fmac_f32_e32 v22, v10, v14
	v_fma_f32 v23, -v11, v16, v12
	v_fmac_f32_e32 v24, v10, v16
	;; [unrolled: 2-line block ×4, first 2 shown]
	s_clause 0x1
	global_store_b128 v[29:30], v[21:24], off
	global_store_b128 v[29:30], v[25:28], off offset:16
.LBB88_29:
	s_nop 0
	s_sendmsg sendmsg(MSG_DEALLOC_VGPRS)
	s_endpgm
	.section	.rodata,"a",@progbits
	.p2align	6, 0x0
	.amdhsa_kernel _ZN9rocsparseL19gebsrmvn_4xn_kernelILj128ELj3ELj64E21rocsparse_complex_numIfEEEvi20rocsparse_direction_NS_24const_host_device_scalarIT2_EEPKiS8_PKS5_SA_S6_PS5_21rocsparse_index_base_b
		.amdhsa_group_segment_fixed_size 0
		.amdhsa_private_segment_fixed_size 0
		.amdhsa_kernarg_size 72
		.amdhsa_user_sgpr_count 15
		.amdhsa_user_sgpr_dispatch_ptr 0
		.amdhsa_user_sgpr_queue_ptr 0
		.amdhsa_user_sgpr_kernarg_segment_ptr 1
		.amdhsa_user_sgpr_dispatch_id 0
		.amdhsa_user_sgpr_private_segment_size 0
		.amdhsa_wavefront_size32 1
		.amdhsa_uses_dynamic_stack 0
		.amdhsa_enable_private_segment 0
		.amdhsa_system_sgpr_workgroup_id_x 1
		.amdhsa_system_sgpr_workgroup_id_y 0
		.amdhsa_system_sgpr_workgroup_id_z 0
		.amdhsa_system_sgpr_workgroup_info 0
		.amdhsa_system_vgpr_workitem_id 0
		.amdhsa_next_free_vgpr 51
		.amdhsa_next_free_sgpr 16
		.amdhsa_reserve_vcc 1
		.amdhsa_float_round_mode_32 0
		.amdhsa_float_round_mode_16_64 0
		.amdhsa_float_denorm_mode_32 3
		.amdhsa_float_denorm_mode_16_64 3
		.amdhsa_dx10_clamp 1
		.amdhsa_ieee_mode 1
		.amdhsa_fp16_overflow 0
		.amdhsa_workgroup_processor_mode 1
		.amdhsa_memory_ordered 1
		.amdhsa_forward_progress 0
		.amdhsa_shared_vgpr_count 0
		.amdhsa_exception_fp_ieee_invalid_op 0
		.amdhsa_exception_fp_denorm_src 0
		.amdhsa_exception_fp_ieee_div_zero 0
		.amdhsa_exception_fp_ieee_overflow 0
		.amdhsa_exception_fp_ieee_underflow 0
		.amdhsa_exception_fp_ieee_inexact 0
		.amdhsa_exception_int_div_zero 0
	.end_amdhsa_kernel
	.section	.text._ZN9rocsparseL19gebsrmvn_4xn_kernelILj128ELj3ELj64E21rocsparse_complex_numIfEEEvi20rocsparse_direction_NS_24const_host_device_scalarIT2_EEPKiS8_PKS5_SA_S6_PS5_21rocsparse_index_base_b,"axG",@progbits,_ZN9rocsparseL19gebsrmvn_4xn_kernelILj128ELj3ELj64E21rocsparse_complex_numIfEEEvi20rocsparse_direction_NS_24const_host_device_scalarIT2_EEPKiS8_PKS5_SA_S6_PS5_21rocsparse_index_base_b,comdat
.Lfunc_end88:
	.size	_ZN9rocsparseL19gebsrmvn_4xn_kernelILj128ELj3ELj64E21rocsparse_complex_numIfEEEvi20rocsparse_direction_NS_24const_host_device_scalarIT2_EEPKiS8_PKS5_SA_S6_PS5_21rocsparse_index_base_b, .Lfunc_end88-_ZN9rocsparseL19gebsrmvn_4xn_kernelILj128ELj3ELj64E21rocsparse_complex_numIfEEEvi20rocsparse_direction_NS_24const_host_device_scalarIT2_EEPKiS8_PKS5_SA_S6_PS5_21rocsparse_index_base_b
                                        ; -- End function
	.section	.AMDGPU.csdata,"",@progbits
; Kernel info:
; codeLenInByte = 3340
; NumSgprs: 18
; NumVgprs: 51
; ScratchSize: 0
; MemoryBound: 0
; FloatMode: 240
; IeeeMode: 1
; LDSByteSize: 0 bytes/workgroup (compile time only)
; SGPRBlocks: 2
; VGPRBlocks: 6
; NumSGPRsForWavesPerEU: 18
; NumVGPRsForWavesPerEU: 51
; Occupancy: 16
; WaveLimiterHint : 1
; COMPUTE_PGM_RSRC2:SCRATCH_EN: 0
; COMPUTE_PGM_RSRC2:USER_SGPR: 15
; COMPUTE_PGM_RSRC2:TRAP_HANDLER: 0
; COMPUTE_PGM_RSRC2:TGID_X_EN: 1
; COMPUTE_PGM_RSRC2:TGID_Y_EN: 0
; COMPUTE_PGM_RSRC2:TGID_Z_EN: 0
; COMPUTE_PGM_RSRC2:TIDIG_COMP_CNT: 0
	.section	.text._ZN9rocsparseL19gebsrmvn_4xn_kernelILj128ELj5ELj4E21rocsparse_complex_numIfEEEvi20rocsparse_direction_NS_24const_host_device_scalarIT2_EEPKiS8_PKS5_SA_S6_PS5_21rocsparse_index_base_b,"axG",@progbits,_ZN9rocsparseL19gebsrmvn_4xn_kernelILj128ELj5ELj4E21rocsparse_complex_numIfEEEvi20rocsparse_direction_NS_24const_host_device_scalarIT2_EEPKiS8_PKS5_SA_S6_PS5_21rocsparse_index_base_b,comdat
	.globl	_ZN9rocsparseL19gebsrmvn_4xn_kernelILj128ELj5ELj4E21rocsparse_complex_numIfEEEvi20rocsparse_direction_NS_24const_host_device_scalarIT2_EEPKiS8_PKS5_SA_S6_PS5_21rocsparse_index_base_b ; -- Begin function _ZN9rocsparseL19gebsrmvn_4xn_kernelILj128ELj5ELj4E21rocsparse_complex_numIfEEEvi20rocsparse_direction_NS_24const_host_device_scalarIT2_EEPKiS8_PKS5_SA_S6_PS5_21rocsparse_index_base_b
	.p2align	8
	.type	_ZN9rocsparseL19gebsrmvn_4xn_kernelILj128ELj5ELj4E21rocsparse_complex_numIfEEEvi20rocsparse_direction_NS_24const_host_device_scalarIT2_EEPKiS8_PKS5_SA_S6_PS5_21rocsparse_index_base_b,@function
_ZN9rocsparseL19gebsrmvn_4xn_kernelILj128ELj5ELj4E21rocsparse_complex_numIfEEEvi20rocsparse_direction_NS_24const_host_device_scalarIT2_EEPKiS8_PKS5_SA_S6_PS5_21rocsparse_index_base_b: ; @_ZN9rocsparseL19gebsrmvn_4xn_kernelILj128ELj5ELj4E21rocsparse_complex_numIfEEEvi20rocsparse_direction_NS_24const_host_device_scalarIT2_EEPKiS8_PKS5_SA_S6_PS5_21rocsparse_index_base_b
; %bb.0:
	s_clause 0x2
	s_load_b64 s[12:13], s[0:1], 0x40
	s_load_b64 s[4:5], s[0:1], 0x8
	s_load_b64 s[2:3], s[0:1], 0x30
	s_waitcnt lgkmcnt(0)
	s_bitcmp1_b32 s13, 0
	v_mov_b32_e32 v9, s4
	s_cselect_b32 s6, -1, 0
	s_delay_alu instid0(SALU_CYCLE_1)
	s_and_b32 vcc_lo, exec_lo, s6
	s_xor_b32 s6, s6, -1
	s_cbranch_vccz .LBB89_15
; %bb.1:
	v_cndmask_b32_e64 v1, 0, 1, s6
	v_mov_b32_e32 v10, s5
	s_and_not1_b32 vcc_lo, exec_lo, s6
	s_cbranch_vccz .LBB89_16
.LBB89_2:
	s_delay_alu instid0(VALU_DEP_2)
	v_cmp_ne_u32_e32 vcc_lo, 1, v1
	v_mov_b32_e32 v11, s2
	s_cbranch_vccz .LBB89_17
.LBB89_3:
	v_cmp_ne_u32_e32 vcc_lo, 1, v1
	v_mov_b32_e32 v12, s3
	s_cbranch_vccnz .LBB89_5
.LBB89_4:
	v_dual_mov_b32 v1, s2 :: v_dual_mov_b32 v2, s3
	flat_load_b32 v12, v[1:2] offset:4
.LBB89_5:
	s_waitcnt vmcnt(0) lgkmcnt(0)
	v_cmp_eq_f32_e32 vcc_lo, 0, v9
	v_cmp_eq_f32_e64 s2, 0, v10
	s_delay_alu instid0(VALU_DEP_1)
	s_and_b32 s4, vcc_lo, s2
	s_mov_b32 s2, -1
	s_and_saveexec_b32 s3, s4
; %bb.6:
	v_cmp_neq_f32_e32 vcc_lo, 1.0, v11
	v_cmp_neq_f32_e64 s2, 0, v12
	s_delay_alu instid0(VALU_DEP_1) | instskip(NEXT) | instid1(SALU_CYCLE_1)
	s_or_b32 s2, vcc_lo, s2
	s_or_not1_b32 s2, s2, exec_lo
; %bb.7:
	s_or_b32 exec_lo, exec_lo, s3
	s_and_saveexec_b32 s3, s2
	s_cbranch_execz .LBB89_29
; %bb.8:
	s_load_b64 s[2:3], s[0:1], 0x0
	v_lshrrev_b32_e32 v1, 2, v0
	s_delay_alu instid0(VALU_DEP_1) | instskip(SKIP_1) | instid1(VALU_DEP_1)
	v_lshl_or_b32 v1, s15, 5, v1
	s_waitcnt lgkmcnt(0)
	v_cmp_gt_i32_e32 vcc_lo, s2, v1
	s_and_b32 exec_lo, exec_lo, vcc_lo
	s_cbranch_execz .LBB89_29
; %bb.9:
	s_load_b256 s[4:11], s[0:1], 0x10
	v_ashrrev_i32_e32 v2, 31, v1
	v_and_b32_e32 v0, 3, v0
	s_cmp_lg_u32 s3, 0
	s_delay_alu instid0(VALU_DEP_2) | instskip(SKIP_1) | instid1(VALU_DEP_1)
	v_lshlrev_b64 v[2:3], 2, v[1:2]
	s_waitcnt lgkmcnt(0)
	v_add_co_u32 v2, vcc_lo, s4, v2
	s_delay_alu instid0(VALU_DEP_2) | instskip(SKIP_4) | instid1(VALU_DEP_2)
	v_add_co_ci_u32_e32 v3, vcc_lo, s5, v3, vcc_lo
	global_load_b64 v[2:3], v[2:3], off
	s_waitcnt vmcnt(0)
	v_subrev_nc_u32_e32 v2, s12, v2
	v_subrev_nc_u32_e32 v17, s12, v3
	v_add_nc_u32_e32 v2, v2, v0
	s_delay_alu instid0(VALU_DEP_1)
	v_cmp_lt_i32_e64 s2, v2, v17
	s_cbranch_scc0 .LBB89_18
; %bb.10:
	v_dual_mov_b32 v13, 0 :: v_dual_mov_b32 v18, 0
	v_dual_mov_b32 v19, 0 :: v_dual_mov_b32 v14, 0
	;; [unrolled: 1-line block ×4, first 2 shown]
	s_mov_b32 s3, 0
	s_and_saveexec_b32 s4, s2
	s_cbranch_execz .LBB89_14
; %bb.11:
	v_mad_u64_u32 v[3:4], null, v2, 20, 16
	v_dual_mov_b32 v6, 0 :: v_dual_mov_b32 v7, v2
	v_dual_mov_b32 v13, 0 :: v_dual_mov_b32 v18, 0
	;; [unrolled: 1-line block ×5, first 2 shown]
	s_mov_b32 s5, 0
.LBB89_12:                              ; =>This Inner Loop Header: Depth=1
	v_ashrrev_i32_e32 v8, 31, v7
	s_delay_alu instid0(VALU_DEP_1) | instskip(NEXT) | instid1(VALU_DEP_1)
	v_lshlrev_b64 v[4:5], 2, v[7:8]
	v_add_co_u32 v4, vcc_lo, s6, v4
	s_delay_alu instid0(VALU_DEP_2) | instskip(SKIP_2) | instid1(VALU_DEP_1)
	v_add_co_ci_u32_e32 v5, vcc_lo, s7, v5, vcc_lo
	global_load_b32 v8, v[4:5], off
	v_dual_mov_b32 v4, v6 :: v_dual_add_nc_u32 v5, -16, v3
	v_lshlrev_b64 v[22:23], 3, v[5:6]
	v_add_nc_u32_e32 v5, -12, v3
	s_delay_alu instid0(VALU_DEP_3) | instskip(NEXT) | instid1(VALU_DEP_2)
	v_lshlrev_b64 v[24:25], 3, v[3:4]
	v_lshlrev_b64 v[4:5], 3, v[5:6]
	s_delay_alu instid0(VALU_DEP_4) | instskip(SKIP_1) | instid1(VALU_DEP_4)
	v_add_co_u32 v26, vcc_lo, s8, v22
	v_add_co_ci_u32_e32 v27, vcc_lo, s9, v23, vcc_lo
	v_add_co_u32 v34, vcc_lo, s8, v24
	v_add_co_ci_u32_e32 v35, vcc_lo, s9, v25, vcc_lo
	;; [unrolled: 2-line block ×3, first 2 shown]
	s_clause 0x5
	global_load_b128 v[22:25], v[26:27], off offset:16
	global_load_b128 v[26:29], v[26:27], off
	global_load_b128 v[30:33], v[34:35], off offset:16
	global_load_b128 v[34:37], v[34:35], off
	;; [unrolled: 2-line block ×3, first 2 shown]
	v_mov_b32_e32 v55, v6
	s_waitcnt vmcnt(6)
	v_subrev_nc_u32_e32 v4, s12, v8
	s_delay_alu instid0(VALU_DEP_1) | instskip(NEXT) | instid1(VALU_DEP_1)
	v_lshl_add_u32 v54, v4, 2, v4
	v_lshlrev_b64 v[46:47], 3, v[54:55]
	s_delay_alu instid0(VALU_DEP_1) | instskip(NEXT) | instid1(VALU_DEP_2)
	v_add_co_u32 v46, vcc_lo, s10, v46
	v_add_co_ci_u32_e32 v47, vcc_lo, s11, v47, vcc_lo
	global_load_b64 v[62:63], v[46:47], off
	s_waitcnt vmcnt(0)
	v_dual_fmac_f32 v14, v25, v62 :: v_dual_add_nc_u32 v7, 4, v7
	v_fmac_f32_e32 v16, v29, v62
	v_add_nc_u32_e32 v5, 1, v54
	v_fmac_f32_e32 v18, v26, v62
	v_fmac_f32_e32 v20, v22, v62
	v_fmac_f32_e32 v14, v24, v63
	v_fmac_f32_e32 v16, v28, v63
	v_lshlrev_b64 v[48:49], 3, v[5:6]
	v_add_nc_u32_e32 v5, -8, v3
	v_fma_f32 v8, -v27, v63, v18
	v_fma_f32 v20, -v23, v63, v20
	s_delay_alu instid0(VALU_DEP_3) | instskip(SKIP_3) | instid1(VALU_DEP_3)
	v_lshlrev_b64 v[50:51], 3, v[5:6]
	v_add_nc_u32_e32 v5, 2, v54
	v_add_co_u32 v46, vcc_lo, s10, v48
	v_add_co_ci_u32_e32 v47, vcc_lo, s11, v49, vcc_lo
	v_lshlrev_b64 v[48:49], 3, v[5:6]
	v_add_co_u32 v50, vcc_lo, s8, v50
	global_load_b64 v[64:65], v[46:47], off
	v_add_co_ci_u32_e32 v51, vcc_lo, s9, v51, vcc_lo
	v_add_co_u32 v57, vcc_lo, s10, v48
	v_add_co_ci_u32_e32 v58, vcc_lo, s11, v49, vcc_lo
	s_clause 0x1
	global_load_b128 v[46:49], v[50:51], off offset:16
	global_load_b128 v[50:53], v[50:51], off
	v_add_nc_u32_e32 v5, -4, v3
	v_fmac_f32_e32 v13, v27, v62
	global_load_b64 v[66:67], v[57:58], off
	s_waitcnt vmcnt(3)
	v_dual_fmac_f32 v20, v38, v64 :: v_dual_add_nc_u32 v3, 0x50, v3
	v_fmac_f32_e32 v8, v42, v64
	v_dual_fmac_f32 v14, v41, v64 :: v_dual_fmac_f32 v13, v26, v63
	v_lshlrev_b64 v[55:56], 3, v[5:6]
	s_delay_alu instid0(VALU_DEP_4) | instskip(NEXT) | instid1(VALU_DEP_4)
	v_fma_f32 v20, -v39, v65, v20
	v_fma_f32 v8, -v43, v65, v8
	s_delay_alu instid0(VALU_DEP_4)
	v_dual_fmac_f32 v14, v40, v65 :: v_dual_fmac_f32 v13, v43, v64
	v_fmac_f32_e32 v16, v45, v64
	v_add_co_u32 v68, vcc_lo, s8, v55
	s_waitcnt vmcnt(0)
	v_fmac_f32_e32 v8, v50, v66
	v_add_co_ci_u32_e32 v69, vcc_lo, s9, v56, vcc_lo
	v_dual_fmac_f32 v15, v23, v62 :: v_dual_fmac_f32 v16, v44, v65
	s_delay_alu instid0(VALU_DEP_3) | instskip(SKIP_2) | instid1(VALU_DEP_4)
	v_fma_f32 v8, -v51, v67, v8
	v_fmac_f32_e32 v21, v28, v62
	v_dual_fmac_f32 v13, v42, v65 :: v_dual_fmac_f32 v14, v49, v66
	v_fmac_f32_e32 v16, v53, v66
	v_fmac_f32_e32 v20, v46, v66
	s_delay_alu instid0(VALU_DEP_4) | instskip(SKIP_3) | instid1(VALU_DEP_4)
	v_fma_f32 v18, -v29, v63, v21
	v_add_nc_u32_e32 v5, 3, v54
	v_dual_fmac_f32 v13, v51, v66 :: v_dual_fmac_f32 v14, v48, v67
	v_fmac_f32_e32 v16, v52, v67
	v_fmac_f32_e32 v18, v44, v64
	s_delay_alu instid0(VALU_DEP_4) | instskip(SKIP_2) | instid1(VALU_DEP_4)
	v_lshlrev_b64 v[59:60], 3, v[5:6]
	v_add_nc_u32_e32 v5, 4, v54
	v_fma_f32 v20, -v47, v67, v20
	v_fma_f32 v18, -v45, v65, v18
	v_fmac_f32_e32 v15, v22, v63
	v_add_co_u32 v70, vcc_lo, s10, v59
	v_add_co_ci_u32_e32 v71, vcc_lo, s11, v60, vcc_lo
	s_delay_alu instid0(VALU_DEP_4)
	v_fmac_f32_e32 v18, v52, v66
	s_clause 0x1
	global_load_b128 v[54:57], v[68:69], off offset:16
	global_load_b128 v[58:61], v[68:69], off
	global_load_b64 v[68:69], v[70:71], off
	v_lshlrev_b64 v[4:5], 3, v[5:6]
	v_fmac_f32_e32 v15, v39, v64
	v_fmac_f32_e32 v19, v24, v62
	;; [unrolled: 1-line block ×3, first 2 shown]
	v_fma_f32 v18, -v53, v67, v18
	v_add_co_u32 v4, vcc_lo, s10, v4
	v_add_co_ci_u32_e32 v5, vcc_lo, s11, v5, vcc_lo
	v_fmac_f32_e32 v15, v38, v65
	v_cmp_ge_i32_e32 vcc_lo, v7, v17
	global_load_b64 v[4:5], v[4:5], off
	v_fmac_f32_e32 v15, v47, v66
	s_or_b32 s5, vcc_lo, s5
	s_waitcnt vmcnt(1)
	v_fmac_f32_e32 v18, v60, v68
	v_fmac_f32_e32 v16, v61, v68
	v_fma_f32 v19, -v25, v63, v19
	v_dual_fmac_f32 v15, v46, v67 :: v_dual_fmac_f32 v14, v57, v68
	s_delay_alu instid0(VALU_DEP_3) | instskip(NEXT) | instid1(VALU_DEP_3)
	v_dual_fmac_f32 v13, v59, v68 :: v_dual_fmac_f32 v16, v60, v69
	v_fmac_f32_e32 v19, v40, v64
	v_fmac_f32_e32 v20, v54, v68
	;; [unrolled: 1-line block ×5, first 2 shown]
	v_fma_f32 v19, -v41, v65, v19
	v_fma_f32 v21, -v61, v69, v18
	s_waitcnt vmcnt(0)
	v_fmac_f32_e32 v16, v37, v4
	v_fmac_f32_e32 v15, v55, v68
	v_fma_f32 v8, -v59, v69, v8
	v_fmac_f32_e32 v19, v48, v66
	v_fma_f32 v20, -v55, v69, v20
	v_fmac_f32_e32 v16, v36, v5
	v_dual_fmac_f32 v15, v54, v69 :: v_dual_fmac_f32 v14, v33, v4
	s_delay_alu instid0(VALU_DEP_4)
	v_fma_f32 v19, -v49, v67, v19
	v_fmac_f32_e32 v8, v34, v4
	v_fmac_f32_e32 v13, v35, v4
	;; [unrolled: 1-line block ×7, first 2 shown]
	v_fma_f32 v18, -v35, v5, v8
	v_fmac_f32_e32 v13, v34, v5
	v_fma_f32 v19, -v57, v69, v19
	v_fma_f32 v21, -v37, v5, v21
	;; [unrolled: 1-line block ×3, first 2 shown]
	v_fmac_f32_e32 v15, v30, v5
	s_delay_alu instid0(VALU_DEP_4) | instskip(NEXT) | instid1(VALU_DEP_1)
	v_fmac_f32_e32 v19, v32, v4
	v_fma_f32 v19, -v33, v5, v19
	s_and_not1_b32 exec_lo, exec_lo, s5
	s_cbranch_execnz .LBB89_12
; %bb.13:
	s_or_b32 exec_lo, exec_lo, s5
.LBB89_14:
	s_delay_alu instid0(SALU_CYCLE_1) | instskip(NEXT) | instid1(SALU_CYCLE_1)
	s_or_b32 exec_lo, exec_lo, s4
	s_and_not1_b32 vcc_lo, exec_lo, s3
	s_cbranch_vccz .LBB89_19
	s_branch .LBB89_24
.LBB89_15:
	v_dual_mov_b32 v1, s4 :: v_dual_mov_b32 v2, s5
	flat_load_b32 v9, v[1:2]
	v_cndmask_b32_e64 v1, 0, 1, s6
	v_mov_b32_e32 v10, s5
	s_and_not1_b32 vcc_lo, exec_lo, s6
	s_cbranch_vccnz .LBB89_2
.LBB89_16:
	v_dual_mov_b32 v2, s4 :: v_dual_mov_b32 v3, s5
	flat_load_b32 v10, v[2:3] offset:4
	v_cmp_ne_u32_e32 vcc_lo, 1, v1
	v_mov_b32_e32 v11, s2
	s_cbranch_vccnz .LBB89_3
.LBB89_17:
	v_dual_mov_b32 v2, s2 :: v_dual_mov_b32 v3, s3
	flat_load_b32 v11, v[2:3]
	v_cmp_ne_u32_e32 vcc_lo, 1, v1
	v_mov_b32_e32 v12, s3
	s_cbranch_vccz .LBB89_4
	s_branch .LBB89_5
.LBB89_18:
                                        ; implicit-def: $vgpr13
                                        ; implicit-def: $vgpr18
                                        ; implicit-def: $vgpr19
                                        ; implicit-def: $vgpr14
                                        ; implicit-def: $vgpr20
                                        ; implicit-def: $vgpr15
                                        ; implicit-def: $vgpr21
                                        ; implicit-def: $vgpr16
.LBB89_19:
	v_dual_mov_b32 v13, 0 :: v_dual_mov_b32 v18, 0
	v_dual_mov_b32 v19, 0 :: v_dual_mov_b32 v14, 0
	;; [unrolled: 1-line block ×4, first 2 shown]
	s_and_saveexec_b32 s3, s2
	s_cbranch_execz .LBB89_23
; %bb.20:
	v_mad_u64_u32 v[4:5], null, v2, 20, 19
	v_dual_mov_b32 v7, 0 :: v_dual_mov_b32 v18, 0
	v_dual_mov_b32 v13, 0 :: v_dual_mov_b32 v14, 0
	;; [unrolled: 1-line block ×4, first 2 shown]
	v_mov_b32_e32 v21, 0
	s_mov_b32 s2, 0
.LBB89_21:                              ; =>This Inner Loop Header: Depth=1
	v_ashrrev_i32_e32 v3, 31, v2
	v_dual_mov_b32 v31, v7 :: v_dual_add_nc_u32 v22, -14, v4
	v_dual_mov_b32 v23, v7 :: v_dual_add_nc_u32 v24, -9, v4
	s_delay_alu instid0(VALU_DEP_3) | instskip(SKIP_1) | instid1(VALU_DEP_3)
	v_lshlrev_b64 v[5:6], 2, v[2:3]
	v_dual_mov_b32 v25, v7 :: v_dual_add_nc_u32 v26, -4, v4
	v_lshlrev_b64 v[22:23], 3, v[22:23]
	s_delay_alu instid0(VALU_DEP_3) | instskip(NEXT) | instid1(VALU_DEP_4)
	v_add_co_u32 v5, vcc_lo, s6, v5
	v_add_co_ci_u32_e32 v6, vcc_lo, s7, v6, vcc_lo
	s_delay_alu instid0(VALU_DEP_4) | instskip(SKIP_3) | instid1(VALU_DEP_2)
	v_lshlrev_b64 v[24:25], 3, v[24:25]
	global_load_b32 v3, v[5:6], off
	v_subrev_nc_u32_e32 v6, 19, v4
	v_mov_b32_e32 v5, v7
	v_lshlrev_b64 v[28:29], 3, v[6:7]
	s_delay_alu instid0(VALU_DEP_2) | instskip(NEXT) | instid1(VALU_DEP_2)
	v_lshlrev_b64 v[5:6], 3, v[4:5]
	v_add_co_u32 v28, vcc_lo, s8, v28
	s_delay_alu instid0(VALU_DEP_3)
	v_add_co_ci_u32_e32 v29, vcc_lo, s9, v29, vcc_lo
	v_add_co_u32 v32, vcc_lo, s8, v22
	v_add_co_ci_u32_e32 v33, vcc_lo, s9, v23, vcc_lo
	v_add_co_u32 v34, vcc_lo, s8, v24
	v_add_co_ci_u32_e32 v35, vcc_lo, s9, v25, vcc_lo
	s_waitcnt vmcnt(0)
	v_subrev_nc_u32_e32 v3, s12, v3
	s_delay_alu instid0(VALU_DEP_1) | instskip(SKIP_1) | instid1(VALU_DEP_2)
	v_lshl_add_u32 v30, v3, 2, v3
	v_mov_b32_e32 v27, v7
	v_lshlrev_b64 v[40:41], 3, v[30:31]
	s_delay_alu instid0(VALU_DEP_2) | instskip(NEXT) | instid1(VALU_DEP_1)
	v_lshlrev_b64 v[26:27], 3, v[26:27]
	v_add_co_u32 v36, vcc_lo, s8, v26
	s_delay_alu instid0(VALU_DEP_2)
	v_add_co_ci_u32_e32 v37, vcc_lo, s9, v27, vcc_lo
	v_add_co_u32 v38, vcc_lo, s8, v5
	v_add_co_ci_u32_e32 v39, vcc_lo, s9, v6, vcc_lo
	v_add_nc_u32_e32 v6, 1, v30
	v_add_co_u32 v40, vcc_lo, s10, v40
	v_add_co_ci_u32_e32 v41, vcc_lo, s11, v41, vcc_lo
	s_clause 0x4
	global_load_b128 v[22:25], v[28:29], off offset:16
	global_load_b128 v[26:29], v[28:29], off
	global_load_b64 v[32:33], v[32:33], off
	global_load_b64 v[34:35], v[34:35], off
	;; [unrolled: 1-line block ×3, first 2 shown]
	v_lshlrev_b64 v[42:43], 3, v[6:7]
	v_add_nc_u32_e32 v6, -13, v4
	global_load_b64 v[40:41], v[40:41], off
	v_add_co_u32 v42, vcc_lo, s10, v42
	v_add_co_ci_u32_e32 v43, vcc_lo, s11, v43, vcc_lo
	v_lshlrev_b64 v[44:45], 3, v[6:7]
	global_load_b64 v[42:43], v[42:43], off
	v_add_nc_u32_e32 v2, 4, v2
	v_add_co_u32 v44, vcc_lo, s8, v44
	v_add_co_ci_u32_e32 v45, vcc_lo, s9, v45, vcc_lo
	global_load_b64 v[44:45], v[44:45], off
	s_waitcnt vmcnt(2)
	v_fmac_f32_e32 v13, v27, v40
	v_add_nc_u32_e32 v6, -8, v4
	v_fmac_f32_e32 v15, v35, v40
	v_fmac_f32_e32 v21, v32, v40
	;; [unrolled: 1-line block ×4, first 2 shown]
	v_lshlrev_b64 v[46:47], 3, v[6:7]
	v_dual_fmac_f32 v15, v34, v41 :: v_dual_add_nc_u32 v6, -3, v4
	v_fma_f32 v8, -v33, v41, v21
	v_fma_f32 v19, -v37, v41, v19
	s_waitcnt vmcnt(1)
	v_fmac_f32_e32 v13, v29, v42
	v_lshlrev_b64 v[48:49], 3, v[6:7]
	v_add_nc_u32_e32 v6, 2, v30
	v_add_co_u32 v46, vcc_lo, s8, v46
	v_add_co_ci_u32_e32 v47, vcc_lo, s9, v47, vcc_lo
	s_delay_alu instid0(VALU_DEP_3)
	v_lshlrev_b64 v[50:51], 3, v[6:7]
	v_add_co_u32 v48, vcc_lo, s8, v48
	v_add_co_ci_u32_e32 v49, vcc_lo, s9, v49, vcc_lo
	global_load_b64 v[46:47], v[46:47], off
	v_add_co_u32 v50, vcc_lo, s10, v50
	global_load_b64 v[48:49], v[48:49], off
	v_add_co_ci_u32_e32 v51, vcc_lo, s11, v51, vcc_lo
	v_fmac_f32_e32 v13, v28, v43
	global_load_b64 v[50:51], v[50:51], off
	v_fmac_f32_e32 v18, v26, v40
	s_delay_alu instid0(VALU_DEP_1) | instskip(NEXT) | instid1(VALU_DEP_1)
	v_fma_f32 v3, -v27, v41, v18
	v_dual_fmac_f32 v3, v28, v42 :: v_dual_add_nc_u32 v6, -12, v4
	s_delay_alu instid0(VALU_DEP_1) | instskip(SKIP_1) | instid1(VALU_DEP_3)
	v_lshlrev_b64 v[52:53], 3, v[6:7]
	v_add_nc_u32_e32 v6, -7, v4
	v_fma_f32 v3, -v29, v43, v3
	s_delay_alu instid0(VALU_DEP_2) | instskip(SKIP_3) | instid1(VALU_DEP_3)
	v_lshlrev_b64 v[54:55], 3, v[6:7]
	v_add_nc_u32_e32 v6, -2, v4
	v_add_co_u32 v52, vcc_lo, s8, v52
	v_add_co_ci_u32_e32 v53, vcc_lo, s9, v53, vcc_lo
	v_lshlrev_b64 v[56:57], 3, v[6:7]
	v_add_co_u32 v54, vcc_lo, s8, v54
	v_add_co_ci_u32_e32 v55, vcc_lo, s9, v55, vcc_lo
	global_load_b64 v[52:53], v[52:53], off
	v_add_co_u32 v56, vcc_lo, s8, v56
	global_load_b64 v[54:55], v[54:55], off
	v_add_co_ci_u32_e32 v57, vcc_lo, s9, v57, vcc_lo
	v_add_nc_u32_e32 v6, 3, v30
	global_load_b64 v[56:57], v[56:57], off
	v_lshlrev_b64 v[58:59], 3, v[6:7]
	v_add_nc_u32_e32 v6, -11, v4
	s_delay_alu instid0(VALU_DEP_2) | instskip(NEXT) | instid1(VALU_DEP_3)
	v_add_co_u32 v58, vcc_lo, s10, v58
	v_add_co_ci_u32_e32 v59, vcc_lo, s11, v59, vcc_lo
	global_load_b64 v[58:59], v[58:59], off
	s_waitcnt vmcnt(6)
	v_fmac_f32_e32 v15, v47, v42
	v_lshlrev_b64 v[60:61], 3, v[6:7]
	s_waitcnt vmcnt(5)
	v_dual_fmac_f32 v19, v48, v42 :: v_dual_add_nc_u32 v6, -6, v4
	s_delay_alu instid0(VALU_DEP_3) | instskip(NEXT) | instid1(VALU_DEP_2)
	v_fmac_f32_e32 v15, v46, v43
	v_lshlrev_b64 v[62:63], 3, v[6:7]
	v_add_nc_u32_e32 v6, -1, v4
	v_add_co_u32 v60, vcc_lo, s8, v60
	v_add_co_ci_u32_e32 v61, vcc_lo, s9, v61, vcc_lo
	s_delay_alu instid0(VALU_DEP_3) | instskip(SKIP_4) | instid1(VALU_DEP_3)
	v_lshlrev_b64 v[64:65], 3, v[6:7]
	s_waitcnt vmcnt(4)
	v_dual_fmac_f32 v3, v22, v50 :: v_dual_add_nc_u32 v6, -15, v4
	v_add_co_u32 v62, vcc_lo, s8, v62
	v_fmac_f32_e32 v13, v23, v50
	v_lshlrev_b64 v[66:67], 3, v[6:7]
	v_add_nc_u32_e32 v6, 4, v30
	v_add_co_ci_u32_e32 v63, vcc_lo, s9, v63, vcc_lo
	s_delay_alu instid0(VALU_DEP_4)
	v_fmac_f32_e32 v13, v22, v51
	v_add_co_u32 v30, vcc_lo, s8, v64
	v_add_co_ci_u32_e32 v31, vcc_lo, s9, v65, vcc_lo
	v_lshlrev_b64 v[64:65], 3, v[6:7]
	v_add_nc_u32_e32 v6, -10, v4
	v_add_co_u32 v66, vcc_lo, s8, v66
	v_add_co_ci_u32_e32 v67, vcc_lo, s9, v67, vcc_lo
	s_delay_alu instid0(VALU_DEP_4)
	v_add_co_u32 v64, vcc_lo, s10, v64
	v_fma_f32 v19, -v49, v43, v19
	v_add_co_ci_u32_e32 v65, vcc_lo, s11, v65, vcc_lo
	s_clause 0x1
	global_load_b64 v[60:61], v[60:61], off
	global_load_b64 v[62:63], v[62:63], off
	s_waitcnt vmcnt(4)
	v_fmac_f32_e32 v15, v55, v50
	v_lshlrev_b64 v[68:69], 3, v[6:7]
	v_add_nc_u32_e32 v6, -5, v4
	global_load_b64 v[66:67], v[66:67], off
	global_load_b64 v[64:65], v[64:65], off
	;; [unrolled: 1-line block ×3, first 2 shown]
	s_waitcnt vmcnt(6)
	v_fmac_f32_e32 v19, v56, v50
	v_lshlrev_b64 v[5:6], 3, v[6:7]
	v_add_co_u32 v68, vcc_lo, s8, v68
	v_add_co_ci_u32_e32 v69, vcc_lo, s9, v69, vcc_lo
	v_fmac_f32_e32 v20, v34, v40
	s_delay_alu instid0(VALU_DEP_4)
	v_add_co_u32 v5, vcc_lo, s8, v5
	v_add_co_ci_u32_e32 v6, vcc_lo, s9, v6, vcc_lo
	s_clause 0x2
	global_load_b64 v[68:69], v[68:69], off
	global_load_b64 v[5:6], v[5:6], off
	;; [unrolled: 1-line block ×3, first 2 shown]
	v_fma_f32 v3, -v23, v51, v3
	s_waitcnt vmcnt(8)
	v_fmac_f32_e32 v13, v25, v58
	v_fmac_f32_e32 v16, v33, v40
	;; [unrolled: 1-line block ×3, first 2 shown]
	v_dual_fmac_f32 v15, v54, v51 :: v_dual_add_nc_u32 v4, 0x50, v4
	v_fma_f32 v18, -v35, v41, v20
	v_fmac_f32_e32 v3, v24, v58
	v_fmac_f32_e32 v16, v32, v41
	v_fmac_f32_e32 v13, v24, v59
	v_fmac_f32_e32 v14, v36, v41
	v_fmac_f32_e32 v18, v46, v42
	v_fma_f32 v19, -v57, v51, v19
	v_fma_f32 v3, -v25, v59, v3
	v_fmac_f32_e32 v16, v45, v42
	v_cmp_ge_i32_e32 vcc_lo, v2, v17
	s_or_b32 s2, vcc_lo, s2
	s_waitcnt vmcnt(6)
	v_fmac_f32_e32 v15, v63, v58
	s_delay_alu instid0(VALU_DEP_1) | instskip(SKIP_2) | instid1(VALU_DEP_2)
	v_dual_fmac_f32 v8, v44, v42 :: v_dual_fmac_f32 v15, v62, v59
	s_waitcnt vmcnt(4)
	v_dual_fmac_f32 v13, v67, v64 :: v_dual_fmac_f32 v14, v49, v42
	v_fma_f32 v8, -v45, v43, v8
	v_fma_f32 v18, -v47, v43, v18
	s_waitcnt vmcnt(3)
	v_fmac_f32_e32 v19, v30, v58
	v_dual_fmac_f32 v13, v66, v65 :: v_dual_fmac_f32 v14, v48, v43
	v_dual_fmac_f32 v3, v66, v64 :: v_dual_fmac_f32 v16, v44, v43
	v_fmac_f32_e32 v18, v54, v50
	s_delay_alu instid0(VALU_DEP_4)
	v_fma_f32 v19, -v31, v59, v19
	v_fmac_f32_e32 v8, v52, v50
	s_waitcnt vmcnt(1)
	v_dual_fmac_f32 v16, v53, v50 :: v_dual_fmac_f32 v15, v6, v64
	s_waitcnt vmcnt(0)
	v_dual_fmac_f32 v19, v38, v64 :: v_dual_fmac_f32 v14, v57, v50
	v_fma_f32 v8, -v53, v51, v8
	s_delay_alu instid0(VALU_DEP_3) | instskip(SKIP_1) | instid1(VALU_DEP_4)
	v_dual_fmac_f32 v16, v52, v51 :: v_dual_fmac_f32 v15, v5, v65
	v_fma_f32 v18, -v55, v51, v18
	v_fmac_f32_e32 v14, v56, v51
	s_delay_alu instid0(VALU_DEP_4) | instskip(NEXT) | instid1(VALU_DEP_4)
	v_fmac_f32_e32 v8, v60, v58
	v_fmac_f32_e32 v16, v61, v58
	v_fma_f32 v19, -v39, v65, v19
	v_fmac_f32_e32 v18, v62, v58
	v_fmac_f32_e32 v14, v31, v58
	v_fma_f32 v8, -v61, v59, v8
	v_fmac_f32_e32 v16, v60, v59
	s_delay_alu instid0(VALU_DEP_4) | instskip(NEXT) | instid1(VALU_DEP_4)
	v_fma_f32 v20, -v63, v59, v18
	v_fmac_f32_e32 v14, v30, v59
	s_delay_alu instid0(VALU_DEP_4) | instskip(NEXT) | instid1(VALU_DEP_4)
	v_fmac_f32_e32 v8, v68, v64
	v_fmac_f32_e32 v16, v69, v64
	v_fma_f32 v18, -v67, v65, v3
	v_fmac_f32_e32 v20, v5, v64
	v_fmac_f32_e32 v14, v39, v64
	v_fma_f32 v21, -v69, v65, v8
	v_fmac_f32_e32 v16, v68, v65
	s_delay_alu instid0(VALU_DEP_4) | instskip(NEXT) | instid1(VALU_DEP_4)
	v_fma_f32 v20, -v6, v65, v20
	v_fmac_f32_e32 v14, v38, v65
	s_and_not1_b32 exec_lo, exec_lo, s2
	s_cbranch_execnz .LBB89_21
; %bb.22:
	s_or_b32 exec_lo, exec_lo, s2
.LBB89_23:
	s_delay_alu instid0(SALU_CYCLE_1)
	s_or_b32 exec_lo, exec_lo, s3
.LBB89_24:
	v_mbcnt_lo_u32_b32 v2, -1, 0
	s_delay_alu instid0(VALU_DEP_1) | instskip(NEXT) | instid1(VALU_DEP_1)
	v_xor_b32_e32 v3, 2, v2
	v_cmp_gt_i32_e32 vcc_lo, 32, v3
	v_cndmask_b32_e32 v3, v2, v3, vcc_lo
	s_delay_alu instid0(VALU_DEP_1)
	v_lshlrev_b32_e32 v3, 2, v3
	ds_bpermute_b32 v4, v3, v18
	ds_bpermute_b32 v5, v3, v13
	;; [unrolled: 1-line block ×8, first 2 shown]
	v_xor_b32_e32 v3, 1, v2
	s_delay_alu instid0(VALU_DEP_1)
	v_cmp_gt_i32_e32 vcc_lo, 32, v3
	v_cndmask_b32_e32 v2, v2, v3, vcc_lo
	v_cmp_eq_u32_e32 vcc_lo, 3, v0
	s_waitcnt lgkmcnt(6)
	v_add_f32_e32 v6, v13, v5
	s_waitcnt lgkmcnt(5)
	v_add_f32_e32 v7, v21, v7
	;; [unrolled: 2-line block ×3, first 2 shown]
	s_waitcnt lgkmcnt(3)
	v_dual_add_f32 v16, v20, v17 :: v_dual_lshlrev_b32 v25, 2, v2
	s_waitcnt lgkmcnt(2)
	v_dual_add_f32 v2, v18, v4 :: v_dual_add_f32 v15, v15, v22
	s_waitcnt lgkmcnt(1)
	v_add_f32_e32 v3, v19, v23
	s_waitcnt lgkmcnt(0)
	v_add_f32_e32 v5, v14, v24
	ds_bpermute_b32 v8, v25, v6
	ds_bpermute_b32 v4, v25, v2
	;; [unrolled: 1-line block ×8, first 2 shown]
	s_and_b32 exec_lo, exec_lo, vcc_lo
	s_cbranch_execz .LBB89_29
; %bb.25:
	s_load_b64 s[2:3], s[0:1], 0x38
	v_cmp_eq_f32_e32 vcc_lo, 0, v11
	v_cmp_eq_f32_e64 s0, 0, v12
	s_waitcnt lgkmcnt(0)
	v_add_f32_e32 v4, v2, v4
	v_dual_add_f32 v8, v6, v8 :: v_dual_add_f32 v3, v3, v14
	v_dual_add_f32 v0, v7, v18 :: v_dual_add_f32 v5, v5, v17
	;; [unrolled: 1-line block ×3, first 2 shown]
	v_add_f32_e32 v6, v15, v21
	s_and_b32 s0, vcc_lo, s0
	s_delay_alu instid0(SALU_CYCLE_1) | instskip(NEXT) | instid1(SALU_CYCLE_1)
	s_and_saveexec_b32 s1, s0
	s_xor_b32 s0, exec_lo, s1
	s_cbranch_execz .LBB89_27
; %bb.26:
	v_mul_f32_e64 v11, v8, -v10
	v_mul_f32_e32 v12, v8, v9
	v_mul_f32_e64 v13, v7, -v10
	v_mul_f32_e32 v14, v7, v9
	v_mul_f32_e64 v15, v6, -v10
	v_fmac_f32_e32 v11, v9, v4
	v_dual_fmac_f32 v12, v10, v4 :: v_dual_lshlrev_b32 v17, 2, v1
	s_delay_alu instid0(VALU_DEP_3) | instskip(SKIP_1) | instid1(VALU_DEP_3)
	v_dual_mul_f32 v16, v6, v9 :: v_dual_fmac_f32 v15, v9, v2
	v_fmac_f32_e32 v13, v9, v0
	v_ashrrev_i32_e32 v18, 31, v17
                                        ; implicit-def: $vgpr1
                                        ; implicit-def: $vgpr4
                                        ; implicit-def: $vgpr8
	s_delay_alu instid0(VALU_DEP_3) | instskip(NEXT) | instid1(VALU_DEP_2)
	v_fmac_f32_e32 v16, v10, v2
                                        ; implicit-def: $vgpr2
	v_lshlrev_b64 v[6:7], 3, v[17:18]
	v_mul_f32_e64 v17, v5, -v10
	v_mul_f32_e32 v18, v5, v9
	v_fmac_f32_e32 v14, v10, v0
                                        ; implicit-def: $vgpr0
                                        ; implicit-def: $vgpr5
	s_delay_alu instid0(VALU_DEP_3)
	v_fmac_f32_e32 v17, v9, v3
	v_add_co_u32 v6, vcc_lo, s2, v6
	v_add_co_ci_u32_e32 v7, vcc_lo, s3, v7, vcc_lo
	v_fmac_f32_e32 v18, v10, v3
	s_clause 0x1
	global_store_b128 v[6:7], v[11:14], off
	global_store_b128 v[6:7], v[15:18], off offset:16
                                        ; implicit-def: $vgpr9
                                        ; implicit-def: $vgpr10
                                        ; implicit-def: $vgpr11
                                        ; implicit-def: $vgpr12
                                        ; implicit-def: $vgpr7
                                        ; implicit-def: $vgpr6
                                        ; implicit-def: $vgpr3
.LBB89_27:
	s_and_not1_saveexec_b32 s0, s0
	s_cbranch_execz .LBB89_29
; %bb.28:
	v_mul_f32_e32 v22, v8, v9
	v_lshlrev_b32_e32 v13, 2, v1
	v_mul_f32_e64 v1, v8, -v10
	v_mul_f32_e64 v23, v7, -v10
	v_mul_f32_e32 v24, v7, v9
	v_mul_f32_e64 v7, v6, -v10
	s_delay_alu instid0(VALU_DEP_4) | instskip(SKIP_2) | instid1(VALU_DEP_4)
	v_dual_mul_f32 v6, v6, v9 :: v_dual_fmac_f32 v1, v9, v4
	v_fmac_f32_e32 v22, v10, v4
	v_ashrrev_i32_e32 v14, 31, v13
	v_fmac_f32_e32 v7, v9, v2
	v_mul_f32_e64 v27, v5, -v10
	v_fmac_f32_e32 v23, v9, v0
	v_fmac_f32_e32 v24, v10, v0
	v_lshlrev_b64 v[13:14], 3, v[13:14]
	s_delay_alu instid0(VALU_DEP_4) | instskip(NEXT) | instid1(VALU_DEP_2)
	v_fmac_f32_e32 v27, v9, v3
	v_add_co_u32 v25, vcc_lo, s2, v13
	s_delay_alu instid0(VALU_DEP_3)
	v_add_co_ci_u32_e32 v26, vcc_lo, s3, v14, vcc_lo
	s_clause 0x1
	global_load_b128 v[13:16], v[25:26], off
	global_load_b128 v[17:20], v[25:26], off offset:16
	v_mul_f32_e32 v8, v5, v9
	s_waitcnt vmcnt(1)
	v_dual_fmac_f32 v6, v10, v2 :: v_dual_fmac_f32 v1, v11, v13
	v_fmac_f32_e32 v23, v11, v15
	s_waitcnt vmcnt(0)
	v_dual_fmac_f32 v8, v10, v3 :: v_dual_fmac_f32 v7, v11, v17
	v_dual_fmac_f32 v22, v12, v13 :: v_dual_fmac_f32 v27, v11, v19
	v_fmac_f32_e32 v24, v12, v15
	v_fmac_f32_e32 v6, v12, v17
	s_delay_alu instid0(VALU_DEP_4)
	v_fmac_f32_e32 v8, v12, v19
	v_fma_f32 v21, -v12, v14, v1
	v_fmac_f32_e32 v22, v11, v14
	v_fma_f32 v23, -v12, v16, v23
	v_fmac_f32_e32 v24, v11, v16
	v_fma_f32 v5, -v12, v18, v7
	v_fmac_f32_e32 v6, v11, v18
	v_fma_f32 v7, -v12, v20, v27
	v_fmac_f32_e32 v8, v11, v20
	s_clause 0x1
	global_store_b128 v[25:26], v[21:24], off
	global_store_b128 v[25:26], v[5:8], off offset:16
.LBB89_29:
	s_nop 0
	s_sendmsg sendmsg(MSG_DEALLOC_VGPRS)
	s_endpgm
	.section	.rodata,"a",@progbits
	.p2align	6, 0x0
	.amdhsa_kernel _ZN9rocsparseL19gebsrmvn_4xn_kernelILj128ELj5ELj4E21rocsparse_complex_numIfEEEvi20rocsparse_direction_NS_24const_host_device_scalarIT2_EEPKiS8_PKS5_SA_S6_PS5_21rocsparse_index_base_b
		.amdhsa_group_segment_fixed_size 0
		.amdhsa_private_segment_fixed_size 0
		.amdhsa_kernarg_size 72
		.amdhsa_user_sgpr_count 15
		.amdhsa_user_sgpr_dispatch_ptr 0
		.amdhsa_user_sgpr_queue_ptr 0
		.amdhsa_user_sgpr_kernarg_segment_ptr 1
		.amdhsa_user_sgpr_dispatch_id 0
		.amdhsa_user_sgpr_private_segment_size 0
		.amdhsa_wavefront_size32 1
		.amdhsa_uses_dynamic_stack 0
		.amdhsa_enable_private_segment 0
		.amdhsa_system_sgpr_workgroup_id_x 1
		.amdhsa_system_sgpr_workgroup_id_y 0
		.amdhsa_system_sgpr_workgroup_id_z 0
		.amdhsa_system_sgpr_workgroup_info 0
		.amdhsa_system_vgpr_workitem_id 0
		.amdhsa_next_free_vgpr 72
		.amdhsa_next_free_sgpr 16
		.amdhsa_reserve_vcc 1
		.amdhsa_float_round_mode_32 0
		.amdhsa_float_round_mode_16_64 0
		.amdhsa_float_denorm_mode_32 3
		.amdhsa_float_denorm_mode_16_64 3
		.amdhsa_dx10_clamp 1
		.amdhsa_ieee_mode 1
		.amdhsa_fp16_overflow 0
		.amdhsa_workgroup_processor_mode 1
		.amdhsa_memory_ordered 1
		.amdhsa_forward_progress 0
		.amdhsa_shared_vgpr_count 0
		.amdhsa_exception_fp_ieee_invalid_op 0
		.amdhsa_exception_fp_denorm_src 0
		.amdhsa_exception_fp_ieee_div_zero 0
		.amdhsa_exception_fp_ieee_overflow 0
		.amdhsa_exception_fp_ieee_underflow 0
		.amdhsa_exception_fp_ieee_inexact 0
		.amdhsa_exception_int_div_zero 0
	.end_amdhsa_kernel
	.section	.text._ZN9rocsparseL19gebsrmvn_4xn_kernelILj128ELj5ELj4E21rocsparse_complex_numIfEEEvi20rocsparse_direction_NS_24const_host_device_scalarIT2_EEPKiS8_PKS5_SA_S6_PS5_21rocsparse_index_base_b,"axG",@progbits,_ZN9rocsparseL19gebsrmvn_4xn_kernelILj128ELj5ELj4E21rocsparse_complex_numIfEEEvi20rocsparse_direction_NS_24const_host_device_scalarIT2_EEPKiS8_PKS5_SA_S6_PS5_21rocsparse_index_base_b,comdat
.Lfunc_end89:
	.size	_ZN9rocsparseL19gebsrmvn_4xn_kernelILj128ELj5ELj4E21rocsparse_complex_numIfEEEvi20rocsparse_direction_NS_24const_host_device_scalarIT2_EEPKiS8_PKS5_SA_S6_PS5_21rocsparse_index_base_b, .Lfunc_end89-_ZN9rocsparseL19gebsrmvn_4xn_kernelILj128ELj5ELj4E21rocsparse_complex_numIfEEEvi20rocsparse_direction_NS_24const_host_device_scalarIT2_EEPKiS8_PKS5_SA_S6_PS5_21rocsparse_index_base_b
                                        ; -- End function
	.section	.AMDGPU.csdata,"",@progbits
; Kernel info:
; codeLenInByte = 3676
; NumSgprs: 18
; NumVgprs: 72
; ScratchSize: 0
; MemoryBound: 0
; FloatMode: 240
; IeeeMode: 1
; LDSByteSize: 0 bytes/workgroup (compile time only)
; SGPRBlocks: 2
; VGPRBlocks: 8
; NumSGPRsForWavesPerEU: 18
; NumVGPRsForWavesPerEU: 72
; Occupancy: 16
; WaveLimiterHint : 1
; COMPUTE_PGM_RSRC2:SCRATCH_EN: 0
; COMPUTE_PGM_RSRC2:USER_SGPR: 15
; COMPUTE_PGM_RSRC2:TRAP_HANDLER: 0
; COMPUTE_PGM_RSRC2:TGID_X_EN: 1
; COMPUTE_PGM_RSRC2:TGID_Y_EN: 0
; COMPUTE_PGM_RSRC2:TGID_Z_EN: 0
; COMPUTE_PGM_RSRC2:TIDIG_COMP_CNT: 0
	.section	.text._ZN9rocsparseL19gebsrmvn_4xn_kernelILj128ELj5ELj8E21rocsparse_complex_numIfEEEvi20rocsparse_direction_NS_24const_host_device_scalarIT2_EEPKiS8_PKS5_SA_S6_PS5_21rocsparse_index_base_b,"axG",@progbits,_ZN9rocsparseL19gebsrmvn_4xn_kernelILj128ELj5ELj8E21rocsparse_complex_numIfEEEvi20rocsparse_direction_NS_24const_host_device_scalarIT2_EEPKiS8_PKS5_SA_S6_PS5_21rocsparse_index_base_b,comdat
	.globl	_ZN9rocsparseL19gebsrmvn_4xn_kernelILj128ELj5ELj8E21rocsparse_complex_numIfEEEvi20rocsparse_direction_NS_24const_host_device_scalarIT2_EEPKiS8_PKS5_SA_S6_PS5_21rocsparse_index_base_b ; -- Begin function _ZN9rocsparseL19gebsrmvn_4xn_kernelILj128ELj5ELj8E21rocsparse_complex_numIfEEEvi20rocsparse_direction_NS_24const_host_device_scalarIT2_EEPKiS8_PKS5_SA_S6_PS5_21rocsparse_index_base_b
	.p2align	8
	.type	_ZN9rocsparseL19gebsrmvn_4xn_kernelILj128ELj5ELj8E21rocsparse_complex_numIfEEEvi20rocsparse_direction_NS_24const_host_device_scalarIT2_EEPKiS8_PKS5_SA_S6_PS5_21rocsparse_index_base_b,@function
_ZN9rocsparseL19gebsrmvn_4xn_kernelILj128ELj5ELj8E21rocsparse_complex_numIfEEEvi20rocsparse_direction_NS_24const_host_device_scalarIT2_EEPKiS8_PKS5_SA_S6_PS5_21rocsparse_index_base_b: ; @_ZN9rocsparseL19gebsrmvn_4xn_kernelILj128ELj5ELj8E21rocsparse_complex_numIfEEEvi20rocsparse_direction_NS_24const_host_device_scalarIT2_EEPKiS8_PKS5_SA_S6_PS5_21rocsparse_index_base_b
; %bb.0:
	s_clause 0x2
	s_load_b64 s[12:13], s[0:1], 0x40
	s_load_b64 s[4:5], s[0:1], 0x8
	;; [unrolled: 1-line block ×3, first 2 shown]
	s_waitcnt lgkmcnt(0)
	s_bitcmp1_b32 s13, 0
	v_mov_b32_e32 v9, s4
	s_cselect_b32 s6, -1, 0
	s_delay_alu instid0(SALU_CYCLE_1)
	s_and_b32 vcc_lo, exec_lo, s6
	s_xor_b32 s6, s6, -1
	s_cbranch_vccz .LBB90_15
; %bb.1:
	v_cndmask_b32_e64 v1, 0, 1, s6
	v_mov_b32_e32 v10, s5
	s_and_not1_b32 vcc_lo, exec_lo, s6
	s_cbranch_vccz .LBB90_16
.LBB90_2:
	s_delay_alu instid0(VALU_DEP_2)
	v_cmp_ne_u32_e32 vcc_lo, 1, v1
	v_mov_b32_e32 v11, s2
	s_cbranch_vccz .LBB90_17
.LBB90_3:
	v_cmp_ne_u32_e32 vcc_lo, 1, v1
	v_mov_b32_e32 v12, s3
	s_cbranch_vccnz .LBB90_5
.LBB90_4:
	v_dual_mov_b32 v1, s2 :: v_dual_mov_b32 v2, s3
	flat_load_b32 v12, v[1:2] offset:4
.LBB90_5:
	s_waitcnt vmcnt(0) lgkmcnt(0)
	v_cmp_eq_f32_e32 vcc_lo, 0, v9
	v_cmp_eq_f32_e64 s2, 0, v10
	s_delay_alu instid0(VALU_DEP_1)
	s_and_b32 s4, vcc_lo, s2
	s_mov_b32 s2, -1
	s_and_saveexec_b32 s3, s4
; %bb.6:
	v_cmp_neq_f32_e32 vcc_lo, 1.0, v11
	v_cmp_neq_f32_e64 s2, 0, v12
	s_delay_alu instid0(VALU_DEP_1) | instskip(NEXT) | instid1(SALU_CYCLE_1)
	s_or_b32 s2, vcc_lo, s2
	s_or_not1_b32 s2, s2, exec_lo
; %bb.7:
	s_or_b32 exec_lo, exec_lo, s3
	s_and_saveexec_b32 s3, s2
	s_cbranch_execz .LBB90_29
; %bb.8:
	s_load_b64 s[2:3], s[0:1], 0x0
	v_lshrrev_b32_e32 v1, 3, v0
	s_delay_alu instid0(VALU_DEP_1) | instskip(SKIP_1) | instid1(VALU_DEP_1)
	v_lshl_or_b32 v1, s15, 4, v1
	s_waitcnt lgkmcnt(0)
	v_cmp_gt_i32_e32 vcc_lo, s2, v1
	s_and_b32 exec_lo, exec_lo, vcc_lo
	s_cbranch_execz .LBB90_29
; %bb.9:
	s_load_b256 s[4:11], s[0:1], 0x10
	v_ashrrev_i32_e32 v2, 31, v1
	v_and_b32_e32 v0, 7, v0
	s_cmp_lg_u32 s3, 0
	s_delay_alu instid0(VALU_DEP_2) | instskip(SKIP_1) | instid1(VALU_DEP_1)
	v_lshlrev_b64 v[2:3], 2, v[1:2]
	s_waitcnt lgkmcnt(0)
	v_add_co_u32 v2, vcc_lo, s4, v2
	s_delay_alu instid0(VALU_DEP_2) | instskip(SKIP_4) | instid1(VALU_DEP_2)
	v_add_co_ci_u32_e32 v3, vcc_lo, s5, v3, vcc_lo
	global_load_b64 v[2:3], v[2:3], off
	s_waitcnt vmcnt(0)
	v_subrev_nc_u32_e32 v2, s12, v2
	v_subrev_nc_u32_e32 v17, s12, v3
	v_add_nc_u32_e32 v2, v2, v0
	s_delay_alu instid0(VALU_DEP_1)
	v_cmp_lt_i32_e64 s2, v2, v17
	s_cbranch_scc0 .LBB90_18
; %bb.10:
	v_dual_mov_b32 v13, 0 :: v_dual_mov_b32 v18, 0
	v_dual_mov_b32 v19, 0 :: v_dual_mov_b32 v14, 0
	;; [unrolled: 1-line block ×4, first 2 shown]
	s_mov_b32 s3, 0
	s_and_saveexec_b32 s4, s2
	s_cbranch_execz .LBB90_14
; %bb.11:
	v_mad_u64_u32 v[3:4], null, v2, 20, 16
	v_dual_mov_b32 v6, 0 :: v_dual_mov_b32 v7, v2
	v_dual_mov_b32 v13, 0 :: v_dual_mov_b32 v18, 0
	;; [unrolled: 1-line block ×5, first 2 shown]
	s_mov_b32 s5, 0
.LBB90_12:                              ; =>This Inner Loop Header: Depth=1
	v_ashrrev_i32_e32 v8, 31, v7
	s_delay_alu instid0(VALU_DEP_1) | instskip(NEXT) | instid1(VALU_DEP_1)
	v_lshlrev_b64 v[4:5], 2, v[7:8]
	v_add_co_u32 v4, vcc_lo, s6, v4
	s_delay_alu instid0(VALU_DEP_2) | instskip(SKIP_2) | instid1(VALU_DEP_1)
	v_add_co_ci_u32_e32 v5, vcc_lo, s7, v5, vcc_lo
	global_load_b32 v8, v[4:5], off
	v_dual_mov_b32 v4, v6 :: v_dual_add_nc_u32 v5, -16, v3
	v_lshlrev_b64 v[22:23], 3, v[5:6]
	v_add_nc_u32_e32 v5, -12, v3
	s_delay_alu instid0(VALU_DEP_3) | instskip(NEXT) | instid1(VALU_DEP_2)
	v_lshlrev_b64 v[24:25], 3, v[3:4]
	v_lshlrev_b64 v[4:5], 3, v[5:6]
	s_delay_alu instid0(VALU_DEP_4) | instskip(SKIP_1) | instid1(VALU_DEP_4)
	v_add_co_u32 v26, vcc_lo, s8, v22
	v_add_co_ci_u32_e32 v27, vcc_lo, s9, v23, vcc_lo
	v_add_co_u32 v34, vcc_lo, s8, v24
	v_add_co_ci_u32_e32 v35, vcc_lo, s9, v25, vcc_lo
	;; [unrolled: 2-line block ×3, first 2 shown]
	s_clause 0x5
	global_load_b128 v[22:25], v[26:27], off offset:16
	global_load_b128 v[26:29], v[26:27], off
	global_load_b128 v[30:33], v[34:35], off offset:16
	global_load_b128 v[34:37], v[34:35], off
	;; [unrolled: 2-line block ×3, first 2 shown]
	v_mov_b32_e32 v55, v6
	s_waitcnt vmcnt(6)
	v_subrev_nc_u32_e32 v4, s12, v8
	s_delay_alu instid0(VALU_DEP_1) | instskip(NEXT) | instid1(VALU_DEP_1)
	v_lshl_add_u32 v54, v4, 2, v4
	v_lshlrev_b64 v[46:47], 3, v[54:55]
	s_delay_alu instid0(VALU_DEP_1) | instskip(NEXT) | instid1(VALU_DEP_2)
	v_add_co_u32 v46, vcc_lo, s10, v46
	v_add_co_ci_u32_e32 v47, vcc_lo, s11, v47, vcc_lo
	global_load_b64 v[62:63], v[46:47], off
	s_waitcnt vmcnt(0)
	v_dual_fmac_f32 v14, v25, v62 :: v_dual_add_nc_u32 v7, 8, v7
	v_fmac_f32_e32 v16, v29, v62
	v_add_nc_u32_e32 v5, 1, v54
	v_fmac_f32_e32 v18, v26, v62
	v_fmac_f32_e32 v20, v22, v62
	;; [unrolled: 1-line block ×4, first 2 shown]
	v_lshlrev_b64 v[48:49], 3, v[5:6]
	v_add_nc_u32_e32 v5, -8, v3
	v_fma_f32 v8, -v27, v63, v18
	v_fma_f32 v20, -v23, v63, v20
	s_delay_alu instid0(VALU_DEP_3) | instskip(SKIP_3) | instid1(VALU_DEP_3)
	v_lshlrev_b64 v[50:51], 3, v[5:6]
	v_add_nc_u32_e32 v5, 2, v54
	v_add_co_u32 v46, vcc_lo, s10, v48
	v_add_co_ci_u32_e32 v47, vcc_lo, s11, v49, vcc_lo
	v_lshlrev_b64 v[48:49], 3, v[5:6]
	v_add_co_u32 v50, vcc_lo, s8, v50
	global_load_b64 v[64:65], v[46:47], off
	v_add_co_ci_u32_e32 v51, vcc_lo, s9, v51, vcc_lo
	v_add_co_u32 v57, vcc_lo, s10, v48
	v_add_co_ci_u32_e32 v58, vcc_lo, s11, v49, vcc_lo
	s_clause 0x1
	global_load_b128 v[46:49], v[50:51], off offset:16
	global_load_b128 v[50:53], v[50:51], off
	v_add_nc_u32_e32 v5, -4, v3
	v_fmac_f32_e32 v13, v27, v62
	global_load_b64 v[66:67], v[57:58], off
	s_waitcnt vmcnt(3)
	v_dual_fmac_f32 v20, v38, v64 :: v_dual_add_nc_u32 v3, 0xa0, v3
	v_fmac_f32_e32 v8, v42, v64
	v_dual_fmac_f32 v14, v41, v64 :: v_dual_fmac_f32 v13, v26, v63
	v_lshlrev_b64 v[55:56], 3, v[5:6]
	s_delay_alu instid0(VALU_DEP_4) | instskip(NEXT) | instid1(VALU_DEP_4)
	v_fma_f32 v20, -v39, v65, v20
	v_fma_f32 v8, -v43, v65, v8
	s_delay_alu instid0(VALU_DEP_4)
	v_dual_fmac_f32 v14, v40, v65 :: v_dual_fmac_f32 v13, v43, v64
	v_fmac_f32_e32 v16, v45, v64
	v_add_co_u32 v68, vcc_lo, s8, v55
	s_waitcnt vmcnt(0)
	v_fmac_f32_e32 v8, v50, v66
	v_add_co_ci_u32_e32 v69, vcc_lo, s9, v56, vcc_lo
	v_dual_fmac_f32 v15, v23, v62 :: v_dual_fmac_f32 v16, v44, v65
	s_delay_alu instid0(VALU_DEP_3) | instskip(SKIP_2) | instid1(VALU_DEP_4)
	v_fma_f32 v8, -v51, v67, v8
	v_fmac_f32_e32 v21, v28, v62
	v_dual_fmac_f32 v13, v42, v65 :: v_dual_fmac_f32 v14, v49, v66
	v_fmac_f32_e32 v16, v53, v66
	v_fmac_f32_e32 v20, v46, v66
	s_delay_alu instid0(VALU_DEP_4) | instskip(SKIP_3) | instid1(VALU_DEP_4)
	v_fma_f32 v18, -v29, v63, v21
	v_add_nc_u32_e32 v5, 3, v54
	v_dual_fmac_f32 v13, v51, v66 :: v_dual_fmac_f32 v14, v48, v67
	v_fmac_f32_e32 v16, v52, v67
	v_fmac_f32_e32 v18, v44, v64
	s_delay_alu instid0(VALU_DEP_4) | instskip(SKIP_2) | instid1(VALU_DEP_4)
	v_lshlrev_b64 v[59:60], 3, v[5:6]
	v_add_nc_u32_e32 v5, 4, v54
	v_fma_f32 v20, -v47, v67, v20
	v_fma_f32 v18, -v45, v65, v18
	v_fmac_f32_e32 v15, v22, v63
	v_add_co_u32 v70, vcc_lo, s10, v59
	v_add_co_ci_u32_e32 v71, vcc_lo, s11, v60, vcc_lo
	s_delay_alu instid0(VALU_DEP_4)
	v_fmac_f32_e32 v18, v52, v66
	s_clause 0x1
	global_load_b128 v[54:57], v[68:69], off offset:16
	global_load_b128 v[58:61], v[68:69], off
	global_load_b64 v[68:69], v[70:71], off
	v_lshlrev_b64 v[4:5], 3, v[5:6]
	v_fmac_f32_e32 v15, v39, v64
	v_fmac_f32_e32 v19, v24, v62
	;; [unrolled: 1-line block ×3, first 2 shown]
	v_fma_f32 v18, -v53, v67, v18
	v_add_co_u32 v4, vcc_lo, s10, v4
	v_add_co_ci_u32_e32 v5, vcc_lo, s11, v5, vcc_lo
	v_fmac_f32_e32 v15, v38, v65
	v_cmp_ge_i32_e32 vcc_lo, v7, v17
	global_load_b64 v[4:5], v[4:5], off
	v_fmac_f32_e32 v15, v47, v66
	s_or_b32 s5, vcc_lo, s5
	s_waitcnt vmcnt(1)
	v_fmac_f32_e32 v18, v60, v68
	v_fmac_f32_e32 v16, v61, v68
	v_fma_f32 v19, -v25, v63, v19
	v_dual_fmac_f32 v15, v46, v67 :: v_dual_fmac_f32 v14, v57, v68
	s_delay_alu instid0(VALU_DEP_3) | instskip(NEXT) | instid1(VALU_DEP_3)
	v_dual_fmac_f32 v13, v59, v68 :: v_dual_fmac_f32 v16, v60, v69
	v_fmac_f32_e32 v19, v40, v64
	v_fmac_f32_e32 v20, v54, v68
	;; [unrolled: 1-line block ×5, first 2 shown]
	v_fma_f32 v19, -v41, v65, v19
	v_fma_f32 v21, -v61, v69, v18
	s_waitcnt vmcnt(0)
	v_fmac_f32_e32 v16, v37, v4
	v_fmac_f32_e32 v15, v55, v68
	v_fma_f32 v8, -v59, v69, v8
	v_fmac_f32_e32 v19, v48, v66
	v_fma_f32 v20, -v55, v69, v20
	v_fmac_f32_e32 v16, v36, v5
	v_dual_fmac_f32 v15, v54, v69 :: v_dual_fmac_f32 v14, v33, v4
	s_delay_alu instid0(VALU_DEP_4)
	v_fma_f32 v19, -v49, v67, v19
	v_fmac_f32_e32 v8, v34, v4
	v_fmac_f32_e32 v13, v35, v4
	v_fmac_f32_e32 v21, v36, v4
	v_fmac_f32_e32 v14, v32, v5
	v_fmac_f32_e32 v19, v56, v68
	v_fmac_f32_e32 v20, v30, v4
	v_fmac_f32_e32 v15, v31, v4
	v_fma_f32 v18, -v35, v5, v8
	v_fmac_f32_e32 v13, v34, v5
	v_fma_f32 v19, -v57, v69, v19
	v_fma_f32 v21, -v37, v5, v21
	;; [unrolled: 1-line block ×3, first 2 shown]
	v_fmac_f32_e32 v15, v30, v5
	s_delay_alu instid0(VALU_DEP_4) | instskip(NEXT) | instid1(VALU_DEP_1)
	v_fmac_f32_e32 v19, v32, v4
	v_fma_f32 v19, -v33, v5, v19
	s_and_not1_b32 exec_lo, exec_lo, s5
	s_cbranch_execnz .LBB90_12
; %bb.13:
	s_or_b32 exec_lo, exec_lo, s5
.LBB90_14:
	s_delay_alu instid0(SALU_CYCLE_1) | instskip(NEXT) | instid1(SALU_CYCLE_1)
	s_or_b32 exec_lo, exec_lo, s4
	s_and_not1_b32 vcc_lo, exec_lo, s3
	s_cbranch_vccz .LBB90_19
	s_branch .LBB90_24
.LBB90_15:
	v_dual_mov_b32 v1, s4 :: v_dual_mov_b32 v2, s5
	flat_load_b32 v9, v[1:2]
	v_cndmask_b32_e64 v1, 0, 1, s6
	v_mov_b32_e32 v10, s5
	s_and_not1_b32 vcc_lo, exec_lo, s6
	s_cbranch_vccnz .LBB90_2
.LBB90_16:
	v_dual_mov_b32 v2, s4 :: v_dual_mov_b32 v3, s5
	flat_load_b32 v10, v[2:3] offset:4
	v_cmp_ne_u32_e32 vcc_lo, 1, v1
	v_mov_b32_e32 v11, s2
	s_cbranch_vccnz .LBB90_3
.LBB90_17:
	v_dual_mov_b32 v2, s2 :: v_dual_mov_b32 v3, s3
	flat_load_b32 v11, v[2:3]
	v_cmp_ne_u32_e32 vcc_lo, 1, v1
	v_mov_b32_e32 v12, s3
	s_cbranch_vccz .LBB90_4
	s_branch .LBB90_5
.LBB90_18:
                                        ; implicit-def: $vgpr13
                                        ; implicit-def: $vgpr18
                                        ; implicit-def: $vgpr19
                                        ; implicit-def: $vgpr14
                                        ; implicit-def: $vgpr20
                                        ; implicit-def: $vgpr15
                                        ; implicit-def: $vgpr21
                                        ; implicit-def: $vgpr16
.LBB90_19:
	v_dual_mov_b32 v13, 0 :: v_dual_mov_b32 v18, 0
	v_dual_mov_b32 v19, 0 :: v_dual_mov_b32 v14, 0
	v_dual_mov_b32 v20, 0 :: v_dual_mov_b32 v15, 0
	v_dual_mov_b32 v21, 0 :: v_dual_mov_b32 v16, 0
	s_and_saveexec_b32 s3, s2
	s_cbranch_execz .LBB90_23
; %bb.20:
	v_mad_u64_u32 v[4:5], null, v2, 20, 19
	v_dual_mov_b32 v7, 0 :: v_dual_mov_b32 v18, 0
	v_dual_mov_b32 v13, 0 :: v_dual_mov_b32 v14, 0
	;; [unrolled: 1-line block ×4, first 2 shown]
	v_mov_b32_e32 v21, 0
	s_mov_b32 s2, 0
.LBB90_21:                              ; =>This Inner Loop Header: Depth=1
	v_ashrrev_i32_e32 v3, 31, v2
	v_dual_mov_b32 v31, v7 :: v_dual_add_nc_u32 v22, -14, v4
	v_dual_mov_b32 v23, v7 :: v_dual_add_nc_u32 v24, -9, v4
	s_delay_alu instid0(VALU_DEP_3) | instskip(SKIP_1) | instid1(VALU_DEP_3)
	v_lshlrev_b64 v[5:6], 2, v[2:3]
	v_dual_mov_b32 v25, v7 :: v_dual_add_nc_u32 v26, -4, v4
	v_lshlrev_b64 v[22:23], 3, v[22:23]
	s_delay_alu instid0(VALU_DEP_3) | instskip(NEXT) | instid1(VALU_DEP_4)
	v_add_co_u32 v5, vcc_lo, s6, v5
	v_add_co_ci_u32_e32 v6, vcc_lo, s7, v6, vcc_lo
	s_delay_alu instid0(VALU_DEP_4) | instskip(SKIP_3) | instid1(VALU_DEP_2)
	v_lshlrev_b64 v[24:25], 3, v[24:25]
	global_load_b32 v3, v[5:6], off
	v_subrev_nc_u32_e32 v6, 19, v4
	v_mov_b32_e32 v5, v7
	v_lshlrev_b64 v[28:29], 3, v[6:7]
	s_delay_alu instid0(VALU_DEP_2) | instskip(NEXT) | instid1(VALU_DEP_2)
	v_lshlrev_b64 v[5:6], 3, v[4:5]
	v_add_co_u32 v28, vcc_lo, s8, v28
	s_delay_alu instid0(VALU_DEP_3)
	v_add_co_ci_u32_e32 v29, vcc_lo, s9, v29, vcc_lo
	v_add_co_u32 v32, vcc_lo, s8, v22
	v_add_co_ci_u32_e32 v33, vcc_lo, s9, v23, vcc_lo
	v_add_co_u32 v34, vcc_lo, s8, v24
	v_add_co_ci_u32_e32 v35, vcc_lo, s9, v25, vcc_lo
	s_waitcnt vmcnt(0)
	v_subrev_nc_u32_e32 v3, s12, v3
	s_delay_alu instid0(VALU_DEP_1) | instskip(SKIP_1) | instid1(VALU_DEP_2)
	v_lshl_add_u32 v30, v3, 2, v3
	v_mov_b32_e32 v27, v7
	v_lshlrev_b64 v[40:41], 3, v[30:31]
	s_delay_alu instid0(VALU_DEP_2) | instskip(NEXT) | instid1(VALU_DEP_1)
	v_lshlrev_b64 v[26:27], 3, v[26:27]
	v_add_co_u32 v36, vcc_lo, s8, v26
	s_delay_alu instid0(VALU_DEP_2)
	v_add_co_ci_u32_e32 v37, vcc_lo, s9, v27, vcc_lo
	v_add_co_u32 v38, vcc_lo, s8, v5
	v_add_co_ci_u32_e32 v39, vcc_lo, s9, v6, vcc_lo
	v_add_nc_u32_e32 v6, 1, v30
	v_add_co_u32 v40, vcc_lo, s10, v40
	v_add_co_ci_u32_e32 v41, vcc_lo, s11, v41, vcc_lo
	s_clause 0x4
	global_load_b128 v[22:25], v[28:29], off offset:16
	global_load_b128 v[26:29], v[28:29], off
	global_load_b64 v[32:33], v[32:33], off
	global_load_b64 v[34:35], v[34:35], off
	;; [unrolled: 1-line block ×3, first 2 shown]
	v_lshlrev_b64 v[42:43], 3, v[6:7]
	v_add_nc_u32_e32 v6, -13, v4
	global_load_b64 v[40:41], v[40:41], off
	v_add_co_u32 v42, vcc_lo, s10, v42
	v_add_co_ci_u32_e32 v43, vcc_lo, s11, v43, vcc_lo
	v_lshlrev_b64 v[44:45], 3, v[6:7]
	global_load_b64 v[42:43], v[42:43], off
	v_add_nc_u32_e32 v2, 8, v2
	v_add_co_u32 v44, vcc_lo, s8, v44
	v_add_co_ci_u32_e32 v45, vcc_lo, s9, v45, vcc_lo
	global_load_b64 v[44:45], v[44:45], off
	s_waitcnt vmcnt(2)
	v_fmac_f32_e32 v13, v27, v40
	v_add_nc_u32_e32 v6, -8, v4
	v_fmac_f32_e32 v15, v35, v40
	v_fmac_f32_e32 v21, v32, v40
	;; [unrolled: 1-line block ×4, first 2 shown]
	v_lshlrev_b64 v[46:47], 3, v[6:7]
	v_dual_fmac_f32 v15, v34, v41 :: v_dual_add_nc_u32 v6, -3, v4
	v_fma_f32 v8, -v33, v41, v21
	v_fma_f32 v19, -v37, v41, v19
	s_waitcnt vmcnt(1)
	v_fmac_f32_e32 v13, v29, v42
	v_lshlrev_b64 v[48:49], 3, v[6:7]
	v_add_nc_u32_e32 v6, 2, v30
	v_add_co_u32 v46, vcc_lo, s8, v46
	v_add_co_ci_u32_e32 v47, vcc_lo, s9, v47, vcc_lo
	s_delay_alu instid0(VALU_DEP_3)
	v_lshlrev_b64 v[50:51], 3, v[6:7]
	v_add_co_u32 v48, vcc_lo, s8, v48
	v_add_co_ci_u32_e32 v49, vcc_lo, s9, v49, vcc_lo
	global_load_b64 v[46:47], v[46:47], off
	v_add_co_u32 v50, vcc_lo, s10, v50
	global_load_b64 v[48:49], v[48:49], off
	v_add_co_ci_u32_e32 v51, vcc_lo, s11, v51, vcc_lo
	v_fmac_f32_e32 v13, v28, v43
	global_load_b64 v[50:51], v[50:51], off
	v_fmac_f32_e32 v18, v26, v40
	s_delay_alu instid0(VALU_DEP_1) | instskip(NEXT) | instid1(VALU_DEP_1)
	v_fma_f32 v3, -v27, v41, v18
	v_dual_fmac_f32 v3, v28, v42 :: v_dual_add_nc_u32 v6, -12, v4
	s_delay_alu instid0(VALU_DEP_1) | instskip(SKIP_1) | instid1(VALU_DEP_3)
	v_lshlrev_b64 v[52:53], 3, v[6:7]
	v_add_nc_u32_e32 v6, -7, v4
	v_fma_f32 v3, -v29, v43, v3
	s_delay_alu instid0(VALU_DEP_2) | instskip(SKIP_3) | instid1(VALU_DEP_3)
	v_lshlrev_b64 v[54:55], 3, v[6:7]
	v_add_nc_u32_e32 v6, -2, v4
	v_add_co_u32 v52, vcc_lo, s8, v52
	v_add_co_ci_u32_e32 v53, vcc_lo, s9, v53, vcc_lo
	v_lshlrev_b64 v[56:57], 3, v[6:7]
	v_add_co_u32 v54, vcc_lo, s8, v54
	v_add_co_ci_u32_e32 v55, vcc_lo, s9, v55, vcc_lo
	global_load_b64 v[52:53], v[52:53], off
	v_add_co_u32 v56, vcc_lo, s8, v56
	global_load_b64 v[54:55], v[54:55], off
	v_add_co_ci_u32_e32 v57, vcc_lo, s9, v57, vcc_lo
	v_add_nc_u32_e32 v6, 3, v30
	global_load_b64 v[56:57], v[56:57], off
	v_lshlrev_b64 v[58:59], 3, v[6:7]
	v_add_nc_u32_e32 v6, -11, v4
	s_delay_alu instid0(VALU_DEP_2) | instskip(NEXT) | instid1(VALU_DEP_3)
	v_add_co_u32 v58, vcc_lo, s10, v58
	v_add_co_ci_u32_e32 v59, vcc_lo, s11, v59, vcc_lo
	global_load_b64 v[58:59], v[58:59], off
	s_waitcnt vmcnt(6)
	v_fmac_f32_e32 v15, v47, v42
	v_lshlrev_b64 v[60:61], 3, v[6:7]
	s_waitcnt vmcnt(5)
	v_dual_fmac_f32 v19, v48, v42 :: v_dual_add_nc_u32 v6, -6, v4
	s_delay_alu instid0(VALU_DEP_3) | instskip(NEXT) | instid1(VALU_DEP_2)
	v_fmac_f32_e32 v15, v46, v43
	v_lshlrev_b64 v[62:63], 3, v[6:7]
	v_add_nc_u32_e32 v6, -1, v4
	v_add_co_u32 v60, vcc_lo, s8, v60
	v_add_co_ci_u32_e32 v61, vcc_lo, s9, v61, vcc_lo
	s_delay_alu instid0(VALU_DEP_3) | instskip(SKIP_4) | instid1(VALU_DEP_3)
	v_lshlrev_b64 v[64:65], 3, v[6:7]
	s_waitcnt vmcnt(4)
	v_dual_fmac_f32 v3, v22, v50 :: v_dual_add_nc_u32 v6, -15, v4
	v_add_co_u32 v62, vcc_lo, s8, v62
	v_fmac_f32_e32 v13, v23, v50
	v_lshlrev_b64 v[66:67], 3, v[6:7]
	v_add_nc_u32_e32 v6, 4, v30
	v_add_co_ci_u32_e32 v63, vcc_lo, s9, v63, vcc_lo
	s_delay_alu instid0(VALU_DEP_4)
	v_fmac_f32_e32 v13, v22, v51
	v_add_co_u32 v30, vcc_lo, s8, v64
	v_add_co_ci_u32_e32 v31, vcc_lo, s9, v65, vcc_lo
	v_lshlrev_b64 v[64:65], 3, v[6:7]
	v_add_nc_u32_e32 v6, -10, v4
	v_add_co_u32 v66, vcc_lo, s8, v66
	v_add_co_ci_u32_e32 v67, vcc_lo, s9, v67, vcc_lo
	s_delay_alu instid0(VALU_DEP_4)
	v_add_co_u32 v64, vcc_lo, s10, v64
	v_fma_f32 v19, -v49, v43, v19
	v_add_co_ci_u32_e32 v65, vcc_lo, s11, v65, vcc_lo
	s_clause 0x1
	global_load_b64 v[60:61], v[60:61], off
	global_load_b64 v[62:63], v[62:63], off
	s_waitcnt vmcnt(4)
	v_fmac_f32_e32 v15, v55, v50
	v_lshlrev_b64 v[68:69], 3, v[6:7]
	v_add_nc_u32_e32 v6, -5, v4
	global_load_b64 v[66:67], v[66:67], off
	global_load_b64 v[64:65], v[64:65], off
	;; [unrolled: 1-line block ×3, first 2 shown]
	s_waitcnt vmcnt(6)
	v_fmac_f32_e32 v19, v56, v50
	v_lshlrev_b64 v[5:6], 3, v[6:7]
	v_add_co_u32 v68, vcc_lo, s8, v68
	v_add_co_ci_u32_e32 v69, vcc_lo, s9, v69, vcc_lo
	v_fmac_f32_e32 v20, v34, v40
	s_delay_alu instid0(VALU_DEP_4)
	v_add_co_u32 v5, vcc_lo, s8, v5
	v_add_co_ci_u32_e32 v6, vcc_lo, s9, v6, vcc_lo
	s_clause 0x2
	global_load_b64 v[68:69], v[68:69], off
	global_load_b64 v[5:6], v[5:6], off
	;; [unrolled: 1-line block ×3, first 2 shown]
	v_fma_f32 v3, -v23, v51, v3
	s_waitcnt vmcnt(8)
	v_fmac_f32_e32 v13, v25, v58
	v_fmac_f32_e32 v16, v33, v40
	;; [unrolled: 1-line block ×3, first 2 shown]
	v_dual_fmac_f32 v15, v54, v51 :: v_dual_add_nc_u32 v4, 0xa0, v4
	v_fma_f32 v18, -v35, v41, v20
	v_fmac_f32_e32 v3, v24, v58
	v_fmac_f32_e32 v16, v32, v41
	;; [unrolled: 1-line block ×5, first 2 shown]
	v_fma_f32 v19, -v57, v51, v19
	v_fma_f32 v3, -v25, v59, v3
	v_fmac_f32_e32 v16, v45, v42
	v_cmp_ge_i32_e32 vcc_lo, v2, v17
	s_or_b32 s2, vcc_lo, s2
	s_waitcnt vmcnt(6)
	v_fmac_f32_e32 v15, v63, v58
	s_delay_alu instid0(VALU_DEP_1) | instskip(SKIP_2) | instid1(VALU_DEP_2)
	v_dual_fmac_f32 v8, v44, v42 :: v_dual_fmac_f32 v15, v62, v59
	s_waitcnt vmcnt(4)
	v_dual_fmac_f32 v13, v67, v64 :: v_dual_fmac_f32 v14, v49, v42
	v_fma_f32 v8, -v45, v43, v8
	v_fma_f32 v18, -v47, v43, v18
	s_waitcnt vmcnt(3)
	v_fmac_f32_e32 v19, v30, v58
	v_dual_fmac_f32 v13, v66, v65 :: v_dual_fmac_f32 v14, v48, v43
	v_dual_fmac_f32 v3, v66, v64 :: v_dual_fmac_f32 v16, v44, v43
	v_fmac_f32_e32 v18, v54, v50
	s_delay_alu instid0(VALU_DEP_4)
	v_fma_f32 v19, -v31, v59, v19
	v_fmac_f32_e32 v8, v52, v50
	s_waitcnt vmcnt(1)
	v_dual_fmac_f32 v16, v53, v50 :: v_dual_fmac_f32 v15, v6, v64
	s_waitcnt vmcnt(0)
	v_dual_fmac_f32 v19, v38, v64 :: v_dual_fmac_f32 v14, v57, v50
	v_fma_f32 v8, -v53, v51, v8
	s_delay_alu instid0(VALU_DEP_3) | instskip(SKIP_1) | instid1(VALU_DEP_4)
	v_dual_fmac_f32 v16, v52, v51 :: v_dual_fmac_f32 v15, v5, v65
	v_fma_f32 v18, -v55, v51, v18
	v_fmac_f32_e32 v14, v56, v51
	s_delay_alu instid0(VALU_DEP_4) | instskip(NEXT) | instid1(VALU_DEP_4)
	v_fmac_f32_e32 v8, v60, v58
	v_fmac_f32_e32 v16, v61, v58
	v_fma_f32 v19, -v39, v65, v19
	v_fmac_f32_e32 v18, v62, v58
	v_fmac_f32_e32 v14, v31, v58
	v_fma_f32 v8, -v61, v59, v8
	v_fmac_f32_e32 v16, v60, v59
	s_delay_alu instid0(VALU_DEP_4) | instskip(NEXT) | instid1(VALU_DEP_4)
	v_fma_f32 v20, -v63, v59, v18
	v_fmac_f32_e32 v14, v30, v59
	s_delay_alu instid0(VALU_DEP_4) | instskip(NEXT) | instid1(VALU_DEP_4)
	v_fmac_f32_e32 v8, v68, v64
	v_fmac_f32_e32 v16, v69, v64
	v_fma_f32 v18, -v67, v65, v3
	v_fmac_f32_e32 v20, v5, v64
	v_fmac_f32_e32 v14, v39, v64
	v_fma_f32 v21, -v69, v65, v8
	v_fmac_f32_e32 v16, v68, v65
	s_delay_alu instid0(VALU_DEP_4) | instskip(NEXT) | instid1(VALU_DEP_4)
	v_fma_f32 v20, -v6, v65, v20
	v_fmac_f32_e32 v14, v38, v65
	s_and_not1_b32 exec_lo, exec_lo, s2
	s_cbranch_execnz .LBB90_21
; %bb.22:
	s_or_b32 exec_lo, exec_lo, s2
.LBB90_23:
	s_delay_alu instid0(SALU_CYCLE_1)
	s_or_b32 exec_lo, exec_lo, s3
.LBB90_24:
	v_mbcnt_lo_u32_b32 v2, -1, 0
	s_delay_alu instid0(VALU_DEP_1) | instskip(SKIP_1) | instid1(VALU_DEP_2)
	v_xor_b32_e32 v3, 4, v2
	v_xor_b32_e32 v23, 2, v2
	v_cmp_gt_i32_e32 vcc_lo, 32, v3
	v_cndmask_b32_e32 v3, v2, v3, vcc_lo
	s_delay_alu instid0(VALU_DEP_3) | instskip(NEXT) | instid1(VALU_DEP_2)
	v_cmp_gt_i32_e32 vcc_lo, 32, v23
	v_lshlrev_b32_e32 v3, 2, v3
	ds_bpermute_b32 v4, v3, v18
	s_waitcnt lgkmcnt(0)
	v_add_f32_e32 v4, v18, v4
	ds_bpermute_b32 v5, v3, v13
	ds_bpermute_b32 v7, v3, v16
	;; [unrolled: 1-line block ×7, first 2 shown]
	s_waitcnt lgkmcnt(5)
	v_dual_add_f32 v5, v13, v5 :: v_dual_add_f32 v16, v16, v7
	v_cndmask_b32_e32 v23, v2, v23, vcc_lo
	s_waitcnt lgkmcnt(3)
	v_dual_add_f32 v13, v21, v6 :: v_dual_add_f32 v8, v20, v8
	s_waitcnt lgkmcnt(0)
	v_dual_add_f32 v15, v15, v17 :: v_dual_add_f32 v18, v14, v3
	v_lshlrev_b32_e32 v23, 2, v23
	ds_bpermute_b32 v3, v23, v4
	v_add_f32_e32 v17, v19, v22
	ds_bpermute_b32 v6, v23, v5
	ds_bpermute_b32 v7, v23, v13
	;; [unrolled: 1-line block ×7, first 2 shown]
	v_xor_b32_e32 v23, 1, v2
	s_delay_alu instid0(VALU_DEP_1)
	v_cmp_gt_i32_e32 vcc_lo, 32, v23
	v_cndmask_b32_e32 v2, v2, v23, vcc_lo
	v_cmp_eq_u32_e32 vcc_lo, 7, v0
	s_waitcnt lgkmcnt(6)
	v_add_f32_e32 v6, v5, v6
	s_waitcnt lgkmcnt(5)
	v_add_f32_e32 v7, v13, v7
	v_dual_add_f32 v2, v4, v3 :: v_dual_lshlrev_b32 v23, 2, v2
	s_waitcnt lgkmcnt(4)
	v_add_f32_e32 v13, v16, v14
	s_waitcnt lgkmcnt(2)
	v_dual_add_f32 v14, v8, v19 :: v_dual_add_f32 v15, v15, v20
	s_waitcnt lgkmcnt(1)
	v_add_f32_e32 v3, v17, v21
	s_waitcnt lgkmcnt(0)
	v_add_f32_e32 v5, v18, v22
	ds_bpermute_b32 v4, v23, v2
	ds_bpermute_b32 v8, v23, v6
	;; [unrolled: 1-line block ×8, first 2 shown]
	s_and_b32 exec_lo, exec_lo, vcc_lo
	s_cbranch_execz .LBB90_29
; %bb.25:
	s_load_b64 s[2:3], s[0:1], 0x38
	v_cmp_eq_f32_e32 vcc_lo, 0, v11
	v_cmp_eq_f32_e64 s0, 0, v12
	s_waitcnt lgkmcnt(0)
	v_add_f32_e32 v4, v2, v4
	v_dual_add_f32 v8, v6, v8 :: v_dual_add_f32 v5, v5, v17
	v_dual_add_f32 v0, v7, v18 :: v_dual_add_f32 v7, v13, v19
	v_add_f32_e32 v2, v14, v20
	v_add_f32_e32 v6, v15, v21
	;; [unrolled: 1-line block ×3, first 2 shown]
	s_and_b32 s0, vcc_lo, s0
	s_delay_alu instid0(SALU_CYCLE_1) | instskip(NEXT) | instid1(SALU_CYCLE_1)
	s_and_saveexec_b32 s1, s0
	s_xor_b32 s0, exec_lo, s1
	s_cbranch_execz .LBB90_27
; %bb.26:
	v_mul_f32_e64 v11, v8, -v10
	v_mul_f32_e32 v12, v8, v9
	v_mul_f32_e64 v13, v7, -v10
	v_mul_f32_e32 v14, v7, v9
	v_mul_f32_e64 v15, v6, -v10
	v_fmac_f32_e32 v11, v9, v4
	v_dual_fmac_f32 v12, v10, v4 :: v_dual_lshlrev_b32 v17, 2, v1
	s_delay_alu instid0(VALU_DEP_3) | instskip(SKIP_1) | instid1(VALU_DEP_3)
	v_dual_mul_f32 v16, v6, v9 :: v_dual_fmac_f32 v15, v9, v2
	v_fmac_f32_e32 v13, v9, v0
	v_ashrrev_i32_e32 v18, 31, v17
                                        ; implicit-def: $vgpr1
                                        ; implicit-def: $vgpr4
                                        ; implicit-def: $vgpr8
	s_delay_alu instid0(VALU_DEP_3) | instskip(NEXT) | instid1(VALU_DEP_2)
	v_fmac_f32_e32 v16, v10, v2
                                        ; implicit-def: $vgpr2
	v_lshlrev_b64 v[6:7], 3, v[17:18]
	v_mul_f32_e64 v17, v5, -v10
	v_mul_f32_e32 v18, v5, v9
	v_fmac_f32_e32 v14, v10, v0
                                        ; implicit-def: $vgpr0
                                        ; implicit-def: $vgpr5
	s_delay_alu instid0(VALU_DEP_3)
	v_fmac_f32_e32 v17, v9, v3
	v_add_co_u32 v6, vcc_lo, s2, v6
	v_add_co_ci_u32_e32 v7, vcc_lo, s3, v7, vcc_lo
	v_fmac_f32_e32 v18, v10, v3
	s_clause 0x1
	global_store_b128 v[6:7], v[11:14], off
	global_store_b128 v[6:7], v[15:18], off offset:16
                                        ; implicit-def: $vgpr9
                                        ; implicit-def: $vgpr10
                                        ; implicit-def: $vgpr11
                                        ; implicit-def: $vgpr12
                                        ; implicit-def: $vgpr7
                                        ; implicit-def: $vgpr6
                                        ; implicit-def: $vgpr3
.LBB90_27:
	s_and_not1_saveexec_b32 s0, s0
	s_cbranch_execz .LBB90_29
; %bb.28:
	v_mul_f32_e32 v22, v8, v9
	v_lshlrev_b32_e32 v13, 2, v1
	v_mul_f32_e64 v1, v8, -v10
	v_mul_f32_e64 v23, v7, -v10
	v_mul_f32_e32 v24, v7, v9
	v_mul_f32_e64 v7, v6, -v10
	s_delay_alu instid0(VALU_DEP_4) | instskip(SKIP_2) | instid1(VALU_DEP_4)
	v_dual_mul_f32 v6, v6, v9 :: v_dual_fmac_f32 v1, v9, v4
	v_fmac_f32_e32 v22, v10, v4
	v_ashrrev_i32_e32 v14, 31, v13
	v_fmac_f32_e32 v7, v9, v2
	v_mul_f32_e64 v27, v5, -v10
	v_fmac_f32_e32 v23, v9, v0
	v_fmac_f32_e32 v24, v10, v0
	v_lshlrev_b64 v[13:14], 3, v[13:14]
	s_delay_alu instid0(VALU_DEP_4) | instskip(NEXT) | instid1(VALU_DEP_2)
	v_fmac_f32_e32 v27, v9, v3
	v_add_co_u32 v25, vcc_lo, s2, v13
	s_delay_alu instid0(VALU_DEP_3)
	v_add_co_ci_u32_e32 v26, vcc_lo, s3, v14, vcc_lo
	s_clause 0x1
	global_load_b128 v[13:16], v[25:26], off
	global_load_b128 v[17:20], v[25:26], off offset:16
	v_mul_f32_e32 v8, v5, v9
	s_waitcnt vmcnt(1)
	v_dual_fmac_f32 v6, v10, v2 :: v_dual_fmac_f32 v1, v11, v13
	v_fmac_f32_e32 v23, v11, v15
	s_waitcnt vmcnt(0)
	v_dual_fmac_f32 v8, v10, v3 :: v_dual_fmac_f32 v7, v11, v17
	v_dual_fmac_f32 v22, v12, v13 :: v_dual_fmac_f32 v27, v11, v19
	v_fmac_f32_e32 v24, v12, v15
	v_fmac_f32_e32 v6, v12, v17
	s_delay_alu instid0(VALU_DEP_4)
	v_fmac_f32_e32 v8, v12, v19
	v_fma_f32 v21, -v12, v14, v1
	v_fmac_f32_e32 v22, v11, v14
	v_fma_f32 v23, -v12, v16, v23
	;; [unrolled: 2-line block ×4, first 2 shown]
	v_fmac_f32_e32 v8, v11, v20
	s_clause 0x1
	global_store_b128 v[25:26], v[21:24], off
	global_store_b128 v[25:26], v[5:8], off offset:16
.LBB90_29:
	s_nop 0
	s_sendmsg sendmsg(MSG_DEALLOC_VGPRS)
	s_endpgm
	.section	.rodata,"a",@progbits
	.p2align	6, 0x0
	.amdhsa_kernel _ZN9rocsparseL19gebsrmvn_4xn_kernelILj128ELj5ELj8E21rocsparse_complex_numIfEEEvi20rocsparse_direction_NS_24const_host_device_scalarIT2_EEPKiS8_PKS5_SA_S6_PS5_21rocsparse_index_base_b
		.amdhsa_group_segment_fixed_size 0
		.amdhsa_private_segment_fixed_size 0
		.amdhsa_kernarg_size 72
		.amdhsa_user_sgpr_count 15
		.amdhsa_user_sgpr_dispatch_ptr 0
		.amdhsa_user_sgpr_queue_ptr 0
		.amdhsa_user_sgpr_kernarg_segment_ptr 1
		.amdhsa_user_sgpr_dispatch_id 0
		.amdhsa_user_sgpr_private_segment_size 0
		.amdhsa_wavefront_size32 1
		.amdhsa_uses_dynamic_stack 0
		.amdhsa_enable_private_segment 0
		.amdhsa_system_sgpr_workgroup_id_x 1
		.amdhsa_system_sgpr_workgroup_id_y 0
		.amdhsa_system_sgpr_workgroup_id_z 0
		.amdhsa_system_sgpr_workgroup_info 0
		.amdhsa_system_vgpr_workitem_id 0
		.amdhsa_next_free_vgpr 72
		.amdhsa_next_free_sgpr 16
		.amdhsa_reserve_vcc 1
		.amdhsa_float_round_mode_32 0
		.amdhsa_float_round_mode_16_64 0
		.amdhsa_float_denorm_mode_32 3
		.amdhsa_float_denorm_mode_16_64 3
		.amdhsa_dx10_clamp 1
		.amdhsa_ieee_mode 1
		.amdhsa_fp16_overflow 0
		.amdhsa_workgroup_processor_mode 1
		.amdhsa_memory_ordered 1
		.amdhsa_forward_progress 0
		.amdhsa_shared_vgpr_count 0
		.amdhsa_exception_fp_ieee_invalid_op 0
		.amdhsa_exception_fp_denorm_src 0
		.amdhsa_exception_fp_ieee_div_zero 0
		.amdhsa_exception_fp_ieee_overflow 0
		.amdhsa_exception_fp_ieee_underflow 0
		.amdhsa_exception_fp_ieee_inexact 0
		.amdhsa_exception_int_div_zero 0
	.end_amdhsa_kernel
	.section	.text._ZN9rocsparseL19gebsrmvn_4xn_kernelILj128ELj5ELj8E21rocsparse_complex_numIfEEEvi20rocsparse_direction_NS_24const_host_device_scalarIT2_EEPKiS8_PKS5_SA_S6_PS5_21rocsparse_index_base_b,"axG",@progbits,_ZN9rocsparseL19gebsrmvn_4xn_kernelILj128ELj5ELj8E21rocsparse_complex_numIfEEEvi20rocsparse_direction_NS_24const_host_device_scalarIT2_EEPKiS8_PKS5_SA_S6_PS5_21rocsparse_index_base_b,comdat
.Lfunc_end90:
	.size	_ZN9rocsparseL19gebsrmvn_4xn_kernelILj128ELj5ELj8E21rocsparse_complex_numIfEEEvi20rocsparse_direction_NS_24const_host_device_scalarIT2_EEPKiS8_PKS5_SA_S6_PS5_21rocsparse_index_base_b, .Lfunc_end90-_ZN9rocsparseL19gebsrmvn_4xn_kernelILj128ELj5ELj8E21rocsparse_complex_numIfEEEvi20rocsparse_direction_NS_24const_host_device_scalarIT2_EEPKiS8_PKS5_SA_S6_PS5_21rocsparse_index_base_b
                                        ; -- End function
	.section	.AMDGPU.csdata,"",@progbits
; Kernel info:
; codeLenInByte = 3800
; NumSgprs: 18
; NumVgprs: 72
; ScratchSize: 0
; MemoryBound: 0
; FloatMode: 240
; IeeeMode: 1
; LDSByteSize: 0 bytes/workgroup (compile time only)
; SGPRBlocks: 2
; VGPRBlocks: 8
; NumSGPRsForWavesPerEU: 18
; NumVGPRsForWavesPerEU: 72
; Occupancy: 16
; WaveLimiterHint : 1
; COMPUTE_PGM_RSRC2:SCRATCH_EN: 0
; COMPUTE_PGM_RSRC2:USER_SGPR: 15
; COMPUTE_PGM_RSRC2:TRAP_HANDLER: 0
; COMPUTE_PGM_RSRC2:TGID_X_EN: 1
; COMPUTE_PGM_RSRC2:TGID_Y_EN: 0
; COMPUTE_PGM_RSRC2:TGID_Z_EN: 0
; COMPUTE_PGM_RSRC2:TIDIG_COMP_CNT: 0
	.section	.text._ZN9rocsparseL19gebsrmvn_4xn_kernelILj128ELj5ELj16E21rocsparse_complex_numIfEEEvi20rocsparse_direction_NS_24const_host_device_scalarIT2_EEPKiS8_PKS5_SA_S6_PS5_21rocsparse_index_base_b,"axG",@progbits,_ZN9rocsparseL19gebsrmvn_4xn_kernelILj128ELj5ELj16E21rocsparse_complex_numIfEEEvi20rocsparse_direction_NS_24const_host_device_scalarIT2_EEPKiS8_PKS5_SA_S6_PS5_21rocsparse_index_base_b,comdat
	.globl	_ZN9rocsparseL19gebsrmvn_4xn_kernelILj128ELj5ELj16E21rocsparse_complex_numIfEEEvi20rocsparse_direction_NS_24const_host_device_scalarIT2_EEPKiS8_PKS5_SA_S6_PS5_21rocsparse_index_base_b ; -- Begin function _ZN9rocsparseL19gebsrmvn_4xn_kernelILj128ELj5ELj16E21rocsparse_complex_numIfEEEvi20rocsparse_direction_NS_24const_host_device_scalarIT2_EEPKiS8_PKS5_SA_S6_PS5_21rocsparse_index_base_b
	.p2align	8
	.type	_ZN9rocsparseL19gebsrmvn_4xn_kernelILj128ELj5ELj16E21rocsparse_complex_numIfEEEvi20rocsparse_direction_NS_24const_host_device_scalarIT2_EEPKiS8_PKS5_SA_S6_PS5_21rocsparse_index_base_b,@function
_ZN9rocsparseL19gebsrmvn_4xn_kernelILj128ELj5ELj16E21rocsparse_complex_numIfEEEvi20rocsparse_direction_NS_24const_host_device_scalarIT2_EEPKiS8_PKS5_SA_S6_PS5_21rocsparse_index_base_b: ; @_ZN9rocsparseL19gebsrmvn_4xn_kernelILj128ELj5ELj16E21rocsparse_complex_numIfEEEvi20rocsparse_direction_NS_24const_host_device_scalarIT2_EEPKiS8_PKS5_SA_S6_PS5_21rocsparse_index_base_b
; %bb.0:
	s_clause 0x2
	s_load_b64 s[12:13], s[0:1], 0x40
	s_load_b64 s[4:5], s[0:1], 0x8
	s_load_b64 s[2:3], s[0:1], 0x30
	s_waitcnt lgkmcnt(0)
	s_bitcmp1_b32 s13, 0
	v_mov_b32_e32 v9, s4
	s_cselect_b32 s6, -1, 0
	s_delay_alu instid0(SALU_CYCLE_1)
	s_and_b32 vcc_lo, exec_lo, s6
	s_xor_b32 s6, s6, -1
	s_cbranch_vccz .LBB91_15
; %bb.1:
	v_cndmask_b32_e64 v1, 0, 1, s6
	v_mov_b32_e32 v10, s5
	s_and_not1_b32 vcc_lo, exec_lo, s6
	s_cbranch_vccz .LBB91_16
.LBB91_2:
	s_delay_alu instid0(VALU_DEP_2)
	v_cmp_ne_u32_e32 vcc_lo, 1, v1
	v_mov_b32_e32 v11, s2
	s_cbranch_vccz .LBB91_17
.LBB91_3:
	v_cmp_ne_u32_e32 vcc_lo, 1, v1
	v_mov_b32_e32 v12, s3
	s_cbranch_vccnz .LBB91_5
.LBB91_4:
	v_dual_mov_b32 v1, s2 :: v_dual_mov_b32 v2, s3
	flat_load_b32 v12, v[1:2] offset:4
.LBB91_5:
	s_waitcnt vmcnt(0) lgkmcnt(0)
	v_cmp_eq_f32_e32 vcc_lo, 0, v9
	v_cmp_eq_f32_e64 s2, 0, v10
	s_delay_alu instid0(VALU_DEP_1)
	s_and_b32 s4, vcc_lo, s2
	s_mov_b32 s2, -1
	s_and_saveexec_b32 s3, s4
; %bb.6:
	v_cmp_neq_f32_e32 vcc_lo, 1.0, v11
	v_cmp_neq_f32_e64 s2, 0, v12
	s_delay_alu instid0(VALU_DEP_1) | instskip(NEXT) | instid1(SALU_CYCLE_1)
	s_or_b32 s2, vcc_lo, s2
	s_or_not1_b32 s2, s2, exec_lo
; %bb.7:
	s_or_b32 exec_lo, exec_lo, s3
	s_and_saveexec_b32 s3, s2
	s_cbranch_execz .LBB91_29
; %bb.8:
	s_load_b64 s[2:3], s[0:1], 0x0
	v_lshrrev_b32_e32 v1, 4, v0
	s_delay_alu instid0(VALU_DEP_1) | instskip(SKIP_1) | instid1(VALU_DEP_1)
	v_lshl_or_b32 v1, s15, 3, v1
	s_waitcnt lgkmcnt(0)
	v_cmp_gt_i32_e32 vcc_lo, s2, v1
	s_and_b32 exec_lo, exec_lo, vcc_lo
	s_cbranch_execz .LBB91_29
; %bb.9:
	s_load_b256 s[4:11], s[0:1], 0x10
	v_ashrrev_i32_e32 v2, 31, v1
	v_and_b32_e32 v0, 15, v0
	s_cmp_lg_u32 s3, 0
	s_delay_alu instid0(VALU_DEP_2) | instskip(SKIP_1) | instid1(VALU_DEP_1)
	v_lshlrev_b64 v[2:3], 2, v[1:2]
	s_waitcnt lgkmcnt(0)
	v_add_co_u32 v2, vcc_lo, s4, v2
	s_delay_alu instid0(VALU_DEP_2) | instskip(SKIP_4) | instid1(VALU_DEP_2)
	v_add_co_ci_u32_e32 v3, vcc_lo, s5, v3, vcc_lo
	global_load_b64 v[2:3], v[2:3], off
	s_waitcnt vmcnt(0)
	v_subrev_nc_u32_e32 v2, s12, v2
	v_subrev_nc_u32_e32 v17, s12, v3
	v_add_nc_u32_e32 v2, v2, v0
	s_delay_alu instid0(VALU_DEP_1)
	v_cmp_lt_i32_e64 s2, v2, v17
	s_cbranch_scc0 .LBB91_18
; %bb.10:
	v_dual_mov_b32 v13, 0 :: v_dual_mov_b32 v18, 0
	v_dual_mov_b32 v19, 0 :: v_dual_mov_b32 v14, 0
	;; [unrolled: 1-line block ×4, first 2 shown]
	s_mov_b32 s3, 0
	s_and_saveexec_b32 s4, s2
	s_cbranch_execz .LBB91_14
; %bb.11:
	v_mad_u64_u32 v[3:4], null, v2, 20, 16
	v_dual_mov_b32 v6, 0 :: v_dual_mov_b32 v7, v2
	v_dual_mov_b32 v13, 0 :: v_dual_mov_b32 v18, 0
	;; [unrolled: 1-line block ×5, first 2 shown]
	s_mov_b32 s5, 0
.LBB91_12:                              ; =>This Inner Loop Header: Depth=1
	v_ashrrev_i32_e32 v8, 31, v7
	s_delay_alu instid0(VALU_DEP_1) | instskip(NEXT) | instid1(VALU_DEP_1)
	v_lshlrev_b64 v[4:5], 2, v[7:8]
	v_add_co_u32 v4, vcc_lo, s6, v4
	s_delay_alu instid0(VALU_DEP_2) | instskip(SKIP_2) | instid1(VALU_DEP_1)
	v_add_co_ci_u32_e32 v5, vcc_lo, s7, v5, vcc_lo
	global_load_b32 v8, v[4:5], off
	v_dual_mov_b32 v4, v6 :: v_dual_add_nc_u32 v5, -16, v3
	v_lshlrev_b64 v[22:23], 3, v[5:6]
	v_add_nc_u32_e32 v5, -12, v3
	s_delay_alu instid0(VALU_DEP_3) | instskip(NEXT) | instid1(VALU_DEP_2)
	v_lshlrev_b64 v[24:25], 3, v[3:4]
	v_lshlrev_b64 v[4:5], 3, v[5:6]
	s_delay_alu instid0(VALU_DEP_4) | instskip(SKIP_1) | instid1(VALU_DEP_4)
	v_add_co_u32 v26, vcc_lo, s8, v22
	v_add_co_ci_u32_e32 v27, vcc_lo, s9, v23, vcc_lo
	v_add_co_u32 v34, vcc_lo, s8, v24
	v_add_co_ci_u32_e32 v35, vcc_lo, s9, v25, vcc_lo
	;; [unrolled: 2-line block ×3, first 2 shown]
	s_clause 0x5
	global_load_b128 v[22:25], v[26:27], off offset:16
	global_load_b128 v[26:29], v[26:27], off
	global_load_b128 v[30:33], v[34:35], off offset:16
	global_load_b128 v[34:37], v[34:35], off
	;; [unrolled: 2-line block ×3, first 2 shown]
	v_mov_b32_e32 v55, v6
	s_waitcnt vmcnt(6)
	v_subrev_nc_u32_e32 v4, s12, v8
	s_delay_alu instid0(VALU_DEP_1) | instskip(NEXT) | instid1(VALU_DEP_1)
	v_lshl_add_u32 v54, v4, 2, v4
	v_lshlrev_b64 v[46:47], 3, v[54:55]
	s_delay_alu instid0(VALU_DEP_1) | instskip(NEXT) | instid1(VALU_DEP_2)
	v_add_co_u32 v46, vcc_lo, s10, v46
	v_add_co_ci_u32_e32 v47, vcc_lo, s11, v47, vcc_lo
	global_load_b64 v[62:63], v[46:47], off
	s_waitcnt vmcnt(0)
	v_dual_fmac_f32 v14, v25, v62 :: v_dual_add_nc_u32 v7, 16, v7
	v_fmac_f32_e32 v16, v29, v62
	v_add_nc_u32_e32 v5, 1, v54
	v_fmac_f32_e32 v18, v26, v62
	v_fmac_f32_e32 v20, v22, v62
	;; [unrolled: 1-line block ×4, first 2 shown]
	v_lshlrev_b64 v[48:49], 3, v[5:6]
	v_add_nc_u32_e32 v5, -8, v3
	v_fma_f32 v8, -v27, v63, v18
	v_fma_f32 v20, -v23, v63, v20
	s_delay_alu instid0(VALU_DEP_3) | instskip(SKIP_3) | instid1(VALU_DEP_3)
	v_lshlrev_b64 v[50:51], 3, v[5:6]
	v_add_nc_u32_e32 v5, 2, v54
	v_add_co_u32 v46, vcc_lo, s10, v48
	v_add_co_ci_u32_e32 v47, vcc_lo, s11, v49, vcc_lo
	v_lshlrev_b64 v[48:49], 3, v[5:6]
	v_add_co_u32 v50, vcc_lo, s8, v50
	global_load_b64 v[64:65], v[46:47], off
	v_add_co_ci_u32_e32 v51, vcc_lo, s9, v51, vcc_lo
	v_add_co_u32 v57, vcc_lo, s10, v48
	v_add_co_ci_u32_e32 v58, vcc_lo, s11, v49, vcc_lo
	s_clause 0x1
	global_load_b128 v[46:49], v[50:51], off offset:16
	global_load_b128 v[50:53], v[50:51], off
	v_add_nc_u32_e32 v5, -4, v3
	v_fmac_f32_e32 v13, v27, v62
	global_load_b64 v[66:67], v[57:58], off
	s_waitcnt vmcnt(3)
	v_dual_fmac_f32 v20, v38, v64 :: v_dual_add_nc_u32 v3, 0x140, v3
	v_fmac_f32_e32 v8, v42, v64
	v_dual_fmac_f32 v14, v41, v64 :: v_dual_fmac_f32 v13, v26, v63
	v_lshlrev_b64 v[55:56], 3, v[5:6]
	s_delay_alu instid0(VALU_DEP_4) | instskip(NEXT) | instid1(VALU_DEP_4)
	v_fma_f32 v20, -v39, v65, v20
	v_fma_f32 v8, -v43, v65, v8
	s_delay_alu instid0(VALU_DEP_4)
	v_dual_fmac_f32 v14, v40, v65 :: v_dual_fmac_f32 v13, v43, v64
	v_fmac_f32_e32 v16, v45, v64
	v_add_co_u32 v68, vcc_lo, s8, v55
	s_waitcnt vmcnt(0)
	v_fmac_f32_e32 v8, v50, v66
	v_add_co_ci_u32_e32 v69, vcc_lo, s9, v56, vcc_lo
	v_dual_fmac_f32 v15, v23, v62 :: v_dual_fmac_f32 v16, v44, v65
	s_delay_alu instid0(VALU_DEP_3) | instskip(SKIP_2) | instid1(VALU_DEP_4)
	v_fma_f32 v8, -v51, v67, v8
	v_fmac_f32_e32 v21, v28, v62
	v_dual_fmac_f32 v13, v42, v65 :: v_dual_fmac_f32 v14, v49, v66
	v_fmac_f32_e32 v16, v53, v66
	v_fmac_f32_e32 v20, v46, v66
	s_delay_alu instid0(VALU_DEP_4) | instskip(SKIP_3) | instid1(VALU_DEP_4)
	v_fma_f32 v18, -v29, v63, v21
	v_add_nc_u32_e32 v5, 3, v54
	v_dual_fmac_f32 v13, v51, v66 :: v_dual_fmac_f32 v14, v48, v67
	v_fmac_f32_e32 v16, v52, v67
	v_fmac_f32_e32 v18, v44, v64
	s_delay_alu instid0(VALU_DEP_4) | instskip(SKIP_2) | instid1(VALU_DEP_4)
	v_lshlrev_b64 v[59:60], 3, v[5:6]
	v_add_nc_u32_e32 v5, 4, v54
	v_fma_f32 v20, -v47, v67, v20
	v_fma_f32 v18, -v45, v65, v18
	v_fmac_f32_e32 v15, v22, v63
	v_add_co_u32 v70, vcc_lo, s10, v59
	v_add_co_ci_u32_e32 v71, vcc_lo, s11, v60, vcc_lo
	s_delay_alu instid0(VALU_DEP_4)
	v_fmac_f32_e32 v18, v52, v66
	s_clause 0x1
	global_load_b128 v[54:57], v[68:69], off offset:16
	global_load_b128 v[58:61], v[68:69], off
	global_load_b64 v[68:69], v[70:71], off
	v_lshlrev_b64 v[4:5], 3, v[5:6]
	v_fmac_f32_e32 v15, v39, v64
	v_fmac_f32_e32 v19, v24, v62
	;; [unrolled: 1-line block ×3, first 2 shown]
	v_fma_f32 v18, -v53, v67, v18
	v_add_co_u32 v4, vcc_lo, s10, v4
	v_add_co_ci_u32_e32 v5, vcc_lo, s11, v5, vcc_lo
	v_fmac_f32_e32 v15, v38, v65
	v_cmp_ge_i32_e32 vcc_lo, v7, v17
	global_load_b64 v[4:5], v[4:5], off
	v_fmac_f32_e32 v15, v47, v66
	s_or_b32 s5, vcc_lo, s5
	s_waitcnt vmcnt(1)
	v_fmac_f32_e32 v18, v60, v68
	v_fmac_f32_e32 v16, v61, v68
	v_fma_f32 v19, -v25, v63, v19
	v_dual_fmac_f32 v15, v46, v67 :: v_dual_fmac_f32 v14, v57, v68
	s_delay_alu instid0(VALU_DEP_3) | instskip(NEXT) | instid1(VALU_DEP_3)
	v_dual_fmac_f32 v13, v59, v68 :: v_dual_fmac_f32 v16, v60, v69
	v_fmac_f32_e32 v19, v40, v64
	v_fmac_f32_e32 v20, v54, v68
	v_fmac_f32_e32 v8, v58, v68
	v_fmac_f32_e32 v14, v56, v69
	v_fmac_f32_e32 v13, v58, v69
	v_fma_f32 v19, -v41, v65, v19
	v_fma_f32 v21, -v61, v69, v18
	s_waitcnt vmcnt(0)
	v_fmac_f32_e32 v16, v37, v4
	v_fmac_f32_e32 v15, v55, v68
	v_fma_f32 v8, -v59, v69, v8
	v_fmac_f32_e32 v19, v48, v66
	v_fma_f32 v20, -v55, v69, v20
	v_fmac_f32_e32 v16, v36, v5
	v_dual_fmac_f32 v15, v54, v69 :: v_dual_fmac_f32 v14, v33, v4
	s_delay_alu instid0(VALU_DEP_4)
	v_fma_f32 v19, -v49, v67, v19
	v_fmac_f32_e32 v8, v34, v4
	v_fmac_f32_e32 v13, v35, v4
	;; [unrolled: 1-line block ×7, first 2 shown]
	v_fma_f32 v18, -v35, v5, v8
	v_fmac_f32_e32 v13, v34, v5
	v_fma_f32 v19, -v57, v69, v19
	v_fma_f32 v21, -v37, v5, v21
	v_fma_f32 v20, -v31, v5, v20
	v_fmac_f32_e32 v15, v30, v5
	s_delay_alu instid0(VALU_DEP_4) | instskip(NEXT) | instid1(VALU_DEP_1)
	v_fmac_f32_e32 v19, v32, v4
	v_fma_f32 v19, -v33, v5, v19
	s_and_not1_b32 exec_lo, exec_lo, s5
	s_cbranch_execnz .LBB91_12
; %bb.13:
	s_or_b32 exec_lo, exec_lo, s5
.LBB91_14:
	s_delay_alu instid0(SALU_CYCLE_1) | instskip(NEXT) | instid1(SALU_CYCLE_1)
	s_or_b32 exec_lo, exec_lo, s4
	s_and_not1_b32 vcc_lo, exec_lo, s3
	s_cbranch_vccz .LBB91_19
	s_branch .LBB91_24
.LBB91_15:
	v_dual_mov_b32 v1, s4 :: v_dual_mov_b32 v2, s5
	flat_load_b32 v9, v[1:2]
	v_cndmask_b32_e64 v1, 0, 1, s6
	v_mov_b32_e32 v10, s5
	s_and_not1_b32 vcc_lo, exec_lo, s6
	s_cbranch_vccnz .LBB91_2
.LBB91_16:
	v_dual_mov_b32 v2, s4 :: v_dual_mov_b32 v3, s5
	flat_load_b32 v10, v[2:3] offset:4
	v_cmp_ne_u32_e32 vcc_lo, 1, v1
	v_mov_b32_e32 v11, s2
	s_cbranch_vccnz .LBB91_3
.LBB91_17:
	v_dual_mov_b32 v2, s2 :: v_dual_mov_b32 v3, s3
	flat_load_b32 v11, v[2:3]
	v_cmp_ne_u32_e32 vcc_lo, 1, v1
	v_mov_b32_e32 v12, s3
	s_cbranch_vccz .LBB91_4
	s_branch .LBB91_5
.LBB91_18:
                                        ; implicit-def: $vgpr13
                                        ; implicit-def: $vgpr18
                                        ; implicit-def: $vgpr19
                                        ; implicit-def: $vgpr14
                                        ; implicit-def: $vgpr20
                                        ; implicit-def: $vgpr15
                                        ; implicit-def: $vgpr21
                                        ; implicit-def: $vgpr16
.LBB91_19:
	v_dual_mov_b32 v13, 0 :: v_dual_mov_b32 v18, 0
	v_dual_mov_b32 v19, 0 :: v_dual_mov_b32 v14, 0
	;; [unrolled: 1-line block ×4, first 2 shown]
	s_and_saveexec_b32 s3, s2
	s_cbranch_execz .LBB91_23
; %bb.20:
	v_mad_u64_u32 v[4:5], null, v2, 20, 19
	v_dual_mov_b32 v7, 0 :: v_dual_mov_b32 v18, 0
	v_dual_mov_b32 v13, 0 :: v_dual_mov_b32 v14, 0
	;; [unrolled: 1-line block ×4, first 2 shown]
	v_mov_b32_e32 v21, 0
	s_mov_b32 s2, 0
.LBB91_21:                              ; =>This Inner Loop Header: Depth=1
	v_ashrrev_i32_e32 v3, 31, v2
	v_dual_mov_b32 v31, v7 :: v_dual_add_nc_u32 v22, -14, v4
	v_dual_mov_b32 v23, v7 :: v_dual_add_nc_u32 v24, -9, v4
	s_delay_alu instid0(VALU_DEP_3) | instskip(SKIP_1) | instid1(VALU_DEP_3)
	v_lshlrev_b64 v[5:6], 2, v[2:3]
	v_dual_mov_b32 v25, v7 :: v_dual_add_nc_u32 v26, -4, v4
	v_lshlrev_b64 v[22:23], 3, v[22:23]
	s_delay_alu instid0(VALU_DEP_3) | instskip(NEXT) | instid1(VALU_DEP_4)
	v_add_co_u32 v5, vcc_lo, s6, v5
	v_add_co_ci_u32_e32 v6, vcc_lo, s7, v6, vcc_lo
	s_delay_alu instid0(VALU_DEP_4) | instskip(SKIP_3) | instid1(VALU_DEP_2)
	v_lshlrev_b64 v[24:25], 3, v[24:25]
	global_load_b32 v3, v[5:6], off
	v_subrev_nc_u32_e32 v6, 19, v4
	v_mov_b32_e32 v5, v7
	v_lshlrev_b64 v[28:29], 3, v[6:7]
	s_delay_alu instid0(VALU_DEP_2) | instskip(NEXT) | instid1(VALU_DEP_2)
	v_lshlrev_b64 v[5:6], 3, v[4:5]
	v_add_co_u32 v28, vcc_lo, s8, v28
	s_delay_alu instid0(VALU_DEP_3)
	v_add_co_ci_u32_e32 v29, vcc_lo, s9, v29, vcc_lo
	v_add_co_u32 v32, vcc_lo, s8, v22
	v_add_co_ci_u32_e32 v33, vcc_lo, s9, v23, vcc_lo
	v_add_co_u32 v34, vcc_lo, s8, v24
	v_add_co_ci_u32_e32 v35, vcc_lo, s9, v25, vcc_lo
	s_waitcnt vmcnt(0)
	v_subrev_nc_u32_e32 v3, s12, v3
	s_delay_alu instid0(VALU_DEP_1) | instskip(SKIP_1) | instid1(VALU_DEP_2)
	v_lshl_add_u32 v30, v3, 2, v3
	v_mov_b32_e32 v27, v7
	v_lshlrev_b64 v[40:41], 3, v[30:31]
	s_delay_alu instid0(VALU_DEP_2) | instskip(NEXT) | instid1(VALU_DEP_1)
	v_lshlrev_b64 v[26:27], 3, v[26:27]
	v_add_co_u32 v36, vcc_lo, s8, v26
	s_delay_alu instid0(VALU_DEP_2)
	v_add_co_ci_u32_e32 v37, vcc_lo, s9, v27, vcc_lo
	v_add_co_u32 v38, vcc_lo, s8, v5
	v_add_co_ci_u32_e32 v39, vcc_lo, s9, v6, vcc_lo
	v_add_nc_u32_e32 v6, 1, v30
	v_add_co_u32 v40, vcc_lo, s10, v40
	v_add_co_ci_u32_e32 v41, vcc_lo, s11, v41, vcc_lo
	s_clause 0x4
	global_load_b128 v[22:25], v[28:29], off offset:16
	global_load_b128 v[26:29], v[28:29], off
	global_load_b64 v[32:33], v[32:33], off
	global_load_b64 v[34:35], v[34:35], off
	;; [unrolled: 1-line block ×3, first 2 shown]
	v_lshlrev_b64 v[42:43], 3, v[6:7]
	v_add_nc_u32_e32 v6, -13, v4
	global_load_b64 v[40:41], v[40:41], off
	v_add_co_u32 v42, vcc_lo, s10, v42
	v_add_co_ci_u32_e32 v43, vcc_lo, s11, v43, vcc_lo
	v_lshlrev_b64 v[44:45], 3, v[6:7]
	global_load_b64 v[42:43], v[42:43], off
	v_add_nc_u32_e32 v2, 16, v2
	v_add_co_u32 v44, vcc_lo, s8, v44
	v_add_co_ci_u32_e32 v45, vcc_lo, s9, v45, vcc_lo
	global_load_b64 v[44:45], v[44:45], off
	s_waitcnt vmcnt(2)
	v_fmac_f32_e32 v13, v27, v40
	v_add_nc_u32_e32 v6, -8, v4
	v_fmac_f32_e32 v15, v35, v40
	v_fmac_f32_e32 v21, v32, v40
	;; [unrolled: 1-line block ×4, first 2 shown]
	v_lshlrev_b64 v[46:47], 3, v[6:7]
	v_dual_fmac_f32 v15, v34, v41 :: v_dual_add_nc_u32 v6, -3, v4
	v_fma_f32 v8, -v33, v41, v21
	v_fma_f32 v19, -v37, v41, v19
	s_waitcnt vmcnt(1)
	v_fmac_f32_e32 v13, v29, v42
	v_lshlrev_b64 v[48:49], 3, v[6:7]
	v_add_nc_u32_e32 v6, 2, v30
	v_add_co_u32 v46, vcc_lo, s8, v46
	v_add_co_ci_u32_e32 v47, vcc_lo, s9, v47, vcc_lo
	s_delay_alu instid0(VALU_DEP_3)
	v_lshlrev_b64 v[50:51], 3, v[6:7]
	v_add_co_u32 v48, vcc_lo, s8, v48
	v_add_co_ci_u32_e32 v49, vcc_lo, s9, v49, vcc_lo
	global_load_b64 v[46:47], v[46:47], off
	v_add_co_u32 v50, vcc_lo, s10, v50
	global_load_b64 v[48:49], v[48:49], off
	v_add_co_ci_u32_e32 v51, vcc_lo, s11, v51, vcc_lo
	v_fmac_f32_e32 v13, v28, v43
	global_load_b64 v[50:51], v[50:51], off
	v_fmac_f32_e32 v18, v26, v40
	s_delay_alu instid0(VALU_DEP_1) | instskip(NEXT) | instid1(VALU_DEP_1)
	v_fma_f32 v3, -v27, v41, v18
	v_dual_fmac_f32 v3, v28, v42 :: v_dual_add_nc_u32 v6, -12, v4
	s_delay_alu instid0(VALU_DEP_1) | instskip(SKIP_1) | instid1(VALU_DEP_3)
	v_lshlrev_b64 v[52:53], 3, v[6:7]
	v_add_nc_u32_e32 v6, -7, v4
	v_fma_f32 v3, -v29, v43, v3
	s_delay_alu instid0(VALU_DEP_2) | instskip(SKIP_3) | instid1(VALU_DEP_3)
	v_lshlrev_b64 v[54:55], 3, v[6:7]
	v_add_nc_u32_e32 v6, -2, v4
	v_add_co_u32 v52, vcc_lo, s8, v52
	v_add_co_ci_u32_e32 v53, vcc_lo, s9, v53, vcc_lo
	v_lshlrev_b64 v[56:57], 3, v[6:7]
	v_add_co_u32 v54, vcc_lo, s8, v54
	v_add_co_ci_u32_e32 v55, vcc_lo, s9, v55, vcc_lo
	global_load_b64 v[52:53], v[52:53], off
	v_add_co_u32 v56, vcc_lo, s8, v56
	global_load_b64 v[54:55], v[54:55], off
	v_add_co_ci_u32_e32 v57, vcc_lo, s9, v57, vcc_lo
	v_add_nc_u32_e32 v6, 3, v30
	global_load_b64 v[56:57], v[56:57], off
	v_lshlrev_b64 v[58:59], 3, v[6:7]
	v_add_nc_u32_e32 v6, -11, v4
	s_delay_alu instid0(VALU_DEP_2) | instskip(NEXT) | instid1(VALU_DEP_3)
	v_add_co_u32 v58, vcc_lo, s10, v58
	v_add_co_ci_u32_e32 v59, vcc_lo, s11, v59, vcc_lo
	global_load_b64 v[58:59], v[58:59], off
	s_waitcnt vmcnt(6)
	v_fmac_f32_e32 v15, v47, v42
	v_lshlrev_b64 v[60:61], 3, v[6:7]
	s_waitcnt vmcnt(5)
	v_dual_fmac_f32 v19, v48, v42 :: v_dual_add_nc_u32 v6, -6, v4
	s_delay_alu instid0(VALU_DEP_3) | instskip(NEXT) | instid1(VALU_DEP_2)
	v_fmac_f32_e32 v15, v46, v43
	v_lshlrev_b64 v[62:63], 3, v[6:7]
	v_add_nc_u32_e32 v6, -1, v4
	v_add_co_u32 v60, vcc_lo, s8, v60
	v_add_co_ci_u32_e32 v61, vcc_lo, s9, v61, vcc_lo
	s_delay_alu instid0(VALU_DEP_3) | instskip(SKIP_4) | instid1(VALU_DEP_3)
	v_lshlrev_b64 v[64:65], 3, v[6:7]
	s_waitcnt vmcnt(4)
	v_dual_fmac_f32 v3, v22, v50 :: v_dual_add_nc_u32 v6, -15, v4
	v_add_co_u32 v62, vcc_lo, s8, v62
	v_fmac_f32_e32 v13, v23, v50
	v_lshlrev_b64 v[66:67], 3, v[6:7]
	v_add_nc_u32_e32 v6, 4, v30
	v_add_co_ci_u32_e32 v63, vcc_lo, s9, v63, vcc_lo
	s_delay_alu instid0(VALU_DEP_4)
	v_fmac_f32_e32 v13, v22, v51
	v_add_co_u32 v30, vcc_lo, s8, v64
	v_add_co_ci_u32_e32 v31, vcc_lo, s9, v65, vcc_lo
	v_lshlrev_b64 v[64:65], 3, v[6:7]
	v_add_nc_u32_e32 v6, -10, v4
	v_add_co_u32 v66, vcc_lo, s8, v66
	v_add_co_ci_u32_e32 v67, vcc_lo, s9, v67, vcc_lo
	s_delay_alu instid0(VALU_DEP_4)
	v_add_co_u32 v64, vcc_lo, s10, v64
	v_fma_f32 v19, -v49, v43, v19
	v_add_co_ci_u32_e32 v65, vcc_lo, s11, v65, vcc_lo
	s_clause 0x1
	global_load_b64 v[60:61], v[60:61], off
	global_load_b64 v[62:63], v[62:63], off
	s_waitcnt vmcnt(4)
	v_fmac_f32_e32 v15, v55, v50
	v_lshlrev_b64 v[68:69], 3, v[6:7]
	v_add_nc_u32_e32 v6, -5, v4
	global_load_b64 v[66:67], v[66:67], off
	global_load_b64 v[64:65], v[64:65], off
	;; [unrolled: 1-line block ×3, first 2 shown]
	s_waitcnt vmcnt(6)
	v_fmac_f32_e32 v19, v56, v50
	v_lshlrev_b64 v[5:6], 3, v[6:7]
	v_add_co_u32 v68, vcc_lo, s8, v68
	v_add_co_ci_u32_e32 v69, vcc_lo, s9, v69, vcc_lo
	v_fmac_f32_e32 v20, v34, v40
	s_delay_alu instid0(VALU_DEP_4)
	v_add_co_u32 v5, vcc_lo, s8, v5
	v_add_co_ci_u32_e32 v6, vcc_lo, s9, v6, vcc_lo
	s_clause 0x2
	global_load_b64 v[68:69], v[68:69], off
	global_load_b64 v[5:6], v[5:6], off
	;; [unrolled: 1-line block ×3, first 2 shown]
	v_fma_f32 v3, -v23, v51, v3
	s_waitcnt vmcnt(8)
	v_fmac_f32_e32 v13, v25, v58
	v_fmac_f32_e32 v16, v33, v40
	;; [unrolled: 1-line block ×3, first 2 shown]
	v_dual_fmac_f32 v15, v54, v51 :: v_dual_add_nc_u32 v4, 0x140, v4
	v_fma_f32 v18, -v35, v41, v20
	v_fmac_f32_e32 v3, v24, v58
	v_fmac_f32_e32 v16, v32, v41
	;; [unrolled: 1-line block ×5, first 2 shown]
	v_fma_f32 v19, -v57, v51, v19
	v_fma_f32 v3, -v25, v59, v3
	v_fmac_f32_e32 v16, v45, v42
	v_cmp_ge_i32_e32 vcc_lo, v2, v17
	s_or_b32 s2, vcc_lo, s2
	s_waitcnt vmcnt(6)
	v_fmac_f32_e32 v15, v63, v58
	s_delay_alu instid0(VALU_DEP_1) | instskip(SKIP_2) | instid1(VALU_DEP_2)
	v_dual_fmac_f32 v8, v44, v42 :: v_dual_fmac_f32 v15, v62, v59
	s_waitcnt vmcnt(4)
	v_dual_fmac_f32 v13, v67, v64 :: v_dual_fmac_f32 v14, v49, v42
	v_fma_f32 v8, -v45, v43, v8
	v_fma_f32 v18, -v47, v43, v18
	s_waitcnt vmcnt(3)
	v_fmac_f32_e32 v19, v30, v58
	v_dual_fmac_f32 v13, v66, v65 :: v_dual_fmac_f32 v14, v48, v43
	v_dual_fmac_f32 v3, v66, v64 :: v_dual_fmac_f32 v16, v44, v43
	v_fmac_f32_e32 v18, v54, v50
	s_delay_alu instid0(VALU_DEP_4)
	v_fma_f32 v19, -v31, v59, v19
	v_fmac_f32_e32 v8, v52, v50
	s_waitcnt vmcnt(1)
	v_dual_fmac_f32 v16, v53, v50 :: v_dual_fmac_f32 v15, v6, v64
	s_waitcnt vmcnt(0)
	v_dual_fmac_f32 v19, v38, v64 :: v_dual_fmac_f32 v14, v57, v50
	v_fma_f32 v8, -v53, v51, v8
	s_delay_alu instid0(VALU_DEP_3) | instskip(SKIP_1) | instid1(VALU_DEP_4)
	v_dual_fmac_f32 v16, v52, v51 :: v_dual_fmac_f32 v15, v5, v65
	v_fma_f32 v18, -v55, v51, v18
	v_fmac_f32_e32 v14, v56, v51
	s_delay_alu instid0(VALU_DEP_4) | instskip(NEXT) | instid1(VALU_DEP_4)
	v_fmac_f32_e32 v8, v60, v58
	v_fmac_f32_e32 v16, v61, v58
	v_fma_f32 v19, -v39, v65, v19
	v_fmac_f32_e32 v18, v62, v58
	v_fmac_f32_e32 v14, v31, v58
	v_fma_f32 v8, -v61, v59, v8
	v_fmac_f32_e32 v16, v60, v59
	s_delay_alu instid0(VALU_DEP_4) | instskip(NEXT) | instid1(VALU_DEP_4)
	v_fma_f32 v20, -v63, v59, v18
	v_fmac_f32_e32 v14, v30, v59
	s_delay_alu instid0(VALU_DEP_4) | instskip(NEXT) | instid1(VALU_DEP_4)
	v_fmac_f32_e32 v8, v68, v64
	v_fmac_f32_e32 v16, v69, v64
	v_fma_f32 v18, -v67, v65, v3
	v_fmac_f32_e32 v20, v5, v64
	v_fmac_f32_e32 v14, v39, v64
	v_fma_f32 v21, -v69, v65, v8
	v_fmac_f32_e32 v16, v68, v65
	s_delay_alu instid0(VALU_DEP_4) | instskip(NEXT) | instid1(VALU_DEP_4)
	v_fma_f32 v20, -v6, v65, v20
	v_fmac_f32_e32 v14, v38, v65
	s_and_not1_b32 exec_lo, exec_lo, s2
	s_cbranch_execnz .LBB91_21
; %bb.22:
	s_or_b32 exec_lo, exec_lo, s2
.LBB91_23:
	s_delay_alu instid0(SALU_CYCLE_1)
	s_or_b32 exec_lo, exec_lo, s3
.LBB91_24:
	v_mbcnt_lo_u32_b32 v2, -1, 0
	s_delay_alu instid0(VALU_DEP_1) | instskip(SKIP_1) | instid1(VALU_DEP_2)
	v_xor_b32_e32 v3, 8, v2
	v_xor_b32_e32 v23, 4, v2
	v_cmp_gt_i32_e32 vcc_lo, 32, v3
	v_cndmask_b32_e32 v3, v2, v3, vcc_lo
	s_delay_alu instid0(VALU_DEP_3) | instskip(NEXT) | instid1(VALU_DEP_2)
	v_cmp_gt_i32_e32 vcc_lo, 32, v23
	v_lshlrev_b32_e32 v3, 2, v3
	ds_bpermute_b32 v4, v3, v18
	s_waitcnt lgkmcnt(0)
	v_add_f32_e32 v4, v18, v4
	ds_bpermute_b32 v8, v3, v20
	ds_bpermute_b32 v5, v3, v13
	;; [unrolled: 1-line block ×7, first 2 shown]
	s_waitcnt lgkmcnt(6)
	v_dual_cndmask_b32 v23, v2, v23 :: v_dual_add_f32 v8, v20, v8
	s_waitcnt lgkmcnt(4)
	s_delay_alu instid0(VALU_DEP_1)
	v_dual_add_f32 v6, v21, v6 :: v_dual_lshlrev_b32 v23, 2, v23
	s_waitcnt lgkmcnt(3)
	v_add_f32_e32 v7, v16, v7
	s_waitcnt lgkmcnt(0)
	v_add_f32_e32 v3, v14, v3
	ds_bpermute_b32 v14, v23, v4
	s_waitcnt lgkmcnt(0)
	v_add_f32_e32 v4, v4, v14
	ds_bpermute_b32 v18, v23, v7
	v_add_f32_e32 v5, v13, v5
	v_add_f32_e32 v13, v15, v17
	;; [unrolled: 1-line block ×3, first 2 shown]
	ds_bpermute_b32 v17, v23, v6
	ds_bpermute_b32 v19, v23, v8
	;; [unrolled: 1-line block ×4, first 2 shown]
	s_waitcnt lgkmcnt(3)
	v_add_f32_e32 v14, v6, v17
	s_waitcnt lgkmcnt(2)
	v_add_f32_e32 v8, v8, v19
	ds_bpermute_b32 v20, v23, v13
	s_waitcnt lgkmcnt(2)
	v_dual_add_f32 v5, v5, v16 :: v_dual_add_f32 v16, v7, v18
	s_waitcnt lgkmcnt(1)
	v_add_f32_e32 v18, v15, v21
	ds_bpermute_b32 v22, v23, v3
	v_xor_b32_e32 v23, 2, v2
	s_delay_alu instid0(VALU_DEP_1) | instskip(SKIP_1) | instid1(VALU_DEP_1)
	v_cmp_gt_i32_e32 vcc_lo, 32, v23
	v_cndmask_b32_e32 v23, v2, v23, vcc_lo
	v_lshlrev_b32_e32 v23, 2, v23
	s_waitcnt lgkmcnt(0)
	v_add_f32_e32 v19, v3, v22
	ds_bpermute_b32 v7, v23, v14
	ds_bpermute_b32 v15, v23, v8
	v_add_f32_e32 v17, v13, v20
	ds_bpermute_b32 v3, v23, v4
	ds_bpermute_b32 v6, v23, v5
	;; [unrolled: 1-line block ×5, first 2 shown]
	s_waitcnt lgkmcnt(6)
	v_add_f32_e32 v7, v14, v7
	s_waitcnt lgkmcnt(5)
	v_add_f32_e32 v14, v8, v15
	ds_bpermute_b32 v20, v23, v17
	v_xor_b32_e32 v23, 1, v2
	s_waitcnt lgkmcnt(3)
	v_add_f32_e32 v13, v16, v13
	s_delay_alu instid0(VALU_DEP_2) | instskip(SKIP_2) | instid1(VALU_DEP_2)
	v_cmp_gt_i32_e32 vcc_lo, 32, v23
	v_cndmask_b32_e32 v2, v2, v23, vcc_lo
	v_cmp_eq_u32_e32 vcc_lo, 15, v0
	v_dual_add_f32 v2, v4, v3 :: v_dual_lshlrev_b32 v23, 2, v2
	s_waitcnt lgkmcnt(2)
	v_dual_add_f32 v6, v5, v6 :: v_dual_add_f32 v3, v18, v21
	s_waitcnt lgkmcnt(0)
	v_add_f32_e32 v15, v17, v20
	v_add_f32_e32 v5, v19, v22
	ds_bpermute_b32 v4, v23, v2
	ds_bpermute_b32 v8, v23, v6
	;; [unrolled: 1-line block ×8, first 2 shown]
	s_and_b32 exec_lo, exec_lo, vcc_lo
	s_cbranch_execz .LBB91_29
; %bb.25:
	s_load_b64 s[2:3], s[0:1], 0x38
	v_cmp_eq_f32_e32 vcc_lo, 0, v11
	v_cmp_eq_f32_e64 s0, 0, v12
	s_waitcnt lgkmcnt(0)
	v_add_f32_e32 v4, v2, v4
	v_dual_add_f32 v8, v6, v8 :: v_dual_add_f32 v5, v5, v17
	v_dual_add_f32 v0, v7, v18 :: v_dual_add_f32 v7, v13, v19
	v_add_f32_e32 v2, v14, v20
	v_add_f32_e32 v6, v15, v21
	;; [unrolled: 1-line block ×3, first 2 shown]
	s_and_b32 s0, vcc_lo, s0
	s_delay_alu instid0(SALU_CYCLE_1) | instskip(NEXT) | instid1(SALU_CYCLE_1)
	s_and_saveexec_b32 s1, s0
	s_xor_b32 s0, exec_lo, s1
	s_cbranch_execz .LBB91_27
; %bb.26:
	v_mul_f32_e64 v11, v8, -v10
	v_mul_f32_e32 v12, v8, v9
	v_mul_f32_e64 v13, v7, -v10
	v_mul_f32_e32 v14, v7, v9
	v_mul_f32_e64 v15, v6, -v10
	v_fmac_f32_e32 v11, v9, v4
	v_dual_fmac_f32 v12, v10, v4 :: v_dual_lshlrev_b32 v17, 2, v1
	s_delay_alu instid0(VALU_DEP_3) | instskip(SKIP_1) | instid1(VALU_DEP_3)
	v_dual_mul_f32 v16, v6, v9 :: v_dual_fmac_f32 v15, v9, v2
	v_fmac_f32_e32 v13, v9, v0
	v_ashrrev_i32_e32 v18, 31, v17
                                        ; implicit-def: $vgpr1
                                        ; implicit-def: $vgpr4
                                        ; implicit-def: $vgpr8
	s_delay_alu instid0(VALU_DEP_3) | instskip(NEXT) | instid1(VALU_DEP_2)
	v_fmac_f32_e32 v16, v10, v2
                                        ; implicit-def: $vgpr2
	v_lshlrev_b64 v[6:7], 3, v[17:18]
	v_mul_f32_e64 v17, v5, -v10
	v_mul_f32_e32 v18, v5, v9
	v_fmac_f32_e32 v14, v10, v0
                                        ; implicit-def: $vgpr0
                                        ; implicit-def: $vgpr5
	s_delay_alu instid0(VALU_DEP_3)
	v_fmac_f32_e32 v17, v9, v3
	v_add_co_u32 v6, vcc_lo, s2, v6
	v_add_co_ci_u32_e32 v7, vcc_lo, s3, v7, vcc_lo
	v_fmac_f32_e32 v18, v10, v3
	s_clause 0x1
	global_store_b128 v[6:7], v[11:14], off
	global_store_b128 v[6:7], v[15:18], off offset:16
                                        ; implicit-def: $vgpr9
                                        ; implicit-def: $vgpr10
                                        ; implicit-def: $vgpr11
                                        ; implicit-def: $vgpr12
                                        ; implicit-def: $vgpr7
                                        ; implicit-def: $vgpr6
                                        ; implicit-def: $vgpr3
.LBB91_27:
	s_and_not1_saveexec_b32 s0, s0
	s_cbranch_execz .LBB91_29
; %bb.28:
	v_mul_f32_e32 v22, v8, v9
	v_lshlrev_b32_e32 v13, 2, v1
	v_mul_f32_e64 v1, v8, -v10
	v_mul_f32_e64 v23, v7, -v10
	v_mul_f32_e32 v24, v7, v9
	v_mul_f32_e64 v7, v6, -v10
	s_delay_alu instid0(VALU_DEP_4) | instskip(SKIP_2) | instid1(VALU_DEP_4)
	v_dual_mul_f32 v6, v6, v9 :: v_dual_fmac_f32 v1, v9, v4
	v_fmac_f32_e32 v22, v10, v4
	v_ashrrev_i32_e32 v14, 31, v13
	v_fmac_f32_e32 v7, v9, v2
	v_mul_f32_e64 v27, v5, -v10
	v_fmac_f32_e32 v23, v9, v0
	v_fmac_f32_e32 v24, v10, v0
	v_lshlrev_b64 v[13:14], 3, v[13:14]
	s_delay_alu instid0(VALU_DEP_4) | instskip(NEXT) | instid1(VALU_DEP_2)
	v_fmac_f32_e32 v27, v9, v3
	v_add_co_u32 v25, vcc_lo, s2, v13
	s_delay_alu instid0(VALU_DEP_3)
	v_add_co_ci_u32_e32 v26, vcc_lo, s3, v14, vcc_lo
	s_clause 0x1
	global_load_b128 v[13:16], v[25:26], off
	global_load_b128 v[17:20], v[25:26], off offset:16
	v_mul_f32_e32 v8, v5, v9
	s_waitcnt vmcnt(1)
	v_dual_fmac_f32 v6, v10, v2 :: v_dual_fmac_f32 v1, v11, v13
	v_fmac_f32_e32 v23, v11, v15
	s_waitcnt vmcnt(0)
	v_dual_fmac_f32 v8, v10, v3 :: v_dual_fmac_f32 v7, v11, v17
	v_dual_fmac_f32 v22, v12, v13 :: v_dual_fmac_f32 v27, v11, v19
	v_fmac_f32_e32 v24, v12, v15
	v_fmac_f32_e32 v6, v12, v17
	s_delay_alu instid0(VALU_DEP_4)
	v_fmac_f32_e32 v8, v12, v19
	v_fma_f32 v21, -v12, v14, v1
	v_fmac_f32_e32 v22, v11, v14
	v_fma_f32 v23, -v12, v16, v23
	;; [unrolled: 2-line block ×4, first 2 shown]
	v_fmac_f32_e32 v8, v11, v20
	s_clause 0x1
	global_store_b128 v[25:26], v[21:24], off
	global_store_b128 v[25:26], v[5:8], off offset:16
.LBB91_29:
	s_nop 0
	s_sendmsg sendmsg(MSG_DEALLOC_VGPRS)
	s_endpgm
	.section	.rodata,"a",@progbits
	.p2align	6, 0x0
	.amdhsa_kernel _ZN9rocsparseL19gebsrmvn_4xn_kernelILj128ELj5ELj16E21rocsparse_complex_numIfEEEvi20rocsparse_direction_NS_24const_host_device_scalarIT2_EEPKiS8_PKS5_SA_S6_PS5_21rocsparse_index_base_b
		.amdhsa_group_segment_fixed_size 0
		.amdhsa_private_segment_fixed_size 0
		.amdhsa_kernarg_size 72
		.amdhsa_user_sgpr_count 15
		.amdhsa_user_sgpr_dispatch_ptr 0
		.amdhsa_user_sgpr_queue_ptr 0
		.amdhsa_user_sgpr_kernarg_segment_ptr 1
		.amdhsa_user_sgpr_dispatch_id 0
		.amdhsa_user_sgpr_private_segment_size 0
		.amdhsa_wavefront_size32 1
		.amdhsa_uses_dynamic_stack 0
		.amdhsa_enable_private_segment 0
		.amdhsa_system_sgpr_workgroup_id_x 1
		.amdhsa_system_sgpr_workgroup_id_y 0
		.amdhsa_system_sgpr_workgroup_id_z 0
		.amdhsa_system_sgpr_workgroup_info 0
		.amdhsa_system_vgpr_workitem_id 0
		.amdhsa_next_free_vgpr 72
		.amdhsa_next_free_sgpr 16
		.amdhsa_reserve_vcc 1
		.amdhsa_float_round_mode_32 0
		.amdhsa_float_round_mode_16_64 0
		.amdhsa_float_denorm_mode_32 3
		.amdhsa_float_denorm_mode_16_64 3
		.amdhsa_dx10_clamp 1
		.amdhsa_ieee_mode 1
		.amdhsa_fp16_overflow 0
		.amdhsa_workgroup_processor_mode 1
		.amdhsa_memory_ordered 1
		.amdhsa_forward_progress 0
		.amdhsa_shared_vgpr_count 0
		.amdhsa_exception_fp_ieee_invalid_op 0
		.amdhsa_exception_fp_denorm_src 0
		.amdhsa_exception_fp_ieee_div_zero 0
		.amdhsa_exception_fp_ieee_overflow 0
		.amdhsa_exception_fp_ieee_underflow 0
		.amdhsa_exception_fp_ieee_inexact 0
		.amdhsa_exception_int_div_zero 0
	.end_amdhsa_kernel
	.section	.text._ZN9rocsparseL19gebsrmvn_4xn_kernelILj128ELj5ELj16E21rocsparse_complex_numIfEEEvi20rocsparse_direction_NS_24const_host_device_scalarIT2_EEPKiS8_PKS5_SA_S6_PS5_21rocsparse_index_base_b,"axG",@progbits,_ZN9rocsparseL19gebsrmvn_4xn_kernelILj128ELj5ELj16E21rocsparse_complex_numIfEEEvi20rocsparse_direction_NS_24const_host_device_scalarIT2_EEPKiS8_PKS5_SA_S6_PS5_21rocsparse_index_base_b,comdat
.Lfunc_end91:
	.size	_ZN9rocsparseL19gebsrmvn_4xn_kernelILj128ELj5ELj16E21rocsparse_complex_numIfEEEvi20rocsparse_direction_NS_24const_host_device_scalarIT2_EEPKiS8_PKS5_SA_S6_PS5_21rocsparse_index_base_b, .Lfunc_end91-_ZN9rocsparseL19gebsrmvn_4xn_kernelILj128ELj5ELj16E21rocsparse_complex_numIfEEEvi20rocsparse_direction_NS_24const_host_device_scalarIT2_EEPKiS8_PKS5_SA_S6_PS5_21rocsparse_index_base_b
                                        ; -- End function
	.section	.AMDGPU.csdata,"",@progbits
; Kernel info:
; codeLenInByte = 3944
; NumSgprs: 18
; NumVgprs: 72
; ScratchSize: 0
; MemoryBound: 0
; FloatMode: 240
; IeeeMode: 1
; LDSByteSize: 0 bytes/workgroup (compile time only)
; SGPRBlocks: 2
; VGPRBlocks: 8
; NumSGPRsForWavesPerEU: 18
; NumVGPRsForWavesPerEU: 72
; Occupancy: 16
; WaveLimiterHint : 1
; COMPUTE_PGM_RSRC2:SCRATCH_EN: 0
; COMPUTE_PGM_RSRC2:USER_SGPR: 15
; COMPUTE_PGM_RSRC2:TRAP_HANDLER: 0
; COMPUTE_PGM_RSRC2:TGID_X_EN: 1
; COMPUTE_PGM_RSRC2:TGID_Y_EN: 0
; COMPUTE_PGM_RSRC2:TGID_Z_EN: 0
; COMPUTE_PGM_RSRC2:TIDIG_COMP_CNT: 0
	.section	.text._ZN9rocsparseL19gebsrmvn_4xn_kernelILj128ELj5ELj32E21rocsparse_complex_numIfEEEvi20rocsparse_direction_NS_24const_host_device_scalarIT2_EEPKiS8_PKS5_SA_S6_PS5_21rocsparse_index_base_b,"axG",@progbits,_ZN9rocsparseL19gebsrmvn_4xn_kernelILj128ELj5ELj32E21rocsparse_complex_numIfEEEvi20rocsparse_direction_NS_24const_host_device_scalarIT2_EEPKiS8_PKS5_SA_S6_PS5_21rocsparse_index_base_b,comdat
	.globl	_ZN9rocsparseL19gebsrmvn_4xn_kernelILj128ELj5ELj32E21rocsparse_complex_numIfEEEvi20rocsparse_direction_NS_24const_host_device_scalarIT2_EEPKiS8_PKS5_SA_S6_PS5_21rocsparse_index_base_b ; -- Begin function _ZN9rocsparseL19gebsrmvn_4xn_kernelILj128ELj5ELj32E21rocsparse_complex_numIfEEEvi20rocsparse_direction_NS_24const_host_device_scalarIT2_EEPKiS8_PKS5_SA_S6_PS5_21rocsparse_index_base_b
	.p2align	8
	.type	_ZN9rocsparseL19gebsrmvn_4xn_kernelILj128ELj5ELj32E21rocsparse_complex_numIfEEEvi20rocsparse_direction_NS_24const_host_device_scalarIT2_EEPKiS8_PKS5_SA_S6_PS5_21rocsparse_index_base_b,@function
_ZN9rocsparseL19gebsrmvn_4xn_kernelILj128ELj5ELj32E21rocsparse_complex_numIfEEEvi20rocsparse_direction_NS_24const_host_device_scalarIT2_EEPKiS8_PKS5_SA_S6_PS5_21rocsparse_index_base_b: ; @_ZN9rocsparseL19gebsrmvn_4xn_kernelILj128ELj5ELj32E21rocsparse_complex_numIfEEEvi20rocsparse_direction_NS_24const_host_device_scalarIT2_EEPKiS8_PKS5_SA_S6_PS5_21rocsparse_index_base_b
; %bb.0:
	s_clause 0x2
	s_load_b64 s[12:13], s[0:1], 0x40
	s_load_b64 s[4:5], s[0:1], 0x8
	;; [unrolled: 1-line block ×3, first 2 shown]
	s_waitcnt lgkmcnt(0)
	s_bitcmp1_b32 s13, 0
	v_mov_b32_e32 v9, s4
	s_cselect_b32 s6, -1, 0
	s_delay_alu instid0(SALU_CYCLE_1)
	s_and_b32 vcc_lo, exec_lo, s6
	s_xor_b32 s6, s6, -1
	s_cbranch_vccz .LBB92_15
; %bb.1:
	v_cndmask_b32_e64 v1, 0, 1, s6
	v_mov_b32_e32 v10, s5
	s_and_not1_b32 vcc_lo, exec_lo, s6
	s_cbranch_vccz .LBB92_16
.LBB92_2:
	s_delay_alu instid0(VALU_DEP_2)
	v_cmp_ne_u32_e32 vcc_lo, 1, v1
	v_mov_b32_e32 v11, s2
	s_cbranch_vccz .LBB92_17
.LBB92_3:
	v_cmp_ne_u32_e32 vcc_lo, 1, v1
	v_mov_b32_e32 v12, s3
	s_cbranch_vccnz .LBB92_5
.LBB92_4:
	v_dual_mov_b32 v1, s2 :: v_dual_mov_b32 v2, s3
	flat_load_b32 v12, v[1:2] offset:4
.LBB92_5:
	s_waitcnt vmcnt(0) lgkmcnt(0)
	v_cmp_eq_f32_e32 vcc_lo, 0, v9
	v_cmp_eq_f32_e64 s2, 0, v10
	s_delay_alu instid0(VALU_DEP_1)
	s_and_b32 s4, vcc_lo, s2
	s_mov_b32 s2, -1
	s_and_saveexec_b32 s3, s4
; %bb.6:
	v_cmp_neq_f32_e32 vcc_lo, 1.0, v11
	v_cmp_neq_f32_e64 s2, 0, v12
	s_delay_alu instid0(VALU_DEP_1) | instskip(NEXT) | instid1(SALU_CYCLE_1)
	s_or_b32 s2, vcc_lo, s2
	s_or_not1_b32 s2, s2, exec_lo
; %bb.7:
	s_or_b32 exec_lo, exec_lo, s3
	s_and_saveexec_b32 s3, s2
	s_cbranch_execz .LBB92_29
; %bb.8:
	s_load_b64 s[2:3], s[0:1], 0x0
	v_lshrrev_b32_e32 v1, 5, v0
	s_delay_alu instid0(VALU_DEP_1) | instskip(SKIP_1) | instid1(VALU_DEP_1)
	v_lshl_or_b32 v1, s15, 2, v1
	s_waitcnt lgkmcnt(0)
	v_cmp_gt_i32_e32 vcc_lo, s2, v1
	s_and_b32 exec_lo, exec_lo, vcc_lo
	s_cbranch_execz .LBB92_29
; %bb.9:
	s_load_b256 s[4:11], s[0:1], 0x10
	v_ashrrev_i32_e32 v2, 31, v1
	v_and_b32_e32 v0, 31, v0
	s_cmp_lg_u32 s3, 0
	s_delay_alu instid0(VALU_DEP_2) | instskip(SKIP_1) | instid1(VALU_DEP_1)
	v_lshlrev_b64 v[2:3], 2, v[1:2]
	s_waitcnt lgkmcnt(0)
	v_add_co_u32 v2, vcc_lo, s4, v2
	s_delay_alu instid0(VALU_DEP_2) | instskip(SKIP_4) | instid1(VALU_DEP_2)
	v_add_co_ci_u32_e32 v3, vcc_lo, s5, v3, vcc_lo
	global_load_b64 v[2:3], v[2:3], off
	s_waitcnt vmcnt(0)
	v_subrev_nc_u32_e32 v2, s12, v2
	v_subrev_nc_u32_e32 v17, s12, v3
	v_add_nc_u32_e32 v2, v2, v0
	s_delay_alu instid0(VALU_DEP_1)
	v_cmp_lt_i32_e64 s2, v2, v17
	s_cbranch_scc0 .LBB92_18
; %bb.10:
	v_dual_mov_b32 v13, 0 :: v_dual_mov_b32 v18, 0
	v_dual_mov_b32 v19, 0 :: v_dual_mov_b32 v14, 0
	;; [unrolled: 1-line block ×4, first 2 shown]
	s_mov_b32 s3, 0
	s_and_saveexec_b32 s4, s2
	s_cbranch_execz .LBB92_14
; %bb.11:
	v_mad_u64_u32 v[3:4], null, v2, 20, 16
	v_dual_mov_b32 v6, 0 :: v_dual_mov_b32 v7, v2
	v_dual_mov_b32 v13, 0 :: v_dual_mov_b32 v18, 0
	;; [unrolled: 1-line block ×5, first 2 shown]
	s_mov_b32 s5, 0
.LBB92_12:                              ; =>This Inner Loop Header: Depth=1
	v_ashrrev_i32_e32 v8, 31, v7
	s_delay_alu instid0(VALU_DEP_1) | instskip(NEXT) | instid1(VALU_DEP_1)
	v_lshlrev_b64 v[4:5], 2, v[7:8]
	v_add_co_u32 v4, vcc_lo, s6, v4
	s_delay_alu instid0(VALU_DEP_2) | instskip(SKIP_2) | instid1(VALU_DEP_1)
	v_add_co_ci_u32_e32 v5, vcc_lo, s7, v5, vcc_lo
	global_load_b32 v8, v[4:5], off
	v_dual_mov_b32 v4, v6 :: v_dual_add_nc_u32 v5, -16, v3
	v_lshlrev_b64 v[22:23], 3, v[5:6]
	v_add_nc_u32_e32 v5, -12, v3
	s_delay_alu instid0(VALU_DEP_3) | instskip(NEXT) | instid1(VALU_DEP_2)
	v_lshlrev_b64 v[24:25], 3, v[3:4]
	v_lshlrev_b64 v[4:5], 3, v[5:6]
	s_delay_alu instid0(VALU_DEP_4) | instskip(SKIP_1) | instid1(VALU_DEP_4)
	v_add_co_u32 v26, vcc_lo, s8, v22
	v_add_co_ci_u32_e32 v27, vcc_lo, s9, v23, vcc_lo
	v_add_co_u32 v34, vcc_lo, s8, v24
	v_add_co_ci_u32_e32 v35, vcc_lo, s9, v25, vcc_lo
	;; [unrolled: 2-line block ×3, first 2 shown]
	s_clause 0x5
	global_load_b128 v[22:25], v[26:27], off offset:16
	global_load_b128 v[26:29], v[26:27], off
	global_load_b128 v[30:33], v[34:35], off offset:16
	global_load_b128 v[34:37], v[34:35], off
	;; [unrolled: 2-line block ×3, first 2 shown]
	v_mov_b32_e32 v55, v6
	s_waitcnt vmcnt(6)
	v_subrev_nc_u32_e32 v4, s12, v8
	s_delay_alu instid0(VALU_DEP_1) | instskip(NEXT) | instid1(VALU_DEP_1)
	v_lshl_add_u32 v54, v4, 2, v4
	v_lshlrev_b64 v[46:47], 3, v[54:55]
	s_delay_alu instid0(VALU_DEP_1) | instskip(NEXT) | instid1(VALU_DEP_2)
	v_add_co_u32 v46, vcc_lo, s10, v46
	v_add_co_ci_u32_e32 v47, vcc_lo, s11, v47, vcc_lo
	global_load_b64 v[62:63], v[46:47], off
	s_waitcnt vmcnt(0)
	v_dual_fmac_f32 v14, v25, v62 :: v_dual_add_nc_u32 v7, 32, v7
	v_fmac_f32_e32 v16, v29, v62
	v_add_nc_u32_e32 v5, 1, v54
	v_fmac_f32_e32 v18, v26, v62
	v_fmac_f32_e32 v20, v22, v62
	;; [unrolled: 1-line block ×4, first 2 shown]
	v_lshlrev_b64 v[48:49], 3, v[5:6]
	v_add_nc_u32_e32 v5, -8, v3
	v_fma_f32 v8, -v27, v63, v18
	v_fma_f32 v20, -v23, v63, v20
	s_delay_alu instid0(VALU_DEP_3) | instskip(SKIP_3) | instid1(VALU_DEP_3)
	v_lshlrev_b64 v[50:51], 3, v[5:6]
	v_add_nc_u32_e32 v5, 2, v54
	v_add_co_u32 v46, vcc_lo, s10, v48
	v_add_co_ci_u32_e32 v47, vcc_lo, s11, v49, vcc_lo
	v_lshlrev_b64 v[48:49], 3, v[5:6]
	v_add_co_u32 v50, vcc_lo, s8, v50
	global_load_b64 v[64:65], v[46:47], off
	v_add_co_ci_u32_e32 v51, vcc_lo, s9, v51, vcc_lo
	v_add_co_u32 v57, vcc_lo, s10, v48
	v_add_co_ci_u32_e32 v58, vcc_lo, s11, v49, vcc_lo
	s_clause 0x1
	global_load_b128 v[46:49], v[50:51], off offset:16
	global_load_b128 v[50:53], v[50:51], off
	v_add_nc_u32_e32 v5, -4, v3
	v_fmac_f32_e32 v13, v27, v62
	global_load_b64 v[66:67], v[57:58], off
	s_waitcnt vmcnt(3)
	v_dual_fmac_f32 v20, v38, v64 :: v_dual_add_nc_u32 v3, 0x280, v3
	v_fmac_f32_e32 v8, v42, v64
	v_dual_fmac_f32 v14, v41, v64 :: v_dual_fmac_f32 v13, v26, v63
	v_lshlrev_b64 v[55:56], 3, v[5:6]
	s_delay_alu instid0(VALU_DEP_4) | instskip(NEXT) | instid1(VALU_DEP_4)
	v_fma_f32 v20, -v39, v65, v20
	v_fma_f32 v8, -v43, v65, v8
	s_delay_alu instid0(VALU_DEP_4)
	v_dual_fmac_f32 v14, v40, v65 :: v_dual_fmac_f32 v13, v43, v64
	v_fmac_f32_e32 v16, v45, v64
	v_add_co_u32 v68, vcc_lo, s8, v55
	s_waitcnt vmcnt(0)
	v_fmac_f32_e32 v8, v50, v66
	v_add_co_ci_u32_e32 v69, vcc_lo, s9, v56, vcc_lo
	v_dual_fmac_f32 v15, v23, v62 :: v_dual_fmac_f32 v16, v44, v65
	s_delay_alu instid0(VALU_DEP_3) | instskip(SKIP_2) | instid1(VALU_DEP_4)
	v_fma_f32 v8, -v51, v67, v8
	v_fmac_f32_e32 v21, v28, v62
	v_dual_fmac_f32 v13, v42, v65 :: v_dual_fmac_f32 v14, v49, v66
	v_fmac_f32_e32 v16, v53, v66
	v_fmac_f32_e32 v20, v46, v66
	s_delay_alu instid0(VALU_DEP_4) | instskip(SKIP_3) | instid1(VALU_DEP_4)
	v_fma_f32 v18, -v29, v63, v21
	v_add_nc_u32_e32 v5, 3, v54
	v_dual_fmac_f32 v13, v51, v66 :: v_dual_fmac_f32 v14, v48, v67
	v_fmac_f32_e32 v16, v52, v67
	v_fmac_f32_e32 v18, v44, v64
	s_delay_alu instid0(VALU_DEP_4) | instskip(SKIP_2) | instid1(VALU_DEP_4)
	v_lshlrev_b64 v[59:60], 3, v[5:6]
	v_add_nc_u32_e32 v5, 4, v54
	v_fma_f32 v20, -v47, v67, v20
	v_fma_f32 v18, -v45, v65, v18
	v_fmac_f32_e32 v15, v22, v63
	v_add_co_u32 v70, vcc_lo, s10, v59
	v_add_co_ci_u32_e32 v71, vcc_lo, s11, v60, vcc_lo
	s_delay_alu instid0(VALU_DEP_4)
	v_fmac_f32_e32 v18, v52, v66
	s_clause 0x1
	global_load_b128 v[54:57], v[68:69], off offset:16
	global_load_b128 v[58:61], v[68:69], off
	global_load_b64 v[68:69], v[70:71], off
	v_lshlrev_b64 v[4:5], 3, v[5:6]
	v_fmac_f32_e32 v15, v39, v64
	v_fmac_f32_e32 v19, v24, v62
	;; [unrolled: 1-line block ×3, first 2 shown]
	v_fma_f32 v18, -v53, v67, v18
	v_add_co_u32 v4, vcc_lo, s10, v4
	v_add_co_ci_u32_e32 v5, vcc_lo, s11, v5, vcc_lo
	v_fmac_f32_e32 v15, v38, v65
	v_cmp_ge_i32_e32 vcc_lo, v7, v17
	global_load_b64 v[4:5], v[4:5], off
	v_fmac_f32_e32 v15, v47, v66
	s_or_b32 s5, vcc_lo, s5
	s_waitcnt vmcnt(1)
	v_fmac_f32_e32 v18, v60, v68
	v_fmac_f32_e32 v16, v61, v68
	v_fma_f32 v19, -v25, v63, v19
	v_dual_fmac_f32 v15, v46, v67 :: v_dual_fmac_f32 v14, v57, v68
	s_delay_alu instid0(VALU_DEP_3) | instskip(NEXT) | instid1(VALU_DEP_3)
	v_dual_fmac_f32 v13, v59, v68 :: v_dual_fmac_f32 v16, v60, v69
	v_fmac_f32_e32 v19, v40, v64
	v_fmac_f32_e32 v20, v54, v68
	;; [unrolled: 1-line block ×5, first 2 shown]
	v_fma_f32 v19, -v41, v65, v19
	v_fma_f32 v21, -v61, v69, v18
	s_waitcnt vmcnt(0)
	v_fmac_f32_e32 v16, v37, v4
	v_fmac_f32_e32 v15, v55, v68
	v_fma_f32 v8, -v59, v69, v8
	v_fmac_f32_e32 v19, v48, v66
	v_fma_f32 v20, -v55, v69, v20
	v_fmac_f32_e32 v16, v36, v5
	v_dual_fmac_f32 v15, v54, v69 :: v_dual_fmac_f32 v14, v33, v4
	s_delay_alu instid0(VALU_DEP_4)
	v_fma_f32 v19, -v49, v67, v19
	v_fmac_f32_e32 v8, v34, v4
	v_fmac_f32_e32 v13, v35, v4
	;; [unrolled: 1-line block ×7, first 2 shown]
	v_fma_f32 v18, -v35, v5, v8
	v_fmac_f32_e32 v13, v34, v5
	v_fma_f32 v19, -v57, v69, v19
	v_fma_f32 v21, -v37, v5, v21
	;; [unrolled: 1-line block ×3, first 2 shown]
	v_fmac_f32_e32 v15, v30, v5
	s_delay_alu instid0(VALU_DEP_4) | instskip(NEXT) | instid1(VALU_DEP_1)
	v_fmac_f32_e32 v19, v32, v4
	v_fma_f32 v19, -v33, v5, v19
	s_and_not1_b32 exec_lo, exec_lo, s5
	s_cbranch_execnz .LBB92_12
; %bb.13:
	s_or_b32 exec_lo, exec_lo, s5
.LBB92_14:
	s_delay_alu instid0(SALU_CYCLE_1) | instskip(NEXT) | instid1(SALU_CYCLE_1)
	s_or_b32 exec_lo, exec_lo, s4
	s_and_not1_b32 vcc_lo, exec_lo, s3
	s_cbranch_vccz .LBB92_19
	s_branch .LBB92_24
.LBB92_15:
	v_dual_mov_b32 v1, s4 :: v_dual_mov_b32 v2, s5
	flat_load_b32 v9, v[1:2]
	v_cndmask_b32_e64 v1, 0, 1, s6
	v_mov_b32_e32 v10, s5
	s_and_not1_b32 vcc_lo, exec_lo, s6
	s_cbranch_vccnz .LBB92_2
.LBB92_16:
	v_dual_mov_b32 v2, s4 :: v_dual_mov_b32 v3, s5
	flat_load_b32 v10, v[2:3] offset:4
	v_cmp_ne_u32_e32 vcc_lo, 1, v1
	v_mov_b32_e32 v11, s2
	s_cbranch_vccnz .LBB92_3
.LBB92_17:
	v_dual_mov_b32 v2, s2 :: v_dual_mov_b32 v3, s3
	flat_load_b32 v11, v[2:3]
	v_cmp_ne_u32_e32 vcc_lo, 1, v1
	v_mov_b32_e32 v12, s3
	s_cbranch_vccz .LBB92_4
	s_branch .LBB92_5
.LBB92_18:
                                        ; implicit-def: $vgpr13
                                        ; implicit-def: $vgpr18
                                        ; implicit-def: $vgpr19
                                        ; implicit-def: $vgpr14
                                        ; implicit-def: $vgpr20
                                        ; implicit-def: $vgpr15
                                        ; implicit-def: $vgpr21
                                        ; implicit-def: $vgpr16
.LBB92_19:
	v_dual_mov_b32 v13, 0 :: v_dual_mov_b32 v18, 0
	v_dual_mov_b32 v19, 0 :: v_dual_mov_b32 v14, 0
	;; [unrolled: 1-line block ×4, first 2 shown]
	s_and_saveexec_b32 s3, s2
	s_cbranch_execz .LBB92_23
; %bb.20:
	v_mad_u64_u32 v[4:5], null, v2, 20, 19
	v_dual_mov_b32 v7, 0 :: v_dual_mov_b32 v18, 0
	v_dual_mov_b32 v13, 0 :: v_dual_mov_b32 v14, 0
	v_dual_mov_b32 v19, 0 :: v_dual_mov_b32 v20, 0
	v_dual_mov_b32 v15, 0 :: v_dual_mov_b32 v16, 0
	v_mov_b32_e32 v21, 0
	s_mov_b32 s2, 0
.LBB92_21:                              ; =>This Inner Loop Header: Depth=1
	v_ashrrev_i32_e32 v3, 31, v2
	v_dual_mov_b32 v31, v7 :: v_dual_add_nc_u32 v22, -14, v4
	v_dual_mov_b32 v23, v7 :: v_dual_add_nc_u32 v24, -9, v4
	s_delay_alu instid0(VALU_DEP_3) | instskip(SKIP_1) | instid1(VALU_DEP_3)
	v_lshlrev_b64 v[5:6], 2, v[2:3]
	v_dual_mov_b32 v25, v7 :: v_dual_add_nc_u32 v26, -4, v4
	v_lshlrev_b64 v[22:23], 3, v[22:23]
	s_delay_alu instid0(VALU_DEP_3) | instskip(NEXT) | instid1(VALU_DEP_4)
	v_add_co_u32 v5, vcc_lo, s6, v5
	v_add_co_ci_u32_e32 v6, vcc_lo, s7, v6, vcc_lo
	s_delay_alu instid0(VALU_DEP_4) | instskip(SKIP_3) | instid1(VALU_DEP_2)
	v_lshlrev_b64 v[24:25], 3, v[24:25]
	global_load_b32 v3, v[5:6], off
	v_subrev_nc_u32_e32 v6, 19, v4
	v_mov_b32_e32 v5, v7
	v_lshlrev_b64 v[28:29], 3, v[6:7]
	s_delay_alu instid0(VALU_DEP_2) | instskip(NEXT) | instid1(VALU_DEP_2)
	v_lshlrev_b64 v[5:6], 3, v[4:5]
	v_add_co_u32 v28, vcc_lo, s8, v28
	s_delay_alu instid0(VALU_DEP_3)
	v_add_co_ci_u32_e32 v29, vcc_lo, s9, v29, vcc_lo
	v_add_co_u32 v32, vcc_lo, s8, v22
	v_add_co_ci_u32_e32 v33, vcc_lo, s9, v23, vcc_lo
	v_add_co_u32 v34, vcc_lo, s8, v24
	v_add_co_ci_u32_e32 v35, vcc_lo, s9, v25, vcc_lo
	s_waitcnt vmcnt(0)
	v_subrev_nc_u32_e32 v3, s12, v3
	s_delay_alu instid0(VALU_DEP_1) | instskip(SKIP_1) | instid1(VALU_DEP_2)
	v_lshl_add_u32 v30, v3, 2, v3
	v_mov_b32_e32 v27, v7
	v_lshlrev_b64 v[40:41], 3, v[30:31]
	s_delay_alu instid0(VALU_DEP_2) | instskip(NEXT) | instid1(VALU_DEP_1)
	v_lshlrev_b64 v[26:27], 3, v[26:27]
	v_add_co_u32 v36, vcc_lo, s8, v26
	s_delay_alu instid0(VALU_DEP_2)
	v_add_co_ci_u32_e32 v37, vcc_lo, s9, v27, vcc_lo
	v_add_co_u32 v38, vcc_lo, s8, v5
	v_add_co_ci_u32_e32 v39, vcc_lo, s9, v6, vcc_lo
	v_add_nc_u32_e32 v6, 1, v30
	v_add_co_u32 v40, vcc_lo, s10, v40
	v_add_co_ci_u32_e32 v41, vcc_lo, s11, v41, vcc_lo
	s_clause 0x4
	global_load_b128 v[22:25], v[28:29], off offset:16
	global_load_b128 v[26:29], v[28:29], off
	global_load_b64 v[32:33], v[32:33], off
	global_load_b64 v[34:35], v[34:35], off
	;; [unrolled: 1-line block ×3, first 2 shown]
	v_lshlrev_b64 v[42:43], 3, v[6:7]
	v_add_nc_u32_e32 v6, -13, v4
	global_load_b64 v[40:41], v[40:41], off
	v_add_co_u32 v42, vcc_lo, s10, v42
	v_add_co_ci_u32_e32 v43, vcc_lo, s11, v43, vcc_lo
	v_lshlrev_b64 v[44:45], 3, v[6:7]
	global_load_b64 v[42:43], v[42:43], off
	v_add_nc_u32_e32 v2, 32, v2
	v_add_co_u32 v44, vcc_lo, s8, v44
	v_add_co_ci_u32_e32 v45, vcc_lo, s9, v45, vcc_lo
	global_load_b64 v[44:45], v[44:45], off
	s_waitcnt vmcnt(2)
	v_fmac_f32_e32 v13, v27, v40
	v_add_nc_u32_e32 v6, -8, v4
	v_fmac_f32_e32 v15, v35, v40
	v_fmac_f32_e32 v21, v32, v40
	;; [unrolled: 1-line block ×4, first 2 shown]
	v_lshlrev_b64 v[46:47], 3, v[6:7]
	v_dual_fmac_f32 v15, v34, v41 :: v_dual_add_nc_u32 v6, -3, v4
	v_fma_f32 v8, -v33, v41, v21
	v_fma_f32 v19, -v37, v41, v19
	s_waitcnt vmcnt(1)
	v_fmac_f32_e32 v13, v29, v42
	v_lshlrev_b64 v[48:49], 3, v[6:7]
	v_add_nc_u32_e32 v6, 2, v30
	v_add_co_u32 v46, vcc_lo, s8, v46
	v_add_co_ci_u32_e32 v47, vcc_lo, s9, v47, vcc_lo
	s_delay_alu instid0(VALU_DEP_3)
	v_lshlrev_b64 v[50:51], 3, v[6:7]
	v_add_co_u32 v48, vcc_lo, s8, v48
	v_add_co_ci_u32_e32 v49, vcc_lo, s9, v49, vcc_lo
	global_load_b64 v[46:47], v[46:47], off
	v_add_co_u32 v50, vcc_lo, s10, v50
	global_load_b64 v[48:49], v[48:49], off
	v_add_co_ci_u32_e32 v51, vcc_lo, s11, v51, vcc_lo
	v_fmac_f32_e32 v13, v28, v43
	global_load_b64 v[50:51], v[50:51], off
	v_fmac_f32_e32 v18, v26, v40
	s_delay_alu instid0(VALU_DEP_1) | instskip(NEXT) | instid1(VALU_DEP_1)
	v_fma_f32 v3, -v27, v41, v18
	v_dual_fmac_f32 v3, v28, v42 :: v_dual_add_nc_u32 v6, -12, v4
	s_delay_alu instid0(VALU_DEP_1) | instskip(SKIP_1) | instid1(VALU_DEP_3)
	v_lshlrev_b64 v[52:53], 3, v[6:7]
	v_add_nc_u32_e32 v6, -7, v4
	v_fma_f32 v3, -v29, v43, v3
	s_delay_alu instid0(VALU_DEP_2) | instskip(SKIP_3) | instid1(VALU_DEP_3)
	v_lshlrev_b64 v[54:55], 3, v[6:7]
	v_add_nc_u32_e32 v6, -2, v4
	v_add_co_u32 v52, vcc_lo, s8, v52
	v_add_co_ci_u32_e32 v53, vcc_lo, s9, v53, vcc_lo
	v_lshlrev_b64 v[56:57], 3, v[6:7]
	v_add_co_u32 v54, vcc_lo, s8, v54
	v_add_co_ci_u32_e32 v55, vcc_lo, s9, v55, vcc_lo
	global_load_b64 v[52:53], v[52:53], off
	v_add_co_u32 v56, vcc_lo, s8, v56
	global_load_b64 v[54:55], v[54:55], off
	v_add_co_ci_u32_e32 v57, vcc_lo, s9, v57, vcc_lo
	v_add_nc_u32_e32 v6, 3, v30
	global_load_b64 v[56:57], v[56:57], off
	v_lshlrev_b64 v[58:59], 3, v[6:7]
	v_add_nc_u32_e32 v6, -11, v4
	s_delay_alu instid0(VALU_DEP_2) | instskip(NEXT) | instid1(VALU_DEP_3)
	v_add_co_u32 v58, vcc_lo, s10, v58
	v_add_co_ci_u32_e32 v59, vcc_lo, s11, v59, vcc_lo
	global_load_b64 v[58:59], v[58:59], off
	s_waitcnt vmcnt(6)
	v_fmac_f32_e32 v15, v47, v42
	v_lshlrev_b64 v[60:61], 3, v[6:7]
	s_waitcnt vmcnt(5)
	v_dual_fmac_f32 v19, v48, v42 :: v_dual_add_nc_u32 v6, -6, v4
	s_delay_alu instid0(VALU_DEP_3) | instskip(NEXT) | instid1(VALU_DEP_2)
	v_fmac_f32_e32 v15, v46, v43
	v_lshlrev_b64 v[62:63], 3, v[6:7]
	v_add_nc_u32_e32 v6, -1, v4
	v_add_co_u32 v60, vcc_lo, s8, v60
	v_add_co_ci_u32_e32 v61, vcc_lo, s9, v61, vcc_lo
	s_delay_alu instid0(VALU_DEP_3) | instskip(SKIP_4) | instid1(VALU_DEP_3)
	v_lshlrev_b64 v[64:65], 3, v[6:7]
	s_waitcnt vmcnt(4)
	v_dual_fmac_f32 v3, v22, v50 :: v_dual_add_nc_u32 v6, -15, v4
	v_add_co_u32 v62, vcc_lo, s8, v62
	v_fmac_f32_e32 v13, v23, v50
	v_lshlrev_b64 v[66:67], 3, v[6:7]
	v_add_nc_u32_e32 v6, 4, v30
	v_add_co_ci_u32_e32 v63, vcc_lo, s9, v63, vcc_lo
	s_delay_alu instid0(VALU_DEP_4)
	v_fmac_f32_e32 v13, v22, v51
	v_add_co_u32 v30, vcc_lo, s8, v64
	v_add_co_ci_u32_e32 v31, vcc_lo, s9, v65, vcc_lo
	v_lshlrev_b64 v[64:65], 3, v[6:7]
	v_add_nc_u32_e32 v6, -10, v4
	v_add_co_u32 v66, vcc_lo, s8, v66
	v_add_co_ci_u32_e32 v67, vcc_lo, s9, v67, vcc_lo
	s_delay_alu instid0(VALU_DEP_4)
	v_add_co_u32 v64, vcc_lo, s10, v64
	v_fma_f32 v19, -v49, v43, v19
	v_add_co_ci_u32_e32 v65, vcc_lo, s11, v65, vcc_lo
	s_clause 0x1
	global_load_b64 v[60:61], v[60:61], off
	global_load_b64 v[62:63], v[62:63], off
	s_waitcnt vmcnt(4)
	v_fmac_f32_e32 v15, v55, v50
	v_lshlrev_b64 v[68:69], 3, v[6:7]
	v_add_nc_u32_e32 v6, -5, v4
	global_load_b64 v[66:67], v[66:67], off
	global_load_b64 v[64:65], v[64:65], off
	global_load_b64 v[30:31], v[30:31], off
	s_waitcnt vmcnt(6)
	v_fmac_f32_e32 v19, v56, v50
	v_lshlrev_b64 v[5:6], 3, v[6:7]
	v_add_co_u32 v68, vcc_lo, s8, v68
	v_add_co_ci_u32_e32 v69, vcc_lo, s9, v69, vcc_lo
	v_fmac_f32_e32 v20, v34, v40
	s_delay_alu instid0(VALU_DEP_4)
	v_add_co_u32 v5, vcc_lo, s8, v5
	v_add_co_ci_u32_e32 v6, vcc_lo, s9, v6, vcc_lo
	s_clause 0x2
	global_load_b64 v[68:69], v[68:69], off
	global_load_b64 v[5:6], v[5:6], off
	;; [unrolled: 1-line block ×3, first 2 shown]
	v_fma_f32 v3, -v23, v51, v3
	s_waitcnt vmcnt(8)
	v_fmac_f32_e32 v13, v25, v58
	v_fmac_f32_e32 v16, v33, v40
	;; [unrolled: 1-line block ×3, first 2 shown]
	v_dual_fmac_f32 v15, v54, v51 :: v_dual_add_nc_u32 v4, 0x280, v4
	v_fma_f32 v18, -v35, v41, v20
	v_fmac_f32_e32 v3, v24, v58
	v_fmac_f32_e32 v16, v32, v41
	;; [unrolled: 1-line block ×5, first 2 shown]
	v_fma_f32 v19, -v57, v51, v19
	v_fma_f32 v3, -v25, v59, v3
	v_fmac_f32_e32 v16, v45, v42
	v_cmp_ge_i32_e32 vcc_lo, v2, v17
	s_or_b32 s2, vcc_lo, s2
	s_waitcnt vmcnt(6)
	v_fmac_f32_e32 v15, v63, v58
	s_delay_alu instid0(VALU_DEP_1) | instskip(SKIP_2) | instid1(VALU_DEP_2)
	v_dual_fmac_f32 v8, v44, v42 :: v_dual_fmac_f32 v15, v62, v59
	s_waitcnt vmcnt(4)
	v_dual_fmac_f32 v13, v67, v64 :: v_dual_fmac_f32 v14, v49, v42
	v_fma_f32 v8, -v45, v43, v8
	v_fma_f32 v18, -v47, v43, v18
	s_waitcnt vmcnt(3)
	v_fmac_f32_e32 v19, v30, v58
	v_dual_fmac_f32 v13, v66, v65 :: v_dual_fmac_f32 v14, v48, v43
	v_dual_fmac_f32 v3, v66, v64 :: v_dual_fmac_f32 v16, v44, v43
	v_fmac_f32_e32 v18, v54, v50
	s_delay_alu instid0(VALU_DEP_4)
	v_fma_f32 v19, -v31, v59, v19
	v_fmac_f32_e32 v8, v52, v50
	s_waitcnt vmcnt(1)
	v_dual_fmac_f32 v16, v53, v50 :: v_dual_fmac_f32 v15, v6, v64
	s_waitcnt vmcnt(0)
	v_dual_fmac_f32 v19, v38, v64 :: v_dual_fmac_f32 v14, v57, v50
	v_fma_f32 v8, -v53, v51, v8
	s_delay_alu instid0(VALU_DEP_3) | instskip(SKIP_1) | instid1(VALU_DEP_4)
	v_dual_fmac_f32 v16, v52, v51 :: v_dual_fmac_f32 v15, v5, v65
	v_fma_f32 v18, -v55, v51, v18
	v_fmac_f32_e32 v14, v56, v51
	s_delay_alu instid0(VALU_DEP_4) | instskip(NEXT) | instid1(VALU_DEP_4)
	v_fmac_f32_e32 v8, v60, v58
	v_fmac_f32_e32 v16, v61, v58
	v_fma_f32 v19, -v39, v65, v19
	v_fmac_f32_e32 v18, v62, v58
	v_fmac_f32_e32 v14, v31, v58
	v_fma_f32 v8, -v61, v59, v8
	v_fmac_f32_e32 v16, v60, v59
	s_delay_alu instid0(VALU_DEP_4) | instskip(NEXT) | instid1(VALU_DEP_4)
	v_fma_f32 v20, -v63, v59, v18
	v_fmac_f32_e32 v14, v30, v59
	s_delay_alu instid0(VALU_DEP_4) | instskip(NEXT) | instid1(VALU_DEP_4)
	v_fmac_f32_e32 v8, v68, v64
	v_fmac_f32_e32 v16, v69, v64
	v_fma_f32 v18, -v67, v65, v3
	v_fmac_f32_e32 v20, v5, v64
	v_fmac_f32_e32 v14, v39, v64
	v_fma_f32 v21, -v69, v65, v8
	v_fmac_f32_e32 v16, v68, v65
	s_delay_alu instid0(VALU_DEP_4) | instskip(NEXT) | instid1(VALU_DEP_4)
	v_fma_f32 v20, -v6, v65, v20
	v_fmac_f32_e32 v14, v38, v65
	s_and_not1_b32 exec_lo, exec_lo, s2
	s_cbranch_execnz .LBB92_21
; %bb.22:
	s_or_b32 exec_lo, exec_lo, s2
.LBB92_23:
	s_delay_alu instid0(SALU_CYCLE_1)
	s_or_b32 exec_lo, exec_lo, s3
.LBB92_24:
	v_mbcnt_lo_u32_b32 v2, -1, 0
	s_delay_alu instid0(VALU_DEP_1) | instskip(SKIP_1) | instid1(VALU_DEP_2)
	v_xor_b32_e32 v3, 16, v2
	v_xor_b32_e32 v23, 8, v2
	v_cmp_gt_i32_e32 vcc_lo, 32, v3
	v_cndmask_b32_e32 v3, v2, v3, vcc_lo
	s_delay_alu instid0(VALU_DEP_3) | instskip(NEXT) | instid1(VALU_DEP_2)
	v_cmp_gt_i32_e32 vcc_lo, 32, v23
	v_lshlrev_b32_e32 v3, 2, v3
	ds_bpermute_b32 v4, v3, v18
	s_waitcnt lgkmcnt(0)
	v_add_f32_e32 v4, v18, v4
	ds_bpermute_b32 v8, v3, v20
	ds_bpermute_b32 v5, v3, v13
	;; [unrolled: 1-line block ×7, first 2 shown]
	s_waitcnt lgkmcnt(6)
	v_dual_cndmask_b32 v23, v2, v23 :: v_dual_add_f32 v8, v20, v8
	s_waitcnt lgkmcnt(4)
	s_delay_alu instid0(VALU_DEP_1)
	v_dual_add_f32 v6, v21, v6 :: v_dual_lshlrev_b32 v23, 2, v23
	v_add_f32_e32 v5, v13, v5
	s_waitcnt lgkmcnt(0)
	v_add_f32_e32 v3, v14, v3
	ds_bpermute_b32 v14, v23, v4
	s_waitcnt lgkmcnt(0)
	v_dual_add_f32 v4, v4, v14 :: v_dual_add_f32 v13, v15, v17
	ds_bpermute_b32 v17, v23, v6
	v_add_f32_e32 v15, v19, v22
	ds_bpermute_b32 v19, v23, v8
	v_add_f32_e32 v7, v16, v7
	ds_bpermute_b32 v20, v23, v13
	ds_bpermute_b32 v22, v23, v3
	;; [unrolled: 1-line block ×3, first 2 shown]
	s_waitcnt lgkmcnt(4)
	v_add_f32_e32 v6, v6, v17
	ds_bpermute_b32 v18, v23, v7
	s_waitcnt lgkmcnt(4)
	v_add_f32_e32 v8, v8, v19
	ds_bpermute_b32 v16, v23, v5
	v_xor_b32_e32 v23, 4, v2
	s_delay_alu instid0(VALU_DEP_1)
	v_cmp_gt_i32_e32 vcc_lo, 32, v23
	s_waitcnt lgkmcnt(1)
	v_add_f32_e32 v7, v7, v18
	v_cndmask_b32_e32 v23, v2, v23, vcc_lo
	s_waitcnt lgkmcnt(0)
	v_add_f32_e32 v5, v5, v16
	s_delay_alu instid0(VALU_DEP_2)
	v_lshlrev_b32_e32 v23, 2, v23
	ds_bpermute_b32 v19, v23, v8
	ds_bpermute_b32 v16, v23, v5
	;; [unrolled: 1-line block ×3, first 2 shown]
	s_waitcnt lgkmcnt(2)
	v_add_f32_e32 v8, v8, v19
	s_waitcnt lgkmcnt(1)
	v_dual_add_f32 v14, v15, v21 :: v_dual_add_f32 v5, v5, v16
	s_waitcnt lgkmcnt(0)
	v_add_f32_e32 v16, v7, v18
	v_add_f32_e32 v3, v3, v22
	ds_bpermute_b32 v21, v23, v14
	s_waitcnt lgkmcnt(0)
	v_add_f32_e32 v18, v14, v21
	ds_bpermute_b32 v15, v23, v4
	ds_bpermute_b32 v17, v23, v6
	;; [unrolled: 1-line block ×3, first 2 shown]
	s_waitcnt lgkmcnt(2)
	v_dual_add_f32 v4, v4, v15 :: v_dual_add_f32 v13, v13, v20
	s_waitcnt lgkmcnt(1)
	v_add_f32_e32 v15, v6, v17
	s_waitcnt lgkmcnt(0)
	v_add_f32_e32 v19, v3, v22
	ds_bpermute_b32 v20, v23, v13
	v_xor_b32_e32 v23, 2, v2
	s_delay_alu instid0(VALU_DEP_1) | instskip(SKIP_1) | instid1(VALU_DEP_1)
	v_cmp_gt_i32_e32 vcc_lo, 32, v23
	v_cndmask_b32_e32 v23, v2, v23, vcc_lo
	v_lshlrev_b32_e32 v23, 2, v23
	ds_bpermute_b32 v14, v23, v8
	ds_bpermute_b32 v3, v23, v4
	;; [unrolled: 1-line block ×6, first 2 shown]
	s_waitcnt lgkmcnt(5)
	v_dual_add_f32 v14, v8, v14 :: v_dual_add_f32 v17, v13, v20
	s_waitcnt lgkmcnt(3)
	v_add_f32_e32 v6, v5, v6
	ds_bpermute_b32 v13, v23, v16
	s_waitcnt lgkmcnt(3)
	v_add_f32_e32 v7, v15, v7
	s_waitcnt lgkmcnt(1)
	v_add_f32_e32 v5, v19, v22
	ds_bpermute_b32 v20, v23, v17
	v_xor_b32_e32 v23, 1, v2
	s_delay_alu instid0(VALU_DEP_1) | instskip(SKIP_2) | instid1(VALU_DEP_2)
	v_cmp_gt_i32_e32 vcc_lo, 32, v23
	v_cndmask_b32_e32 v2, v2, v23, vcc_lo
	v_cmp_eq_u32_e32 vcc_lo, 31, v0
	v_dual_add_f32 v2, v4, v3 :: v_dual_lshlrev_b32 v23, 2, v2
	s_waitcnt lgkmcnt(1)
	v_add_f32_e32 v13, v16, v13
	v_add_f32_e32 v3, v18, v21
	s_waitcnt lgkmcnt(0)
	v_add_f32_e32 v15, v17, v20
	ds_bpermute_b32 v8, v23, v6
	ds_bpermute_b32 v4, v23, v2
	;; [unrolled: 1-line block ×8, first 2 shown]
	s_and_b32 exec_lo, exec_lo, vcc_lo
	s_cbranch_execz .LBB92_29
; %bb.25:
	s_load_b64 s[2:3], s[0:1], 0x38
	v_cmp_eq_f32_e32 vcc_lo, 0, v11
	v_cmp_eq_f32_e64 s0, 0, v12
	s_waitcnt lgkmcnt(0)
	v_add_f32_e32 v4, v2, v4
	v_dual_add_f32 v8, v6, v8 :: v_dual_add_f32 v5, v5, v17
	v_dual_add_f32 v0, v7, v18 :: v_dual_add_f32 v7, v13, v19
	v_add_f32_e32 v2, v14, v20
	v_add_f32_e32 v6, v15, v21
	;; [unrolled: 1-line block ×3, first 2 shown]
	s_and_b32 s0, vcc_lo, s0
	s_delay_alu instid0(SALU_CYCLE_1) | instskip(NEXT) | instid1(SALU_CYCLE_1)
	s_and_saveexec_b32 s1, s0
	s_xor_b32 s0, exec_lo, s1
	s_cbranch_execz .LBB92_27
; %bb.26:
	v_mul_f32_e64 v11, v8, -v10
	v_mul_f32_e32 v12, v8, v9
	v_mul_f32_e64 v13, v7, -v10
	v_mul_f32_e32 v14, v7, v9
	v_mul_f32_e64 v15, v6, -v10
	v_fmac_f32_e32 v11, v9, v4
	v_dual_fmac_f32 v12, v10, v4 :: v_dual_lshlrev_b32 v17, 2, v1
	s_delay_alu instid0(VALU_DEP_3) | instskip(SKIP_1) | instid1(VALU_DEP_3)
	v_dual_mul_f32 v16, v6, v9 :: v_dual_fmac_f32 v15, v9, v2
	v_fmac_f32_e32 v13, v9, v0
	v_ashrrev_i32_e32 v18, 31, v17
                                        ; implicit-def: $vgpr1
                                        ; implicit-def: $vgpr4
                                        ; implicit-def: $vgpr8
	s_delay_alu instid0(VALU_DEP_3) | instskip(NEXT) | instid1(VALU_DEP_2)
	v_fmac_f32_e32 v16, v10, v2
                                        ; implicit-def: $vgpr2
	v_lshlrev_b64 v[6:7], 3, v[17:18]
	v_mul_f32_e64 v17, v5, -v10
	v_mul_f32_e32 v18, v5, v9
	v_fmac_f32_e32 v14, v10, v0
                                        ; implicit-def: $vgpr0
                                        ; implicit-def: $vgpr5
	s_delay_alu instid0(VALU_DEP_3)
	v_fmac_f32_e32 v17, v9, v3
	v_add_co_u32 v6, vcc_lo, s2, v6
	v_add_co_ci_u32_e32 v7, vcc_lo, s3, v7, vcc_lo
	v_fmac_f32_e32 v18, v10, v3
	s_clause 0x1
	global_store_b128 v[6:7], v[11:14], off
	global_store_b128 v[6:7], v[15:18], off offset:16
                                        ; implicit-def: $vgpr9
                                        ; implicit-def: $vgpr10
                                        ; implicit-def: $vgpr11
                                        ; implicit-def: $vgpr12
                                        ; implicit-def: $vgpr7
                                        ; implicit-def: $vgpr6
                                        ; implicit-def: $vgpr3
.LBB92_27:
	s_and_not1_saveexec_b32 s0, s0
	s_cbranch_execz .LBB92_29
; %bb.28:
	v_mul_f32_e32 v22, v8, v9
	v_lshlrev_b32_e32 v13, 2, v1
	v_mul_f32_e64 v1, v8, -v10
	v_mul_f32_e64 v23, v7, -v10
	v_mul_f32_e32 v24, v7, v9
	v_mul_f32_e64 v7, v6, -v10
	s_delay_alu instid0(VALU_DEP_4) | instskip(SKIP_2) | instid1(VALU_DEP_4)
	v_dual_mul_f32 v6, v6, v9 :: v_dual_fmac_f32 v1, v9, v4
	v_fmac_f32_e32 v22, v10, v4
	v_ashrrev_i32_e32 v14, 31, v13
	v_fmac_f32_e32 v7, v9, v2
	v_mul_f32_e64 v27, v5, -v10
	v_fmac_f32_e32 v23, v9, v0
	v_fmac_f32_e32 v24, v10, v0
	v_lshlrev_b64 v[13:14], 3, v[13:14]
	s_delay_alu instid0(VALU_DEP_4) | instskip(NEXT) | instid1(VALU_DEP_2)
	v_fmac_f32_e32 v27, v9, v3
	v_add_co_u32 v25, vcc_lo, s2, v13
	s_delay_alu instid0(VALU_DEP_3)
	v_add_co_ci_u32_e32 v26, vcc_lo, s3, v14, vcc_lo
	s_clause 0x1
	global_load_b128 v[13:16], v[25:26], off
	global_load_b128 v[17:20], v[25:26], off offset:16
	v_mul_f32_e32 v8, v5, v9
	s_waitcnt vmcnt(1)
	v_dual_fmac_f32 v6, v10, v2 :: v_dual_fmac_f32 v1, v11, v13
	v_fmac_f32_e32 v23, v11, v15
	s_waitcnt vmcnt(0)
	v_dual_fmac_f32 v8, v10, v3 :: v_dual_fmac_f32 v7, v11, v17
	v_dual_fmac_f32 v22, v12, v13 :: v_dual_fmac_f32 v27, v11, v19
	v_fmac_f32_e32 v24, v12, v15
	v_fmac_f32_e32 v6, v12, v17
	s_delay_alu instid0(VALU_DEP_4)
	v_fmac_f32_e32 v8, v12, v19
	v_fma_f32 v21, -v12, v14, v1
	v_fmac_f32_e32 v22, v11, v14
	v_fma_f32 v23, -v12, v16, v23
	;; [unrolled: 2-line block ×4, first 2 shown]
	v_fmac_f32_e32 v8, v11, v20
	s_clause 0x1
	global_store_b128 v[25:26], v[21:24], off
	global_store_b128 v[25:26], v[5:8], off offset:16
.LBB92_29:
	s_nop 0
	s_sendmsg sendmsg(MSG_DEALLOC_VGPRS)
	s_endpgm
	.section	.rodata,"a",@progbits
	.p2align	6, 0x0
	.amdhsa_kernel _ZN9rocsparseL19gebsrmvn_4xn_kernelILj128ELj5ELj32E21rocsparse_complex_numIfEEEvi20rocsparse_direction_NS_24const_host_device_scalarIT2_EEPKiS8_PKS5_SA_S6_PS5_21rocsparse_index_base_b
		.amdhsa_group_segment_fixed_size 0
		.amdhsa_private_segment_fixed_size 0
		.amdhsa_kernarg_size 72
		.amdhsa_user_sgpr_count 15
		.amdhsa_user_sgpr_dispatch_ptr 0
		.amdhsa_user_sgpr_queue_ptr 0
		.amdhsa_user_sgpr_kernarg_segment_ptr 1
		.amdhsa_user_sgpr_dispatch_id 0
		.amdhsa_user_sgpr_private_segment_size 0
		.amdhsa_wavefront_size32 1
		.amdhsa_uses_dynamic_stack 0
		.amdhsa_enable_private_segment 0
		.amdhsa_system_sgpr_workgroup_id_x 1
		.amdhsa_system_sgpr_workgroup_id_y 0
		.amdhsa_system_sgpr_workgroup_id_z 0
		.amdhsa_system_sgpr_workgroup_info 0
		.amdhsa_system_vgpr_workitem_id 0
		.amdhsa_next_free_vgpr 72
		.amdhsa_next_free_sgpr 16
		.amdhsa_reserve_vcc 1
		.amdhsa_float_round_mode_32 0
		.amdhsa_float_round_mode_16_64 0
		.amdhsa_float_denorm_mode_32 3
		.amdhsa_float_denorm_mode_16_64 3
		.amdhsa_dx10_clamp 1
		.amdhsa_ieee_mode 1
		.amdhsa_fp16_overflow 0
		.amdhsa_workgroup_processor_mode 1
		.amdhsa_memory_ordered 1
		.amdhsa_forward_progress 0
		.amdhsa_shared_vgpr_count 0
		.amdhsa_exception_fp_ieee_invalid_op 0
		.amdhsa_exception_fp_denorm_src 0
		.amdhsa_exception_fp_ieee_div_zero 0
		.amdhsa_exception_fp_ieee_overflow 0
		.amdhsa_exception_fp_ieee_underflow 0
		.amdhsa_exception_fp_ieee_inexact 0
		.amdhsa_exception_int_div_zero 0
	.end_amdhsa_kernel
	.section	.text._ZN9rocsparseL19gebsrmvn_4xn_kernelILj128ELj5ELj32E21rocsparse_complex_numIfEEEvi20rocsparse_direction_NS_24const_host_device_scalarIT2_EEPKiS8_PKS5_SA_S6_PS5_21rocsparse_index_base_b,"axG",@progbits,_ZN9rocsparseL19gebsrmvn_4xn_kernelILj128ELj5ELj32E21rocsparse_complex_numIfEEEvi20rocsparse_direction_NS_24const_host_device_scalarIT2_EEPKiS8_PKS5_SA_S6_PS5_21rocsparse_index_base_b,comdat
.Lfunc_end92:
	.size	_ZN9rocsparseL19gebsrmvn_4xn_kernelILj128ELj5ELj32E21rocsparse_complex_numIfEEEvi20rocsparse_direction_NS_24const_host_device_scalarIT2_EEPKiS8_PKS5_SA_S6_PS5_21rocsparse_index_base_b, .Lfunc_end92-_ZN9rocsparseL19gebsrmvn_4xn_kernelILj128ELj5ELj32E21rocsparse_complex_numIfEEEvi20rocsparse_direction_NS_24const_host_device_scalarIT2_EEPKiS8_PKS5_SA_S6_PS5_21rocsparse_index_base_b
                                        ; -- End function
	.section	.AMDGPU.csdata,"",@progbits
; Kernel info:
; codeLenInByte = 4088
; NumSgprs: 18
; NumVgprs: 72
; ScratchSize: 0
; MemoryBound: 0
; FloatMode: 240
; IeeeMode: 1
; LDSByteSize: 0 bytes/workgroup (compile time only)
; SGPRBlocks: 2
; VGPRBlocks: 8
; NumSGPRsForWavesPerEU: 18
; NumVGPRsForWavesPerEU: 72
; Occupancy: 16
; WaveLimiterHint : 1
; COMPUTE_PGM_RSRC2:SCRATCH_EN: 0
; COMPUTE_PGM_RSRC2:USER_SGPR: 15
; COMPUTE_PGM_RSRC2:TRAP_HANDLER: 0
; COMPUTE_PGM_RSRC2:TGID_X_EN: 1
; COMPUTE_PGM_RSRC2:TGID_Y_EN: 0
; COMPUTE_PGM_RSRC2:TGID_Z_EN: 0
; COMPUTE_PGM_RSRC2:TIDIG_COMP_CNT: 0
	.section	.text._ZN9rocsparseL19gebsrmvn_4xn_kernelILj128ELj5ELj64E21rocsparse_complex_numIfEEEvi20rocsparse_direction_NS_24const_host_device_scalarIT2_EEPKiS8_PKS5_SA_S6_PS5_21rocsparse_index_base_b,"axG",@progbits,_ZN9rocsparseL19gebsrmvn_4xn_kernelILj128ELj5ELj64E21rocsparse_complex_numIfEEEvi20rocsparse_direction_NS_24const_host_device_scalarIT2_EEPKiS8_PKS5_SA_S6_PS5_21rocsparse_index_base_b,comdat
	.globl	_ZN9rocsparseL19gebsrmvn_4xn_kernelILj128ELj5ELj64E21rocsparse_complex_numIfEEEvi20rocsparse_direction_NS_24const_host_device_scalarIT2_EEPKiS8_PKS5_SA_S6_PS5_21rocsparse_index_base_b ; -- Begin function _ZN9rocsparseL19gebsrmvn_4xn_kernelILj128ELj5ELj64E21rocsparse_complex_numIfEEEvi20rocsparse_direction_NS_24const_host_device_scalarIT2_EEPKiS8_PKS5_SA_S6_PS5_21rocsparse_index_base_b
	.p2align	8
	.type	_ZN9rocsparseL19gebsrmvn_4xn_kernelILj128ELj5ELj64E21rocsparse_complex_numIfEEEvi20rocsparse_direction_NS_24const_host_device_scalarIT2_EEPKiS8_PKS5_SA_S6_PS5_21rocsparse_index_base_b,@function
_ZN9rocsparseL19gebsrmvn_4xn_kernelILj128ELj5ELj64E21rocsparse_complex_numIfEEEvi20rocsparse_direction_NS_24const_host_device_scalarIT2_EEPKiS8_PKS5_SA_S6_PS5_21rocsparse_index_base_b: ; @_ZN9rocsparseL19gebsrmvn_4xn_kernelILj128ELj5ELj64E21rocsparse_complex_numIfEEEvi20rocsparse_direction_NS_24const_host_device_scalarIT2_EEPKiS8_PKS5_SA_S6_PS5_21rocsparse_index_base_b
; %bb.0:
	s_clause 0x2
	s_load_b64 s[12:13], s[0:1], 0x40
	s_load_b64 s[4:5], s[0:1], 0x8
	s_load_b64 s[2:3], s[0:1], 0x30
	s_waitcnt lgkmcnt(0)
	s_bitcmp1_b32 s13, 0
	v_mov_b32_e32 v9, s4
	s_cselect_b32 s6, -1, 0
	s_delay_alu instid0(SALU_CYCLE_1)
	s_and_b32 vcc_lo, exec_lo, s6
	s_xor_b32 s6, s6, -1
	s_cbranch_vccz .LBB93_15
; %bb.1:
	v_cndmask_b32_e64 v1, 0, 1, s6
	v_mov_b32_e32 v10, s5
	s_and_not1_b32 vcc_lo, exec_lo, s6
	s_cbranch_vccz .LBB93_16
.LBB93_2:
	s_delay_alu instid0(VALU_DEP_2)
	v_cmp_ne_u32_e32 vcc_lo, 1, v1
	v_mov_b32_e32 v11, s2
	s_cbranch_vccz .LBB93_17
.LBB93_3:
	v_cmp_ne_u32_e32 vcc_lo, 1, v1
	v_mov_b32_e32 v12, s3
	s_cbranch_vccnz .LBB93_5
.LBB93_4:
	v_dual_mov_b32 v1, s2 :: v_dual_mov_b32 v2, s3
	flat_load_b32 v12, v[1:2] offset:4
.LBB93_5:
	s_waitcnt vmcnt(0) lgkmcnt(0)
	v_cmp_eq_f32_e32 vcc_lo, 0, v9
	v_cmp_eq_f32_e64 s2, 0, v10
	s_delay_alu instid0(VALU_DEP_1)
	s_and_b32 s4, vcc_lo, s2
	s_mov_b32 s2, -1
	s_and_saveexec_b32 s3, s4
; %bb.6:
	v_cmp_neq_f32_e32 vcc_lo, 1.0, v11
	v_cmp_neq_f32_e64 s2, 0, v12
	s_delay_alu instid0(VALU_DEP_1) | instskip(NEXT) | instid1(SALU_CYCLE_1)
	s_or_b32 s2, vcc_lo, s2
	s_or_not1_b32 s2, s2, exec_lo
; %bb.7:
	s_or_b32 exec_lo, exec_lo, s3
	s_and_saveexec_b32 s3, s2
	s_cbranch_execz .LBB93_29
; %bb.8:
	s_load_b64 s[2:3], s[0:1], 0x0
	v_lshrrev_b32_e32 v1, 6, v0
	s_delay_alu instid0(VALU_DEP_1) | instskip(SKIP_1) | instid1(VALU_DEP_1)
	v_lshl_or_b32 v1, s15, 1, v1
	s_waitcnt lgkmcnt(0)
	v_cmp_gt_i32_e32 vcc_lo, s2, v1
	s_and_b32 exec_lo, exec_lo, vcc_lo
	s_cbranch_execz .LBB93_29
; %bb.9:
	s_load_b256 s[4:11], s[0:1], 0x10
	v_ashrrev_i32_e32 v2, 31, v1
	v_and_b32_e32 v0, 63, v0
	s_cmp_lg_u32 s3, 0
	s_delay_alu instid0(VALU_DEP_2) | instskip(SKIP_1) | instid1(VALU_DEP_1)
	v_lshlrev_b64 v[2:3], 2, v[1:2]
	s_waitcnt lgkmcnt(0)
	v_add_co_u32 v2, vcc_lo, s4, v2
	s_delay_alu instid0(VALU_DEP_2) | instskip(SKIP_4) | instid1(VALU_DEP_2)
	v_add_co_ci_u32_e32 v3, vcc_lo, s5, v3, vcc_lo
	global_load_b64 v[2:3], v[2:3], off
	s_waitcnt vmcnt(0)
	v_subrev_nc_u32_e32 v2, s12, v2
	v_subrev_nc_u32_e32 v17, s12, v3
	v_add_nc_u32_e32 v2, v2, v0
	s_delay_alu instid0(VALU_DEP_1)
	v_cmp_lt_i32_e64 s2, v2, v17
	s_cbranch_scc0 .LBB93_18
; %bb.10:
	v_dual_mov_b32 v13, 0 :: v_dual_mov_b32 v18, 0
	v_dual_mov_b32 v19, 0 :: v_dual_mov_b32 v14, 0
	;; [unrolled: 1-line block ×4, first 2 shown]
	s_mov_b32 s3, 0
	s_and_saveexec_b32 s4, s2
	s_cbranch_execz .LBB93_14
; %bb.11:
	v_mad_u64_u32 v[3:4], null, v2, 20, 16
	v_dual_mov_b32 v6, 0 :: v_dual_mov_b32 v7, v2
	v_dual_mov_b32 v13, 0 :: v_dual_mov_b32 v18, 0
	;; [unrolled: 1-line block ×5, first 2 shown]
	s_mov_b32 s5, 0
.LBB93_12:                              ; =>This Inner Loop Header: Depth=1
	v_ashrrev_i32_e32 v8, 31, v7
	s_delay_alu instid0(VALU_DEP_1) | instskip(NEXT) | instid1(VALU_DEP_1)
	v_lshlrev_b64 v[4:5], 2, v[7:8]
	v_add_co_u32 v4, vcc_lo, s6, v4
	s_delay_alu instid0(VALU_DEP_2) | instskip(SKIP_2) | instid1(VALU_DEP_1)
	v_add_co_ci_u32_e32 v5, vcc_lo, s7, v5, vcc_lo
	global_load_b32 v8, v[4:5], off
	v_dual_mov_b32 v4, v6 :: v_dual_add_nc_u32 v5, -16, v3
	v_lshlrev_b64 v[22:23], 3, v[5:6]
	v_add_nc_u32_e32 v5, -12, v3
	s_delay_alu instid0(VALU_DEP_3) | instskip(NEXT) | instid1(VALU_DEP_2)
	v_lshlrev_b64 v[24:25], 3, v[3:4]
	v_lshlrev_b64 v[4:5], 3, v[5:6]
	s_delay_alu instid0(VALU_DEP_4) | instskip(SKIP_1) | instid1(VALU_DEP_4)
	v_add_co_u32 v26, vcc_lo, s8, v22
	v_add_co_ci_u32_e32 v27, vcc_lo, s9, v23, vcc_lo
	v_add_co_u32 v34, vcc_lo, s8, v24
	v_add_co_ci_u32_e32 v35, vcc_lo, s9, v25, vcc_lo
	;; [unrolled: 2-line block ×3, first 2 shown]
	s_clause 0x5
	global_load_b128 v[22:25], v[26:27], off offset:16
	global_load_b128 v[26:29], v[26:27], off
	global_load_b128 v[30:33], v[34:35], off offset:16
	global_load_b128 v[34:37], v[34:35], off
	;; [unrolled: 2-line block ×3, first 2 shown]
	v_mov_b32_e32 v55, v6
	s_waitcnt vmcnt(6)
	v_subrev_nc_u32_e32 v4, s12, v8
	s_delay_alu instid0(VALU_DEP_1) | instskip(NEXT) | instid1(VALU_DEP_1)
	v_lshl_add_u32 v54, v4, 2, v4
	v_lshlrev_b64 v[46:47], 3, v[54:55]
	s_delay_alu instid0(VALU_DEP_1) | instskip(NEXT) | instid1(VALU_DEP_2)
	v_add_co_u32 v46, vcc_lo, s10, v46
	v_add_co_ci_u32_e32 v47, vcc_lo, s11, v47, vcc_lo
	global_load_b64 v[62:63], v[46:47], off
	s_waitcnt vmcnt(0)
	v_dual_fmac_f32 v14, v25, v62 :: v_dual_add_nc_u32 v7, 64, v7
	v_fmac_f32_e32 v16, v29, v62
	v_add_nc_u32_e32 v5, 1, v54
	v_fmac_f32_e32 v18, v26, v62
	v_fmac_f32_e32 v20, v22, v62
	;; [unrolled: 1-line block ×4, first 2 shown]
	v_lshlrev_b64 v[48:49], 3, v[5:6]
	v_add_nc_u32_e32 v5, -8, v3
	v_fma_f32 v8, -v27, v63, v18
	v_fma_f32 v20, -v23, v63, v20
	s_delay_alu instid0(VALU_DEP_3) | instskip(SKIP_3) | instid1(VALU_DEP_3)
	v_lshlrev_b64 v[50:51], 3, v[5:6]
	v_add_nc_u32_e32 v5, 2, v54
	v_add_co_u32 v46, vcc_lo, s10, v48
	v_add_co_ci_u32_e32 v47, vcc_lo, s11, v49, vcc_lo
	v_lshlrev_b64 v[48:49], 3, v[5:6]
	v_add_co_u32 v50, vcc_lo, s8, v50
	global_load_b64 v[64:65], v[46:47], off
	v_add_co_ci_u32_e32 v51, vcc_lo, s9, v51, vcc_lo
	v_add_co_u32 v57, vcc_lo, s10, v48
	v_add_co_ci_u32_e32 v58, vcc_lo, s11, v49, vcc_lo
	s_clause 0x1
	global_load_b128 v[46:49], v[50:51], off offset:16
	global_load_b128 v[50:53], v[50:51], off
	v_add_nc_u32_e32 v5, -4, v3
	v_fmac_f32_e32 v13, v27, v62
	global_load_b64 v[66:67], v[57:58], off
	s_waitcnt vmcnt(3)
	v_dual_fmac_f32 v20, v38, v64 :: v_dual_add_nc_u32 v3, 0x500, v3
	v_fmac_f32_e32 v8, v42, v64
	v_dual_fmac_f32 v14, v41, v64 :: v_dual_fmac_f32 v13, v26, v63
	v_lshlrev_b64 v[55:56], 3, v[5:6]
	s_delay_alu instid0(VALU_DEP_4) | instskip(NEXT) | instid1(VALU_DEP_4)
	v_fma_f32 v20, -v39, v65, v20
	v_fma_f32 v8, -v43, v65, v8
	s_delay_alu instid0(VALU_DEP_4)
	v_dual_fmac_f32 v14, v40, v65 :: v_dual_fmac_f32 v13, v43, v64
	v_fmac_f32_e32 v16, v45, v64
	v_add_co_u32 v68, vcc_lo, s8, v55
	s_waitcnt vmcnt(0)
	v_fmac_f32_e32 v8, v50, v66
	v_add_co_ci_u32_e32 v69, vcc_lo, s9, v56, vcc_lo
	v_dual_fmac_f32 v15, v23, v62 :: v_dual_fmac_f32 v16, v44, v65
	s_delay_alu instid0(VALU_DEP_3) | instskip(SKIP_2) | instid1(VALU_DEP_4)
	v_fma_f32 v8, -v51, v67, v8
	v_fmac_f32_e32 v21, v28, v62
	v_dual_fmac_f32 v13, v42, v65 :: v_dual_fmac_f32 v14, v49, v66
	v_fmac_f32_e32 v16, v53, v66
	v_fmac_f32_e32 v20, v46, v66
	s_delay_alu instid0(VALU_DEP_4) | instskip(SKIP_3) | instid1(VALU_DEP_4)
	v_fma_f32 v18, -v29, v63, v21
	v_add_nc_u32_e32 v5, 3, v54
	v_dual_fmac_f32 v13, v51, v66 :: v_dual_fmac_f32 v14, v48, v67
	v_fmac_f32_e32 v16, v52, v67
	v_fmac_f32_e32 v18, v44, v64
	s_delay_alu instid0(VALU_DEP_4) | instskip(SKIP_2) | instid1(VALU_DEP_4)
	v_lshlrev_b64 v[59:60], 3, v[5:6]
	v_add_nc_u32_e32 v5, 4, v54
	v_fma_f32 v20, -v47, v67, v20
	v_fma_f32 v18, -v45, v65, v18
	v_fmac_f32_e32 v15, v22, v63
	v_add_co_u32 v70, vcc_lo, s10, v59
	v_add_co_ci_u32_e32 v71, vcc_lo, s11, v60, vcc_lo
	s_delay_alu instid0(VALU_DEP_4)
	v_fmac_f32_e32 v18, v52, v66
	s_clause 0x1
	global_load_b128 v[54:57], v[68:69], off offset:16
	global_load_b128 v[58:61], v[68:69], off
	global_load_b64 v[68:69], v[70:71], off
	v_lshlrev_b64 v[4:5], 3, v[5:6]
	v_fmac_f32_e32 v15, v39, v64
	v_fmac_f32_e32 v19, v24, v62
	;; [unrolled: 1-line block ×3, first 2 shown]
	v_fma_f32 v18, -v53, v67, v18
	v_add_co_u32 v4, vcc_lo, s10, v4
	v_add_co_ci_u32_e32 v5, vcc_lo, s11, v5, vcc_lo
	v_fmac_f32_e32 v15, v38, v65
	v_cmp_ge_i32_e32 vcc_lo, v7, v17
	global_load_b64 v[4:5], v[4:5], off
	v_fmac_f32_e32 v15, v47, v66
	s_or_b32 s5, vcc_lo, s5
	s_waitcnt vmcnt(1)
	v_fmac_f32_e32 v18, v60, v68
	v_fmac_f32_e32 v16, v61, v68
	v_fma_f32 v19, -v25, v63, v19
	v_dual_fmac_f32 v15, v46, v67 :: v_dual_fmac_f32 v14, v57, v68
	s_delay_alu instid0(VALU_DEP_3) | instskip(NEXT) | instid1(VALU_DEP_3)
	v_dual_fmac_f32 v13, v59, v68 :: v_dual_fmac_f32 v16, v60, v69
	v_fmac_f32_e32 v19, v40, v64
	v_fmac_f32_e32 v20, v54, v68
	;; [unrolled: 1-line block ×5, first 2 shown]
	v_fma_f32 v19, -v41, v65, v19
	v_fma_f32 v21, -v61, v69, v18
	s_waitcnt vmcnt(0)
	v_fmac_f32_e32 v16, v37, v4
	v_fmac_f32_e32 v15, v55, v68
	v_fma_f32 v8, -v59, v69, v8
	v_fmac_f32_e32 v19, v48, v66
	v_fma_f32 v20, -v55, v69, v20
	v_fmac_f32_e32 v16, v36, v5
	v_dual_fmac_f32 v15, v54, v69 :: v_dual_fmac_f32 v14, v33, v4
	s_delay_alu instid0(VALU_DEP_4)
	v_fma_f32 v19, -v49, v67, v19
	v_fmac_f32_e32 v8, v34, v4
	v_fmac_f32_e32 v13, v35, v4
	;; [unrolled: 1-line block ×7, first 2 shown]
	v_fma_f32 v18, -v35, v5, v8
	v_fmac_f32_e32 v13, v34, v5
	v_fma_f32 v19, -v57, v69, v19
	v_fma_f32 v21, -v37, v5, v21
	;; [unrolled: 1-line block ×3, first 2 shown]
	v_fmac_f32_e32 v15, v30, v5
	s_delay_alu instid0(VALU_DEP_4) | instskip(NEXT) | instid1(VALU_DEP_1)
	v_fmac_f32_e32 v19, v32, v4
	v_fma_f32 v19, -v33, v5, v19
	s_and_not1_b32 exec_lo, exec_lo, s5
	s_cbranch_execnz .LBB93_12
; %bb.13:
	s_or_b32 exec_lo, exec_lo, s5
.LBB93_14:
	s_delay_alu instid0(SALU_CYCLE_1) | instskip(NEXT) | instid1(SALU_CYCLE_1)
	s_or_b32 exec_lo, exec_lo, s4
	s_and_not1_b32 vcc_lo, exec_lo, s3
	s_cbranch_vccz .LBB93_19
	s_branch .LBB93_24
.LBB93_15:
	v_dual_mov_b32 v1, s4 :: v_dual_mov_b32 v2, s5
	flat_load_b32 v9, v[1:2]
	v_cndmask_b32_e64 v1, 0, 1, s6
	v_mov_b32_e32 v10, s5
	s_and_not1_b32 vcc_lo, exec_lo, s6
	s_cbranch_vccnz .LBB93_2
.LBB93_16:
	v_dual_mov_b32 v2, s4 :: v_dual_mov_b32 v3, s5
	flat_load_b32 v10, v[2:3] offset:4
	v_cmp_ne_u32_e32 vcc_lo, 1, v1
	v_mov_b32_e32 v11, s2
	s_cbranch_vccnz .LBB93_3
.LBB93_17:
	v_dual_mov_b32 v2, s2 :: v_dual_mov_b32 v3, s3
	flat_load_b32 v11, v[2:3]
	v_cmp_ne_u32_e32 vcc_lo, 1, v1
	v_mov_b32_e32 v12, s3
	s_cbranch_vccz .LBB93_4
	s_branch .LBB93_5
.LBB93_18:
                                        ; implicit-def: $vgpr13
                                        ; implicit-def: $vgpr18
                                        ; implicit-def: $vgpr19
                                        ; implicit-def: $vgpr14
                                        ; implicit-def: $vgpr20
                                        ; implicit-def: $vgpr15
                                        ; implicit-def: $vgpr21
                                        ; implicit-def: $vgpr16
.LBB93_19:
	v_dual_mov_b32 v13, 0 :: v_dual_mov_b32 v18, 0
	v_dual_mov_b32 v19, 0 :: v_dual_mov_b32 v14, 0
	;; [unrolled: 1-line block ×4, first 2 shown]
	s_and_saveexec_b32 s3, s2
	s_cbranch_execz .LBB93_23
; %bb.20:
	v_mad_u64_u32 v[4:5], null, v2, 20, 19
	v_dual_mov_b32 v7, 0 :: v_dual_mov_b32 v18, 0
	v_dual_mov_b32 v13, 0 :: v_dual_mov_b32 v14, 0
	;; [unrolled: 1-line block ×4, first 2 shown]
	v_mov_b32_e32 v21, 0
	s_mov_b32 s2, 0
.LBB93_21:                              ; =>This Inner Loop Header: Depth=1
	v_ashrrev_i32_e32 v3, 31, v2
	v_dual_mov_b32 v31, v7 :: v_dual_add_nc_u32 v22, -14, v4
	v_dual_mov_b32 v23, v7 :: v_dual_add_nc_u32 v24, -9, v4
	s_delay_alu instid0(VALU_DEP_3) | instskip(SKIP_1) | instid1(VALU_DEP_3)
	v_lshlrev_b64 v[5:6], 2, v[2:3]
	v_dual_mov_b32 v25, v7 :: v_dual_add_nc_u32 v26, -4, v4
	v_lshlrev_b64 v[22:23], 3, v[22:23]
	s_delay_alu instid0(VALU_DEP_3) | instskip(NEXT) | instid1(VALU_DEP_4)
	v_add_co_u32 v5, vcc_lo, s6, v5
	v_add_co_ci_u32_e32 v6, vcc_lo, s7, v6, vcc_lo
	s_delay_alu instid0(VALU_DEP_4) | instskip(SKIP_3) | instid1(VALU_DEP_2)
	v_lshlrev_b64 v[24:25], 3, v[24:25]
	global_load_b32 v3, v[5:6], off
	v_subrev_nc_u32_e32 v6, 19, v4
	v_mov_b32_e32 v5, v7
	v_lshlrev_b64 v[28:29], 3, v[6:7]
	s_delay_alu instid0(VALU_DEP_2) | instskip(NEXT) | instid1(VALU_DEP_2)
	v_lshlrev_b64 v[5:6], 3, v[4:5]
	v_add_co_u32 v28, vcc_lo, s8, v28
	s_delay_alu instid0(VALU_DEP_3)
	v_add_co_ci_u32_e32 v29, vcc_lo, s9, v29, vcc_lo
	v_add_co_u32 v32, vcc_lo, s8, v22
	v_add_co_ci_u32_e32 v33, vcc_lo, s9, v23, vcc_lo
	v_add_co_u32 v34, vcc_lo, s8, v24
	v_add_co_ci_u32_e32 v35, vcc_lo, s9, v25, vcc_lo
	s_waitcnt vmcnt(0)
	v_subrev_nc_u32_e32 v3, s12, v3
	s_delay_alu instid0(VALU_DEP_1) | instskip(SKIP_1) | instid1(VALU_DEP_2)
	v_lshl_add_u32 v30, v3, 2, v3
	v_mov_b32_e32 v27, v7
	v_lshlrev_b64 v[40:41], 3, v[30:31]
	s_delay_alu instid0(VALU_DEP_2) | instskip(NEXT) | instid1(VALU_DEP_1)
	v_lshlrev_b64 v[26:27], 3, v[26:27]
	v_add_co_u32 v36, vcc_lo, s8, v26
	s_delay_alu instid0(VALU_DEP_2)
	v_add_co_ci_u32_e32 v37, vcc_lo, s9, v27, vcc_lo
	v_add_co_u32 v38, vcc_lo, s8, v5
	v_add_co_ci_u32_e32 v39, vcc_lo, s9, v6, vcc_lo
	v_add_nc_u32_e32 v6, 1, v30
	v_add_co_u32 v40, vcc_lo, s10, v40
	v_add_co_ci_u32_e32 v41, vcc_lo, s11, v41, vcc_lo
	s_clause 0x4
	global_load_b128 v[22:25], v[28:29], off offset:16
	global_load_b128 v[26:29], v[28:29], off
	global_load_b64 v[32:33], v[32:33], off
	global_load_b64 v[34:35], v[34:35], off
	;; [unrolled: 1-line block ×3, first 2 shown]
	v_lshlrev_b64 v[42:43], 3, v[6:7]
	v_add_nc_u32_e32 v6, -13, v4
	global_load_b64 v[40:41], v[40:41], off
	v_add_co_u32 v42, vcc_lo, s10, v42
	v_add_co_ci_u32_e32 v43, vcc_lo, s11, v43, vcc_lo
	v_lshlrev_b64 v[44:45], 3, v[6:7]
	global_load_b64 v[42:43], v[42:43], off
	v_add_nc_u32_e32 v2, 64, v2
	v_add_co_u32 v44, vcc_lo, s8, v44
	v_add_co_ci_u32_e32 v45, vcc_lo, s9, v45, vcc_lo
	global_load_b64 v[44:45], v[44:45], off
	s_waitcnt vmcnt(2)
	v_fmac_f32_e32 v13, v27, v40
	v_add_nc_u32_e32 v6, -8, v4
	v_fmac_f32_e32 v15, v35, v40
	v_fmac_f32_e32 v21, v32, v40
	;; [unrolled: 1-line block ×4, first 2 shown]
	v_lshlrev_b64 v[46:47], 3, v[6:7]
	v_dual_fmac_f32 v15, v34, v41 :: v_dual_add_nc_u32 v6, -3, v4
	v_fma_f32 v8, -v33, v41, v21
	v_fma_f32 v19, -v37, v41, v19
	s_waitcnt vmcnt(1)
	v_fmac_f32_e32 v13, v29, v42
	v_lshlrev_b64 v[48:49], 3, v[6:7]
	v_add_nc_u32_e32 v6, 2, v30
	v_add_co_u32 v46, vcc_lo, s8, v46
	v_add_co_ci_u32_e32 v47, vcc_lo, s9, v47, vcc_lo
	s_delay_alu instid0(VALU_DEP_3)
	v_lshlrev_b64 v[50:51], 3, v[6:7]
	v_add_co_u32 v48, vcc_lo, s8, v48
	v_add_co_ci_u32_e32 v49, vcc_lo, s9, v49, vcc_lo
	global_load_b64 v[46:47], v[46:47], off
	v_add_co_u32 v50, vcc_lo, s10, v50
	global_load_b64 v[48:49], v[48:49], off
	v_add_co_ci_u32_e32 v51, vcc_lo, s11, v51, vcc_lo
	v_fmac_f32_e32 v13, v28, v43
	global_load_b64 v[50:51], v[50:51], off
	v_fmac_f32_e32 v18, v26, v40
	s_delay_alu instid0(VALU_DEP_1) | instskip(NEXT) | instid1(VALU_DEP_1)
	v_fma_f32 v3, -v27, v41, v18
	v_dual_fmac_f32 v3, v28, v42 :: v_dual_add_nc_u32 v6, -12, v4
	s_delay_alu instid0(VALU_DEP_1) | instskip(SKIP_1) | instid1(VALU_DEP_3)
	v_lshlrev_b64 v[52:53], 3, v[6:7]
	v_add_nc_u32_e32 v6, -7, v4
	v_fma_f32 v3, -v29, v43, v3
	s_delay_alu instid0(VALU_DEP_2) | instskip(SKIP_3) | instid1(VALU_DEP_3)
	v_lshlrev_b64 v[54:55], 3, v[6:7]
	v_add_nc_u32_e32 v6, -2, v4
	v_add_co_u32 v52, vcc_lo, s8, v52
	v_add_co_ci_u32_e32 v53, vcc_lo, s9, v53, vcc_lo
	v_lshlrev_b64 v[56:57], 3, v[6:7]
	v_add_co_u32 v54, vcc_lo, s8, v54
	v_add_co_ci_u32_e32 v55, vcc_lo, s9, v55, vcc_lo
	global_load_b64 v[52:53], v[52:53], off
	v_add_co_u32 v56, vcc_lo, s8, v56
	global_load_b64 v[54:55], v[54:55], off
	v_add_co_ci_u32_e32 v57, vcc_lo, s9, v57, vcc_lo
	v_add_nc_u32_e32 v6, 3, v30
	global_load_b64 v[56:57], v[56:57], off
	v_lshlrev_b64 v[58:59], 3, v[6:7]
	v_add_nc_u32_e32 v6, -11, v4
	s_delay_alu instid0(VALU_DEP_2) | instskip(NEXT) | instid1(VALU_DEP_3)
	v_add_co_u32 v58, vcc_lo, s10, v58
	v_add_co_ci_u32_e32 v59, vcc_lo, s11, v59, vcc_lo
	global_load_b64 v[58:59], v[58:59], off
	s_waitcnt vmcnt(6)
	v_fmac_f32_e32 v15, v47, v42
	v_lshlrev_b64 v[60:61], 3, v[6:7]
	s_waitcnt vmcnt(5)
	v_dual_fmac_f32 v19, v48, v42 :: v_dual_add_nc_u32 v6, -6, v4
	s_delay_alu instid0(VALU_DEP_3) | instskip(NEXT) | instid1(VALU_DEP_2)
	v_fmac_f32_e32 v15, v46, v43
	v_lshlrev_b64 v[62:63], 3, v[6:7]
	v_add_nc_u32_e32 v6, -1, v4
	v_add_co_u32 v60, vcc_lo, s8, v60
	v_add_co_ci_u32_e32 v61, vcc_lo, s9, v61, vcc_lo
	s_delay_alu instid0(VALU_DEP_3) | instskip(SKIP_4) | instid1(VALU_DEP_3)
	v_lshlrev_b64 v[64:65], 3, v[6:7]
	s_waitcnt vmcnt(4)
	v_dual_fmac_f32 v3, v22, v50 :: v_dual_add_nc_u32 v6, -15, v4
	v_add_co_u32 v62, vcc_lo, s8, v62
	v_fmac_f32_e32 v13, v23, v50
	v_lshlrev_b64 v[66:67], 3, v[6:7]
	v_add_nc_u32_e32 v6, 4, v30
	v_add_co_ci_u32_e32 v63, vcc_lo, s9, v63, vcc_lo
	s_delay_alu instid0(VALU_DEP_4)
	v_fmac_f32_e32 v13, v22, v51
	v_add_co_u32 v30, vcc_lo, s8, v64
	v_add_co_ci_u32_e32 v31, vcc_lo, s9, v65, vcc_lo
	v_lshlrev_b64 v[64:65], 3, v[6:7]
	v_add_nc_u32_e32 v6, -10, v4
	v_add_co_u32 v66, vcc_lo, s8, v66
	v_add_co_ci_u32_e32 v67, vcc_lo, s9, v67, vcc_lo
	s_delay_alu instid0(VALU_DEP_4)
	v_add_co_u32 v64, vcc_lo, s10, v64
	v_fma_f32 v19, -v49, v43, v19
	v_add_co_ci_u32_e32 v65, vcc_lo, s11, v65, vcc_lo
	s_clause 0x1
	global_load_b64 v[60:61], v[60:61], off
	global_load_b64 v[62:63], v[62:63], off
	s_waitcnt vmcnt(4)
	v_fmac_f32_e32 v15, v55, v50
	v_lshlrev_b64 v[68:69], 3, v[6:7]
	v_add_nc_u32_e32 v6, -5, v4
	global_load_b64 v[66:67], v[66:67], off
	global_load_b64 v[64:65], v[64:65], off
	;; [unrolled: 1-line block ×3, first 2 shown]
	s_waitcnt vmcnt(6)
	v_fmac_f32_e32 v19, v56, v50
	v_lshlrev_b64 v[5:6], 3, v[6:7]
	v_add_co_u32 v68, vcc_lo, s8, v68
	v_add_co_ci_u32_e32 v69, vcc_lo, s9, v69, vcc_lo
	v_fmac_f32_e32 v20, v34, v40
	s_delay_alu instid0(VALU_DEP_4)
	v_add_co_u32 v5, vcc_lo, s8, v5
	v_add_co_ci_u32_e32 v6, vcc_lo, s9, v6, vcc_lo
	s_clause 0x2
	global_load_b64 v[68:69], v[68:69], off
	global_load_b64 v[5:6], v[5:6], off
	;; [unrolled: 1-line block ×3, first 2 shown]
	v_fma_f32 v3, -v23, v51, v3
	s_waitcnt vmcnt(8)
	v_fmac_f32_e32 v13, v25, v58
	v_fmac_f32_e32 v16, v33, v40
	;; [unrolled: 1-line block ×3, first 2 shown]
	v_dual_fmac_f32 v15, v54, v51 :: v_dual_add_nc_u32 v4, 0x500, v4
	v_fma_f32 v18, -v35, v41, v20
	v_fmac_f32_e32 v3, v24, v58
	v_fmac_f32_e32 v16, v32, v41
	v_fmac_f32_e32 v13, v24, v59
	v_fmac_f32_e32 v14, v36, v41
	v_fmac_f32_e32 v18, v46, v42
	v_fma_f32 v19, -v57, v51, v19
	v_fma_f32 v3, -v25, v59, v3
	v_fmac_f32_e32 v16, v45, v42
	v_cmp_ge_i32_e32 vcc_lo, v2, v17
	s_or_b32 s2, vcc_lo, s2
	s_waitcnt vmcnt(6)
	v_fmac_f32_e32 v15, v63, v58
	s_delay_alu instid0(VALU_DEP_1) | instskip(SKIP_2) | instid1(VALU_DEP_2)
	v_dual_fmac_f32 v8, v44, v42 :: v_dual_fmac_f32 v15, v62, v59
	s_waitcnt vmcnt(4)
	v_dual_fmac_f32 v13, v67, v64 :: v_dual_fmac_f32 v14, v49, v42
	v_fma_f32 v8, -v45, v43, v8
	v_fma_f32 v18, -v47, v43, v18
	s_waitcnt vmcnt(3)
	v_fmac_f32_e32 v19, v30, v58
	v_dual_fmac_f32 v13, v66, v65 :: v_dual_fmac_f32 v14, v48, v43
	v_dual_fmac_f32 v3, v66, v64 :: v_dual_fmac_f32 v16, v44, v43
	v_fmac_f32_e32 v18, v54, v50
	s_delay_alu instid0(VALU_DEP_4)
	v_fma_f32 v19, -v31, v59, v19
	v_fmac_f32_e32 v8, v52, v50
	s_waitcnt vmcnt(1)
	v_dual_fmac_f32 v16, v53, v50 :: v_dual_fmac_f32 v15, v6, v64
	s_waitcnt vmcnt(0)
	v_dual_fmac_f32 v19, v38, v64 :: v_dual_fmac_f32 v14, v57, v50
	v_fma_f32 v8, -v53, v51, v8
	s_delay_alu instid0(VALU_DEP_3) | instskip(SKIP_1) | instid1(VALU_DEP_4)
	v_dual_fmac_f32 v16, v52, v51 :: v_dual_fmac_f32 v15, v5, v65
	v_fma_f32 v18, -v55, v51, v18
	v_fmac_f32_e32 v14, v56, v51
	s_delay_alu instid0(VALU_DEP_4) | instskip(NEXT) | instid1(VALU_DEP_4)
	v_fmac_f32_e32 v8, v60, v58
	v_fmac_f32_e32 v16, v61, v58
	v_fma_f32 v19, -v39, v65, v19
	v_fmac_f32_e32 v18, v62, v58
	v_fmac_f32_e32 v14, v31, v58
	v_fma_f32 v8, -v61, v59, v8
	v_fmac_f32_e32 v16, v60, v59
	s_delay_alu instid0(VALU_DEP_4) | instskip(NEXT) | instid1(VALU_DEP_4)
	v_fma_f32 v20, -v63, v59, v18
	v_fmac_f32_e32 v14, v30, v59
	s_delay_alu instid0(VALU_DEP_4) | instskip(NEXT) | instid1(VALU_DEP_4)
	v_fmac_f32_e32 v8, v68, v64
	v_fmac_f32_e32 v16, v69, v64
	v_fma_f32 v18, -v67, v65, v3
	v_fmac_f32_e32 v20, v5, v64
	v_fmac_f32_e32 v14, v39, v64
	v_fma_f32 v21, -v69, v65, v8
	v_fmac_f32_e32 v16, v68, v65
	s_delay_alu instid0(VALU_DEP_4) | instskip(NEXT) | instid1(VALU_DEP_4)
	v_fma_f32 v20, -v6, v65, v20
	v_fmac_f32_e32 v14, v38, v65
	s_and_not1_b32 exec_lo, exec_lo, s2
	s_cbranch_execnz .LBB93_21
; %bb.22:
	s_or_b32 exec_lo, exec_lo, s2
.LBB93_23:
	s_delay_alu instid0(SALU_CYCLE_1)
	s_or_b32 exec_lo, exec_lo, s3
.LBB93_24:
	v_mbcnt_lo_u32_b32 v2, -1, 0
	s_delay_alu instid0(VALU_DEP_1) | instskip(SKIP_1) | instid1(VALU_DEP_2)
	v_or_b32_e32 v3, 32, v2
	v_xor_b32_e32 v23, 16, v2
	v_cmp_gt_i32_e32 vcc_lo, 32, v3
	v_cndmask_b32_e32 v3, v2, v3, vcc_lo
	s_delay_alu instid0(VALU_DEP_3) | instskip(NEXT) | instid1(VALU_DEP_2)
	v_cmp_gt_i32_e32 vcc_lo, 32, v23
	v_lshlrev_b32_e32 v3, 2, v3
	ds_bpermute_b32 v4, v3, v18
	s_waitcnt lgkmcnt(0)
	v_add_f32_e32 v4, v18, v4
	ds_bpermute_b32 v8, v3, v20
	ds_bpermute_b32 v5, v3, v13
	;; [unrolled: 1-line block ×7, first 2 shown]
	s_waitcnt lgkmcnt(6)
	v_dual_cndmask_b32 v23, v2, v23 :: v_dual_add_f32 v8, v20, v8
	s_waitcnt lgkmcnt(4)
	s_delay_alu instid0(VALU_DEP_1)
	v_dual_add_f32 v6, v21, v6 :: v_dual_lshlrev_b32 v23, 2, v23
	v_add_f32_e32 v5, v13, v5
	s_waitcnt lgkmcnt(0)
	v_add_f32_e32 v3, v14, v3
	ds_bpermute_b32 v14, v23, v4
	s_waitcnt lgkmcnt(0)
	v_dual_add_f32 v4, v4, v14 :: v_dual_add_f32 v13, v15, v17
	ds_bpermute_b32 v17, v23, v6
	v_add_f32_e32 v7, v16, v7
	ds_bpermute_b32 v20, v23, v13
	s_waitcnt lgkmcnt(1)
	v_dual_add_f32 v6, v6, v17 :: v_dual_add_f32 v15, v19, v22
	ds_bpermute_b32 v19, v23, v8
	ds_bpermute_b32 v18, v23, v7
	ds_bpermute_b32 v22, v23, v3
	ds_bpermute_b32 v21, v23, v15
	s_waitcnt lgkmcnt(3)
	v_add_f32_e32 v8, v8, v19
	ds_bpermute_b32 v16, v23, v5
	v_xor_b32_e32 v23, 8, v2
	s_delay_alu instid0(VALU_DEP_1) | instskip(SKIP_1) | instid1(VALU_DEP_1)
	v_cmp_gt_i32_e32 vcc_lo, 32, v23
	v_cndmask_b32_e32 v23, v2, v23, vcc_lo
	v_lshlrev_b32_e32 v23, 2, v23
	ds_bpermute_b32 v17, v23, v6
	s_waitcnt lgkmcnt(0)
	v_add_f32_e32 v6, v6, v17
	v_add_f32_e32 v14, v15, v21
	ds_bpermute_b32 v21, v23, v14
	s_waitcnt lgkmcnt(0)
	v_add_f32_e32 v14, v14, v21
	ds_bpermute_b32 v15, v23, v4
	ds_bpermute_b32 v19, v23, v8
	v_add_f32_e32 v5, v5, v16
	v_add_f32_e32 v3, v3, v22
	ds_bpermute_b32 v22, v23, v3
	s_waitcnt lgkmcnt(2)
	v_dual_add_f32 v4, v4, v15 :: v_dual_add_f32 v7, v7, v18
	s_waitcnt lgkmcnt(1)
	v_dual_add_f32 v8, v8, v19 :: v_dual_add_f32 v13, v13, v20
	ds_bpermute_b32 v16, v23, v5
	ds_bpermute_b32 v18, v23, v7
	;; [unrolled: 1-line block ×3, first 2 shown]
	v_xor_b32_e32 v23, 4, v2
	s_delay_alu instid0(VALU_DEP_1) | instskip(SKIP_1) | instid1(VALU_DEP_1)
	v_cmp_gt_i32_e32 vcc_lo, 32, v23
	v_cndmask_b32_e32 v23, v2, v23, vcc_lo
	v_lshlrev_b32_e32 v23, 2, v23
	s_waitcnt lgkmcnt(2)
	v_add_f32_e32 v5, v5, v16
	ds_bpermute_b32 v15, v23, v4
	ds_bpermute_b32 v16, v23, v5
	ds_bpermute_b32 v19, v23, v8
	ds_bpermute_b32 v21, v23, v14
	ds_bpermute_b32 v17, v23, v6
	s_waitcnt lgkmcnt(4)
	v_dual_add_f32 v4, v4, v15 :: v_dual_add_f32 v7, v7, v18
	s_waitcnt lgkmcnt(2)
	v_dual_add_f32 v5, v5, v16 :: v_dual_add_f32 v8, v8, v19
	v_add_f32_e32 v13, v13, v20
	s_waitcnt lgkmcnt(0)
	v_add_f32_e32 v15, v6, v17
	ds_bpermute_b32 v18, v23, v7
	ds_bpermute_b32 v20, v23, v13
	s_waitcnt lgkmcnt(1)
	v_add_f32_e32 v16, v7, v18
	v_dual_add_f32 v18, v14, v21 :: v_dual_add_f32 v3, v3, v22
	s_waitcnt lgkmcnt(0)
	v_add_f32_e32 v17, v13, v20
	ds_bpermute_b32 v22, v23, v3
	v_xor_b32_e32 v23, 2, v2
	s_delay_alu instid0(VALU_DEP_1) | instskip(SKIP_1) | instid1(VALU_DEP_1)
	v_cmp_gt_i32_e32 vcc_lo, 32, v23
	v_cndmask_b32_e32 v23, v2, v23, vcc_lo
	v_lshlrev_b32_e32 v23, 2, v23
	s_waitcnt lgkmcnt(0)
	v_add_f32_e32 v19, v3, v22
	ds_bpermute_b32 v3, v23, v4
	ds_bpermute_b32 v6, v23, v5
	;; [unrolled: 1-line block ×8, first 2 shown]
	v_xor_b32_e32 v23, 1, v2
	s_delay_alu instid0(VALU_DEP_1) | instskip(SKIP_4) | instid1(VALU_DEP_3)
	v_cmp_gt_i32_e32 vcc_lo, 32, v23
	v_cndmask_b32_e32 v2, v2, v23, vcc_lo
	v_cmp_eq_u32_e32 vcc_lo, 63, v0
	s_waitcnt lgkmcnt(5)
	v_dual_add_f32 v6, v5, v6 :: v_dual_add_f32 v7, v15, v7
	v_dual_add_f32 v2, v4, v3 :: v_dual_lshlrev_b32 v23, 2, v2
	s_waitcnt lgkmcnt(4)
	v_add_f32_e32 v13, v16, v13
	s_waitcnt lgkmcnt(2)
	v_dual_add_f32 v14, v8, v14 :: v_dual_add_f32 v15, v17, v20
	s_waitcnt lgkmcnt(1)
	v_add_f32_e32 v3, v18, v21
	s_waitcnt lgkmcnt(0)
	v_add_f32_e32 v5, v19, v22
	ds_bpermute_b32 v4, v23, v2
	ds_bpermute_b32 v8, v23, v6
	;; [unrolled: 1-line block ×8, first 2 shown]
	s_and_b32 exec_lo, exec_lo, vcc_lo
	s_cbranch_execz .LBB93_29
; %bb.25:
	s_load_b64 s[2:3], s[0:1], 0x38
	v_cmp_eq_f32_e32 vcc_lo, 0, v11
	v_cmp_eq_f32_e64 s0, 0, v12
	s_waitcnt lgkmcnt(0)
	v_add_f32_e32 v4, v2, v4
	v_dual_add_f32 v8, v6, v8 :: v_dual_add_f32 v5, v5, v17
	v_dual_add_f32 v0, v7, v18 :: v_dual_add_f32 v7, v13, v19
	v_add_f32_e32 v2, v14, v20
	v_add_f32_e32 v6, v15, v21
	;; [unrolled: 1-line block ×3, first 2 shown]
	s_and_b32 s0, vcc_lo, s0
	s_delay_alu instid0(SALU_CYCLE_1) | instskip(NEXT) | instid1(SALU_CYCLE_1)
	s_and_saveexec_b32 s1, s0
	s_xor_b32 s0, exec_lo, s1
	s_cbranch_execz .LBB93_27
; %bb.26:
	v_mul_f32_e64 v11, v8, -v10
	v_mul_f32_e32 v12, v8, v9
	v_mul_f32_e64 v13, v7, -v10
	v_mul_f32_e32 v14, v7, v9
	v_mul_f32_e64 v15, v6, -v10
	v_fmac_f32_e32 v11, v9, v4
	v_dual_fmac_f32 v12, v10, v4 :: v_dual_lshlrev_b32 v17, 2, v1
	s_delay_alu instid0(VALU_DEP_3) | instskip(SKIP_1) | instid1(VALU_DEP_3)
	v_dual_mul_f32 v16, v6, v9 :: v_dual_fmac_f32 v15, v9, v2
	v_fmac_f32_e32 v13, v9, v0
	v_ashrrev_i32_e32 v18, 31, v17
                                        ; implicit-def: $vgpr1
                                        ; implicit-def: $vgpr4
                                        ; implicit-def: $vgpr8
	s_delay_alu instid0(VALU_DEP_3) | instskip(NEXT) | instid1(VALU_DEP_2)
	v_fmac_f32_e32 v16, v10, v2
                                        ; implicit-def: $vgpr2
	v_lshlrev_b64 v[6:7], 3, v[17:18]
	v_mul_f32_e64 v17, v5, -v10
	v_mul_f32_e32 v18, v5, v9
	v_fmac_f32_e32 v14, v10, v0
                                        ; implicit-def: $vgpr0
                                        ; implicit-def: $vgpr5
	s_delay_alu instid0(VALU_DEP_3)
	v_fmac_f32_e32 v17, v9, v3
	v_add_co_u32 v6, vcc_lo, s2, v6
	v_add_co_ci_u32_e32 v7, vcc_lo, s3, v7, vcc_lo
	v_fmac_f32_e32 v18, v10, v3
	s_clause 0x1
	global_store_b128 v[6:7], v[11:14], off
	global_store_b128 v[6:7], v[15:18], off offset:16
                                        ; implicit-def: $vgpr9
                                        ; implicit-def: $vgpr10
                                        ; implicit-def: $vgpr11
                                        ; implicit-def: $vgpr12
                                        ; implicit-def: $vgpr7
                                        ; implicit-def: $vgpr6
                                        ; implicit-def: $vgpr3
.LBB93_27:
	s_and_not1_saveexec_b32 s0, s0
	s_cbranch_execz .LBB93_29
; %bb.28:
	v_mul_f32_e32 v22, v8, v9
	v_lshlrev_b32_e32 v13, 2, v1
	v_mul_f32_e64 v1, v8, -v10
	v_mul_f32_e64 v23, v7, -v10
	v_mul_f32_e32 v24, v7, v9
	v_mul_f32_e64 v7, v6, -v10
	s_delay_alu instid0(VALU_DEP_4) | instskip(SKIP_2) | instid1(VALU_DEP_4)
	v_dual_mul_f32 v6, v6, v9 :: v_dual_fmac_f32 v1, v9, v4
	v_fmac_f32_e32 v22, v10, v4
	v_ashrrev_i32_e32 v14, 31, v13
	v_fmac_f32_e32 v7, v9, v2
	v_mul_f32_e64 v27, v5, -v10
	v_fmac_f32_e32 v23, v9, v0
	v_fmac_f32_e32 v24, v10, v0
	v_lshlrev_b64 v[13:14], 3, v[13:14]
	s_delay_alu instid0(VALU_DEP_4) | instskip(NEXT) | instid1(VALU_DEP_2)
	v_fmac_f32_e32 v27, v9, v3
	v_add_co_u32 v25, vcc_lo, s2, v13
	s_delay_alu instid0(VALU_DEP_3)
	v_add_co_ci_u32_e32 v26, vcc_lo, s3, v14, vcc_lo
	s_clause 0x1
	global_load_b128 v[13:16], v[25:26], off
	global_load_b128 v[17:20], v[25:26], off offset:16
	v_mul_f32_e32 v8, v5, v9
	s_waitcnt vmcnt(1)
	v_dual_fmac_f32 v6, v10, v2 :: v_dual_fmac_f32 v1, v11, v13
	v_fmac_f32_e32 v23, v11, v15
	s_waitcnt vmcnt(0)
	v_dual_fmac_f32 v8, v10, v3 :: v_dual_fmac_f32 v7, v11, v17
	v_dual_fmac_f32 v22, v12, v13 :: v_dual_fmac_f32 v27, v11, v19
	v_fmac_f32_e32 v24, v12, v15
	v_fmac_f32_e32 v6, v12, v17
	s_delay_alu instid0(VALU_DEP_4)
	v_fmac_f32_e32 v8, v12, v19
	v_fma_f32 v21, -v12, v14, v1
	v_fmac_f32_e32 v22, v11, v14
	v_fma_f32 v23, -v12, v16, v23
	;; [unrolled: 2-line block ×4, first 2 shown]
	v_fmac_f32_e32 v8, v11, v20
	s_clause 0x1
	global_store_b128 v[25:26], v[21:24], off
	global_store_b128 v[25:26], v[5:8], off offset:16
.LBB93_29:
	s_nop 0
	s_sendmsg sendmsg(MSG_DEALLOC_VGPRS)
	s_endpgm
	.section	.rodata,"a",@progbits
	.p2align	6, 0x0
	.amdhsa_kernel _ZN9rocsparseL19gebsrmvn_4xn_kernelILj128ELj5ELj64E21rocsparse_complex_numIfEEEvi20rocsparse_direction_NS_24const_host_device_scalarIT2_EEPKiS8_PKS5_SA_S6_PS5_21rocsparse_index_base_b
		.amdhsa_group_segment_fixed_size 0
		.amdhsa_private_segment_fixed_size 0
		.amdhsa_kernarg_size 72
		.amdhsa_user_sgpr_count 15
		.amdhsa_user_sgpr_dispatch_ptr 0
		.amdhsa_user_sgpr_queue_ptr 0
		.amdhsa_user_sgpr_kernarg_segment_ptr 1
		.amdhsa_user_sgpr_dispatch_id 0
		.amdhsa_user_sgpr_private_segment_size 0
		.amdhsa_wavefront_size32 1
		.amdhsa_uses_dynamic_stack 0
		.amdhsa_enable_private_segment 0
		.amdhsa_system_sgpr_workgroup_id_x 1
		.amdhsa_system_sgpr_workgroup_id_y 0
		.amdhsa_system_sgpr_workgroup_id_z 0
		.amdhsa_system_sgpr_workgroup_info 0
		.amdhsa_system_vgpr_workitem_id 0
		.amdhsa_next_free_vgpr 72
		.amdhsa_next_free_sgpr 16
		.amdhsa_reserve_vcc 1
		.amdhsa_float_round_mode_32 0
		.amdhsa_float_round_mode_16_64 0
		.amdhsa_float_denorm_mode_32 3
		.amdhsa_float_denorm_mode_16_64 3
		.amdhsa_dx10_clamp 1
		.amdhsa_ieee_mode 1
		.amdhsa_fp16_overflow 0
		.amdhsa_workgroup_processor_mode 1
		.amdhsa_memory_ordered 1
		.amdhsa_forward_progress 0
		.amdhsa_shared_vgpr_count 0
		.amdhsa_exception_fp_ieee_invalid_op 0
		.amdhsa_exception_fp_denorm_src 0
		.amdhsa_exception_fp_ieee_div_zero 0
		.amdhsa_exception_fp_ieee_overflow 0
		.amdhsa_exception_fp_ieee_underflow 0
		.amdhsa_exception_fp_ieee_inexact 0
		.amdhsa_exception_int_div_zero 0
	.end_amdhsa_kernel
	.section	.text._ZN9rocsparseL19gebsrmvn_4xn_kernelILj128ELj5ELj64E21rocsparse_complex_numIfEEEvi20rocsparse_direction_NS_24const_host_device_scalarIT2_EEPKiS8_PKS5_SA_S6_PS5_21rocsparse_index_base_b,"axG",@progbits,_ZN9rocsparseL19gebsrmvn_4xn_kernelILj128ELj5ELj64E21rocsparse_complex_numIfEEEvi20rocsparse_direction_NS_24const_host_device_scalarIT2_EEPKiS8_PKS5_SA_S6_PS5_21rocsparse_index_base_b,comdat
.Lfunc_end93:
	.size	_ZN9rocsparseL19gebsrmvn_4xn_kernelILj128ELj5ELj64E21rocsparse_complex_numIfEEEvi20rocsparse_direction_NS_24const_host_device_scalarIT2_EEPKiS8_PKS5_SA_S6_PS5_21rocsparse_index_base_b, .Lfunc_end93-_ZN9rocsparseL19gebsrmvn_4xn_kernelILj128ELj5ELj64E21rocsparse_complex_numIfEEEvi20rocsparse_direction_NS_24const_host_device_scalarIT2_EEPKiS8_PKS5_SA_S6_PS5_21rocsparse_index_base_b
                                        ; -- End function
	.section	.AMDGPU.csdata,"",@progbits
; Kernel info:
; codeLenInByte = 4204
; NumSgprs: 18
; NumVgprs: 72
; ScratchSize: 0
; MemoryBound: 0
; FloatMode: 240
; IeeeMode: 1
; LDSByteSize: 0 bytes/workgroup (compile time only)
; SGPRBlocks: 2
; VGPRBlocks: 8
; NumSGPRsForWavesPerEU: 18
; NumVGPRsForWavesPerEU: 72
; Occupancy: 16
; WaveLimiterHint : 1
; COMPUTE_PGM_RSRC2:SCRATCH_EN: 0
; COMPUTE_PGM_RSRC2:USER_SGPR: 15
; COMPUTE_PGM_RSRC2:TRAP_HANDLER: 0
; COMPUTE_PGM_RSRC2:TGID_X_EN: 1
; COMPUTE_PGM_RSRC2:TGID_Y_EN: 0
; COMPUTE_PGM_RSRC2:TGID_Z_EN: 0
; COMPUTE_PGM_RSRC2:TIDIG_COMP_CNT: 0
	.section	.text._ZN9rocsparseL19gebsrmvn_4xn_kernelILj128ELj6ELj4E21rocsparse_complex_numIfEEEvi20rocsparse_direction_NS_24const_host_device_scalarIT2_EEPKiS8_PKS5_SA_S6_PS5_21rocsparse_index_base_b,"axG",@progbits,_ZN9rocsparseL19gebsrmvn_4xn_kernelILj128ELj6ELj4E21rocsparse_complex_numIfEEEvi20rocsparse_direction_NS_24const_host_device_scalarIT2_EEPKiS8_PKS5_SA_S6_PS5_21rocsparse_index_base_b,comdat
	.globl	_ZN9rocsparseL19gebsrmvn_4xn_kernelILj128ELj6ELj4E21rocsparse_complex_numIfEEEvi20rocsparse_direction_NS_24const_host_device_scalarIT2_EEPKiS8_PKS5_SA_S6_PS5_21rocsparse_index_base_b ; -- Begin function _ZN9rocsparseL19gebsrmvn_4xn_kernelILj128ELj6ELj4E21rocsparse_complex_numIfEEEvi20rocsparse_direction_NS_24const_host_device_scalarIT2_EEPKiS8_PKS5_SA_S6_PS5_21rocsparse_index_base_b
	.p2align	8
	.type	_ZN9rocsparseL19gebsrmvn_4xn_kernelILj128ELj6ELj4E21rocsparse_complex_numIfEEEvi20rocsparse_direction_NS_24const_host_device_scalarIT2_EEPKiS8_PKS5_SA_S6_PS5_21rocsparse_index_base_b,@function
_ZN9rocsparseL19gebsrmvn_4xn_kernelILj128ELj6ELj4E21rocsparse_complex_numIfEEEvi20rocsparse_direction_NS_24const_host_device_scalarIT2_EEPKiS8_PKS5_SA_S6_PS5_21rocsparse_index_base_b: ; @_ZN9rocsparseL19gebsrmvn_4xn_kernelILj128ELj6ELj4E21rocsparse_complex_numIfEEEvi20rocsparse_direction_NS_24const_host_device_scalarIT2_EEPKiS8_PKS5_SA_S6_PS5_21rocsparse_index_base_b
; %bb.0:
	s_clause 0x2
	s_load_b64 s[12:13], s[0:1], 0x40
	s_load_b64 s[4:5], s[0:1], 0x8
	;; [unrolled: 1-line block ×3, first 2 shown]
	s_waitcnt lgkmcnt(0)
	s_bitcmp1_b32 s13, 0
	v_mov_b32_e32 v9, s4
	s_cselect_b32 s6, -1, 0
	s_delay_alu instid0(SALU_CYCLE_1)
	s_and_b32 vcc_lo, exec_lo, s6
	s_xor_b32 s6, s6, -1
	s_cbranch_vccz .LBB94_15
; %bb.1:
	v_cndmask_b32_e64 v1, 0, 1, s6
	v_mov_b32_e32 v10, s5
	s_and_not1_b32 vcc_lo, exec_lo, s6
	s_cbranch_vccz .LBB94_16
.LBB94_2:
	s_delay_alu instid0(VALU_DEP_2)
	v_cmp_ne_u32_e32 vcc_lo, 1, v1
	v_mov_b32_e32 v11, s2
	s_cbranch_vccz .LBB94_17
.LBB94_3:
	v_cmp_ne_u32_e32 vcc_lo, 1, v1
	v_mov_b32_e32 v12, s3
	s_cbranch_vccnz .LBB94_5
.LBB94_4:
	v_dual_mov_b32 v1, s2 :: v_dual_mov_b32 v2, s3
	flat_load_b32 v12, v[1:2] offset:4
.LBB94_5:
	s_waitcnt vmcnt(0) lgkmcnt(0)
	v_cmp_eq_f32_e32 vcc_lo, 0, v9
	v_cmp_eq_f32_e64 s2, 0, v10
	s_delay_alu instid0(VALU_DEP_1)
	s_and_b32 s4, vcc_lo, s2
	s_mov_b32 s2, -1
	s_and_saveexec_b32 s3, s4
; %bb.6:
	v_cmp_neq_f32_e32 vcc_lo, 1.0, v11
	v_cmp_neq_f32_e64 s2, 0, v12
	s_delay_alu instid0(VALU_DEP_1) | instskip(NEXT) | instid1(SALU_CYCLE_1)
	s_or_b32 s2, vcc_lo, s2
	s_or_not1_b32 s2, s2, exec_lo
; %bb.7:
	s_or_b32 exec_lo, exec_lo, s3
	s_and_saveexec_b32 s3, s2
	s_cbranch_execz .LBB94_29
; %bb.8:
	s_load_b64 s[2:3], s[0:1], 0x0
	v_lshrrev_b32_e32 v1, 2, v0
	s_delay_alu instid0(VALU_DEP_1) | instskip(SKIP_1) | instid1(VALU_DEP_1)
	v_lshl_or_b32 v1, s15, 5, v1
	s_waitcnt lgkmcnt(0)
	v_cmp_gt_i32_e32 vcc_lo, s2, v1
	s_and_b32 exec_lo, exec_lo, vcc_lo
	s_cbranch_execz .LBB94_29
; %bb.9:
	s_load_b256 s[4:11], s[0:1], 0x10
	v_ashrrev_i32_e32 v2, 31, v1
	v_and_b32_e32 v0, 3, v0
	s_cmp_lg_u32 s3, 0
	s_delay_alu instid0(VALU_DEP_2) | instskip(SKIP_1) | instid1(VALU_DEP_1)
	v_lshlrev_b64 v[2:3], 2, v[1:2]
	s_waitcnt lgkmcnt(0)
	v_add_co_u32 v2, vcc_lo, s4, v2
	s_delay_alu instid0(VALU_DEP_2) | instskip(SKIP_4) | instid1(VALU_DEP_2)
	v_add_co_ci_u32_e32 v3, vcc_lo, s5, v3, vcc_lo
	global_load_b64 v[2:3], v[2:3], off
	s_waitcnt vmcnt(0)
	v_subrev_nc_u32_e32 v2, s12, v2
	v_subrev_nc_u32_e32 v17, s12, v3
	v_add_nc_u32_e32 v2, v2, v0
	s_delay_alu instid0(VALU_DEP_1)
	v_cmp_lt_i32_e64 s2, v2, v17
	s_cbranch_scc0 .LBB94_18
; %bb.10:
	v_dual_mov_b32 v13, 0 :: v_dual_mov_b32 v18, 0
	v_dual_mov_b32 v19, 0 :: v_dual_mov_b32 v14, 0
	;; [unrolled: 1-line block ×4, first 2 shown]
	s_mov_b32 s3, 0
	s_and_saveexec_b32 s4, s2
	s_cbranch_execz .LBB94_14
; %bb.11:
	v_mad_u64_u32 v[3:4], null, v2, 24, 20
	v_dual_mov_b32 v6, 0 :: v_dual_mov_b32 v7, v2
	v_dual_mov_b32 v13, 0 :: v_dual_mov_b32 v18, 0
	;; [unrolled: 1-line block ×5, first 2 shown]
	s_mov_b32 s5, 0
.LBB94_12:                              ; =>This Inner Loop Header: Depth=1
	v_ashrrev_i32_e32 v8, 31, v7
	s_delay_alu instid0(VALU_DEP_1) | instskip(NEXT) | instid1(VALU_DEP_1)
	v_lshlrev_b64 v[4:5], 2, v[7:8]
	v_add_co_u32 v4, vcc_lo, s6, v4
	s_delay_alu instid0(VALU_DEP_2) | instskip(SKIP_3) | instid1(VALU_DEP_2)
	v_add_co_ci_u32_e32 v5, vcc_lo, s7, v5, vcc_lo
	global_load_b32 v8, v[4:5], off
	v_subrev_nc_u32_e32 v5, 20, v3
	v_mov_b32_e32 v4, v6
	v_lshlrev_b64 v[22:23], 3, v[5:6]
	v_add_nc_u32_e32 v5, -12, v3
	s_delay_alu instid0(VALU_DEP_3) | instskip(NEXT) | instid1(VALU_DEP_2)
	v_lshlrev_b64 v[24:25], 3, v[3:4]
	v_lshlrev_b64 v[4:5], 3, v[5:6]
	s_delay_alu instid0(VALU_DEP_4) | instskip(SKIP_1) | instid1(VALU_DEP_4)
	v_add_co_u32 v34, vcc_lo, s8, v22
	v_add_co_ci_u32_e32 v35, vcc_lo, s9, v23, vcc_lo
	v_add_co_u32 v78, vcc_lo, s8, v24
	v_add_co_ci_u32_e32 v79, vcc_lo, s9, v25, vcc_lo
	;; [unrolled: 2-line block ×3, first 2 shown]
	s_clause 0x5
	global_load_b128 v[22:25], v[34:35], off offset:48
	global_load_b128 v[26:29], v[34:35], off offset:32
	;; [unrolled: 1-line block ×3, first 2 shown]
	global_load_b128 v[34:37], v[34:35], off
	global_load_b128 v[38:41], v[4:5], off offset:16
	global_load_b128 v[42:45], v[4:5], off
	v_mov_b32_e32 v51, v6
	s_waitcnt vmcnt(6)
	v_subrev_nc_u32_e32 v4, s12, v8
	s_delay_alu instid0(VALU_DEP_1) | instskip(NEXT) | instid1(VALU_DEP_1)
	v_mul_lo_u32 v50, v4, 6
	v_lshlrev_b64 v[46:47], 3, v[50:51]
	s_delay_alu instid0(VALU_DEP_1) | instskip(NEXT) | instid1(VALU_DEP_2)
	v_add_co_u32 v46, vcc_lo, s10, v46
	v_add_co_ci_u32_e32 v47, vcc_lo, s11, v47, vcc_lo
	global_load_b128 v[46:49], v[46:47], off
	v_add_nc_u32_e32 v5, 2, v50
	s_delay_alu instid0(VALU_DEP_1) | instskip(SKIP_1) | instid1(VALU_DEP_1)
	v_lshlrev_b64 v[51:52], 3, v[5:6]
	v_add_nc_u32_e32 v5, -8, v3
	v_lshlrev_b64 v[54:55], 3, v[5:6]
	s_delay_alu instid0(VALU_DEP_3) | instskip(SKIP_2) | instid1(VALU_DEP_4)
	v_add_co_u32 v51, vcc_lo, s10, v51
	v_add_nc_u32_e32 v5, -4, v3
	v_add_co_ci_u32_e32 v52, vcc_lo, s11, v52, vcc_lo
	v_add_co_u32 v58, vcc_lo, s8, v54
	s_delay_alu instid0(VALU_DEP_3)
	v_lshlrev_b64 v[62:63], 3, v[5:6]
	v_add_nc_u32_e32 v5, 4, v50
	global_load_b128 v[50:53], v[51:52], off
	v_add_co_ci_u32_e32 v59, vcc_lo, s9, v55, vcc_lo
	v_add_nc_u32_e32 v7, 4, v7
	s_clause 0x1
	global_load_b128 v[54:57], v[58:59], off
	global_load_b128 v[58:61], v[58:59], off offset:16
	v_add_co_u32 v66, vcc_lo, s8, v62
	v_add_co_ci_u32_e32 v67, vcc_lo, s9, v63, vcc_lo
	s_waitcnt vmcnt(3)
	v_fmac_f32_e32 v14, v33, v46
	v_fmac_f32_e32 v18, v34, v46
	;; [unrolled: 1-line block ×4, first 2 shown]
	s_delay_alu instid0(VALU_DEP_4)
	v_fmac_f32_e32 v14, v32, v47
	v_lshlrev_b64 v[4:5], 3, v[5:6]
	v_fmac_f32_e32 v19, v32, v46
	v_dual_fmac_f32 v16, v36, v47 :: v_dual_fmac_f32 v13, v35, v46
	v_fma_f32 v8, -v31, v47, v20
	v_fmac_f32_e32 v21, v36, v46
	v_add_co_u32 v4, vcc_lo, s10, v4
	v_add_co_ci_u32_e32 v5, vcc_lo, s11, v5, vcc_lo
	s_delay_alu instid0(VALU_DEP_4)
	v_fmac_f32_e32 v8, v22, v48
	s_clause 0x1
	global_load_b128 v[62:65], v[66:67], off offset:16
	global_load_b128 v[66:69], v[66:67], off
	global_load_b128 v[70:73], v[4:5], off
	s_clause 0x1
	global_load_b128 v[74:77], v[78:79], off
	global_load_b128 v[78:81], v[78:79], off offset:16
	v_fma_f32 v4, -v35, v47, v18
	v_dual_fmac_f32 v16, v29, v48 :: v_dual_add_nc_u32 v3, 0x60, v3
	v_dual_fmac_f32 v13, v34, v47 :: v_dual_fmac_f32 v14, v25, v48
	v_fma_f32 v18, -v33, v47, v19
	s_delay_alu instid0(VALU_DEP_4) | instskip(SKIP_2) | instid1(VALU_DEP_3)
	v_dual_fmac_f32 v15, v31, v46 :: v_dual_fmac_f32 v4, v26, v48
	v_fma_f32 v5, -v37, v47, v21
	v_fmac_f32_e32 v16, v28, v49
	v_dual_fmac_f32 v18, v24, v48 :: v_dual_fmac_f32 v15, v30, v47
	v_fmac_f32_e32 v14, v24, v49
	v_fma_f32 v4, -v27, v49, v4
	v_fmac_f32_e32 v13, v27, v48
	s_waitcnt vmcnt(7)
	v_dual_fmac_f32 v5, v28, v48 :: v_dual_fmac_f32 v16, v45, v50
	v_fma_f32 v8, -v23, v49, v8
	v_fmac_f32_e32 v15, v23, v48
	v_fma_f32 v18, -v25, v49, v18
	v_fmac_f32_e32 v4, v42, v50
	v_fmac_f32_e32 v13, v26, v49
	v_fma_f32 v5, -v29, v49, v5
	v_fmac_f32_e32 v8, v38, v50
	v_dual_fmac_f32 v18, v40, v50 :: v_dual_fmac_f32 v15, v22, v49
	v_fmac_f32_e32 v14, v41, v50
	v_dual_fmac_f32 v13, v43, v50 :: v_dual_fmac_f32 v16, v44, v51
	v_fma_f32 v4, -v43, v51, v4
	v_fmac_f32_e32 v5, v44, v50
	s_delay_alu instid0(VALU_DEP_4)
	v_dual_fmac_f32 v15, v39, v50 :: v_dual_fmac_f32 v14, v40, v51
	s_waitcnt vmcnt(6)
	v_dual_fmac_f32 v13, v42, v51 :: v_dual_fmac_f32 v16, v57, v52
	v_fma_f32 v8, -v39, v51, v8
	v_fma_f32 v18, -v41, v51, v18
	v_fmac_f32_e32 v15, v38, v51
	v_fmac_f32_e32 v4, v54, v52
	v_fma_f32 v5, -v45, v51, v5
	v_dual_fmac_f32 v13, v55, v52 :: v_dual_fmac_f32 v16, v56, v53
	s_waitcnt vmcnt(5)
	v_fmac_f32_e32 v18, v60, v52
	v_fmac_f32_e32 v14, v61, v52
	v_fma_f32 v4, -v55, v53, v4
	v_fmac_f32_e32 v13, v54, v53
	v_fmac_f32_e32 v5, v56, v52
	;; [unrolled: 1-line block ×3, first 2 shown]
	v_dual_fmac_f32 v15, v59, v52 :: v_dual_fmac_f32 v14, v60, v53
	v_fma_f32 v18, -v61, v53, v18
	v_cmp_ge_i32_e32 vcc_lo, v7, v17
	s_delay_alu instid0(VALU_DEP_3)
	v_fmac_f32_e32 v15, v58, v53
	s_or_b32 s5, vcc_lo, s5
	s_waitcnt vmcnt(2)
	v_fmac_f32_e32 v16, v69, v70
	v_fmac_f32_e32 v4, v66, v70
	v_fma_f32 v5, -v57, v53, v5
	v_fmac_f32_e32 v13, v67, v70
	v_fma_f32 v8, -v59, v53, v8
	v_dual_fmac_f32 v15, v63, v70 :: v_dual_fmac_f32 v16, v68, v71
	s_delay_alu instid0(VALU_DEP_3) | instskip(NEXT) | instid1(VALU_DEP_3)
	v_dual_fmac_f32 v18, v64, v70 :: v_dual_fmac_f32 v13, v66, v71
	v_fmac_f32_e32 v8, v62, v70
	s_delay_alu instid0(VALU_DEP_3)
	v_dual_fmac_f32 v14, v65, v70 :: v_dual_fmac_f32 v15, v62, v71
	v_fma_f32 v4, -v67, v71, v4
	v_fmac_f32_e32 v5, v68, v70
	v_fma_f32 v19, -v65, v71, v18
	s_waitcnt vmcnt(0)
	v_dual_fmac_f32 v14, v64, v71 :: v_dual_fmac_f32 v15, v79, v72
	v_fmac_f32_e32 v4, v74, v72
	v_fma_f32 v5, -v69, v71, v5
	v_fmac_f32_e32 v13, v75, v72
	v_fma_f32 v8, -v63, v71, v8
	v_fmac_f32_e32 v16, v77, v72
	v_fmac_f32_e32 v19, v80, v72
	;; [unrolled: 1-line block ×5, first 2 shown]
	v_dual_fmac_f32 v14, v81, v72 :: v_dual_fmac_f32 v15, v78, v73
	v_fma_f32 v18, -v75, v73, v4
	v_fma_f32 v21, -v77, v73, v5
	v_fmac_f32_e32 v16, v76, v73
	v_fma_f32 v20, -v79, v73, v8
	v_fma_f32 v19, -v81, v73, v19
	v_fmac_f32_e32 v14, v80, v73
	s_and_not1_b32 exec_lo, exec_lo, s5
	s_cbranch_execnz .LBB94_12
; %bb.13:
	s_or_b32 exec_lo, exec_lo, s5
.LBB94_14:
	s_delay_alu instid0(SALU_CYCLE_1) | instskip(NEXT) | instid1(SALU_CYCLE_1)
	s_or_b32 exec_lo, exec_lo, s4
	s_and_not1_b32 vcc_lo, exec_lo, s3
	s_cbranch_vccz .LBB94_19
	s_branch .LBB94_24
.LBB94_15:
	v_dual_mov_b32 v1, s4 :: v_dual_mov_b32 v2, s5
	flat_load_b32 v9, v[1:2]
	v_cndmask_b32_e64 v1, 0, 1, s6
	v_mov_b32_e32 v10, s5
	s_and_not1_b32 vcc_lo, exec_lo, s6
	s_cbranch_vccnz .LBB94_2
.LBB94_16:
	v_dual_mov_b32 v2, s4 :: v_dual_mov_b32 v3, s5
	flat_load_b32 v10, v[2:3] offset:4
	v_cmp_ne_u32_e32 vcc_lo, 1, v1
	v_mov_b32_e32 v11, s2
	s_cbranch_vccnz .LBB94_3
.LBB94_17:
	v_dual_mov_b32 v2, s2 :: v_dual_mov_b32 v3, s3
	flat_load_b32 v11, v[2:3]
	v_cmp_ne_u32_e32 vcc_lo, 1, v1
	v_mov_b32_e32 v12, s3
	s_cbranch_vccz .LBB94_4
	s_branch .LBB94_5
.LBB94_18:
                                        ; implicit-def: $vgpr13
                                        ; implicit-def: $vgpr18
                                        ; implicit-def: $vgpr19
                                        ; implicit-def: $vgpr14
                                        ; implicit-def: $vgpr20
                                        ; implicit-def: $vgpr15
                                        ; implicit-def: $vgpr21
                                        ; implicit-def: $vgpr16
.LBB94_19:
	v_dual_mov_b32 v13, 0 :: v_dual_mov_b32 v18, 0
	v_dual_mov_b32 v19, 0 :: v_dual_mov_b32 v14, 0
	;; [unrolled: 1-line block ×4, first 2 shown]
	s_and_saveexec_b32 s3, s2
	s_cbranch_execz .LBB94_23
; %bb.20:
	v_mad_u64_u32 v[4:5], null, v2, 24, 23
	v_dual_mov_b32 v7, 0 :: v_dual_mov_b32 v18, 0
	v_dual_mov_b32 v13, 0 :: v_dual_mov_b32 v14, 0
	;; [unrolled: 1-line block ×4, first 2 shown]
	v_mov_b32_e32 v21, 0
	s_mov_b32 s2, 0
.LBB94_21:                              ; =>This Inner Loop Header: Depth=1
	v_ashrrev_i32_e32 v3, 31, v2
	v_dual_mov_b32 v47, v7 :: v_dual_add_nc_u32 v22, -11, v4
	v_dual_mov_b32 v23, v7 :: v_dual_add_nc_u32 v24, -5, v4
	s_delay_alu instid0(VALU_DEP_3) | instskip(SKIP_1) | instid1(VALU_DEP_3)
	v_lshlrev_b64 v[5:6], 2, v[2:3]
	v_mov_b32_e32 v25, v7
	v_lshlrev_b64 v[22:23], 3, v[22:23]
	s_delay_alu instid0(VALU_DEP_3) | instskip(NEXT) | instid1(VALU_DEP_4)
	v_add_co_u32 v5, vcc_lo, s6, v5
	v_add_co_ci_u32_e32 v6, vcc_lo, s7, v6, vcc_lo
	global_load_b32 v3, v[5:6], off
	v_subrev_nc_u32_e32 v6, 23, v4
	v_mov_b32_e32 v5, v7
	s_delay_alu instid0(VALU_DEP_2) | instskip(SKIP_2) | instid1(VALU_DEP_2)
	v_lshlrev_b64 v[26:27], 3, v[6:7]
	v_add_nc_u32_e32 v6, -10, v4
	v_lshlrev_b64 v[24:25], 3, v[24:25]
	v_lshlrev_b64 v[38:39], 3, v[6:7]
	v_add_nc_u32_e32 v6, -4, v4
	v_add_co_u32 v34, vcc_lo, s8, v26
	v_add_co_ci_u32_e32 v35, vcc_lo, s9, v27, vcc_lo
	v_lshlrev_b64 v[28:29], 3, v[4:5]
	v_add_co_u32 v40, vcc_lo, s8, v22
	v_add_co_ci_u32_e32 v41, vcc_lo, s9, v23, vcc_lo
	v_add_co_u32 v42, vcc_lo, s8, v24
	v_add_co_ci_u32_e32 v43, vcc_lo, s9, v25, vcc_lo
	v_add_co_u32 v50, vcc_lo, s8, v28
	v_lshlrev_b64 v[5:6], 3, v[6:7]
	v_add_co_ci_u32_e32 v51, vcc_lo, s9, v29, vcc_lo
	v_add_co_u32 v38, vcc_lo, s8, v38
	v_add_co_ci_u32_e32 v39, vcc_lo, s9, v39, vcc_lo
	s_delay_alu instid0(VALU_DEP_4)
	v_add_co_u32 v5, vcc_lo, s8, v5
	v_add_co_ci_u32_e32 v6, vcc_lo, s9, v6, vcc_lo
	s_clause 0x7
	global_load_b128 v[22:25], v[34:35], off offset:32
	global_load_b128 v[26:29], v[34:35], off offset:48
	;; [unrolled: 1-line block ×3, first 2 shown]
	global_load_b128 v[34:37], v[34:35], off
	global_load_b64 v[52:53], v[40:41], off
	global_load_b64 v[54:55], v[42:43], off
	;; [unrolled: 1-line block ×4, first 2 shown]
	s_waitcnt vmcnt(8)
	v_subrev_nc_u32_e32 v3, s12, v3
	s_delay_alu instid0(VALU_DEP_1) | instskip(NEXT) | instid1(VALU_DEP_1)
	v_mul_lo_u32 v46, v3, 6
	v_add_nc_u32_e32 v6, 2, v46
	v_lshlrev_b64 v[38:39], 3, v[46:47]
	s_delay_alu instid0(VALU_DEP_2) | instskip(NEXT) | instid1(VALU_DEP_2)
	v_lshlrev_b64 v[40:41], 3, v[6:7]
	v_add_co_u32 v38, vcc_lo, s10, v38
	s_delay_alu instid0(VALU_DEP_3) | instskip(NEXT) | instid1(VALU_DEP_3)
	v_add_co_ci_u32_e32 v39, vcc_lo, s11, v39, vcc_lo
	v_add_co_u32 v42, vcc_lo, s10, v40
	s_delay_alu instid0(VALU_DEP_4)
	v_add_co_ci_u32_e32 v43, vcc_lo, s11, v41, vcc_lo
	s_clause 0x1
	global_load_b128 v[38:41], v[38:39], off
	global_load_b128 v[42:45], v[42:43], off
	s_waitcnt vmcnt(1)
	v_dual_fmac_f32 v13, v35, v38 :: v_dual_add_nc_u32 v6, -15, v4
	s_delay_alu instid0(VALU_DEP_1) | instskip(SKIP_2) | instid1(VALU_DEP_4)
	v_lshlrev_b64 v[47:48], 3, v[6:7]
	v_dual_fmac_f32 v21, v26, v38 :: v_dual_add_nc_u32 v6, -9, v4
	v_fmac_f32_e32 v15, v53, v38
	v_dual_fmac_f32 v13, v34, v39 :: v_dual_add_nc_u32 v2, 4, v2
	s_delay_alu instid0(VALU_DEP_3) | instskip(SKIP_3) | instid1(VALU_DEP_3)
	v_lshlrev_b64 v[60:61], 3, v[6:7]
	v_add_nc_u32_e32 v6, -3, v4
	v_add_co_u32 v47, vcc_lo, s8, v47
	v_add_co_ci_u32_e32 v48, vcc_lo, s9, v48, vcc_lo
	v_lshlrev_b64 v[62:63], 3, v[6:7]
	v_add_co_u32 v60, vcc_lo, s8, v60
	v_add_co_ci_u32_e32 v61, vcc_lo, s9, v61, vcc_lo
	global_load_b64 v[64:65], v[47:48], off
	v_add_co_u32 v62, vcc_lo, s8, v62
	global_load_b64 v[60:61], v[60:61], off
	v_add_co_ci_u32_e32 v63, vcc_lo, s9, v63, vcc_lo
	v_dual_fmac_f32 v19, v54, v38 :: v_dual_add_nc_u32 v6, -14, v4
	v_fmac_f32_e32 v15, v52, v39
	global_load_b64 v[62:63], v[62:63], off
	v_fmac_f32_e32 v13, v37, v40
	v_lshlrev_b64 v[47:48], 3, v[6:7]
	v_add_nc_u32_e32 v6, -8, v4
	v_dual_fmac_f32 v18, v34, v38 :: v_dual_fmac_f32 v15, v57, v40
	s_delay_alu instid0(VALU_DEP_4) | instskip(SKIP_1) | instid1(VALU_DEP_4)
	v_fmac_f32_e32 v13, v36, v41
	v_fma_f32 v19, -v55, v39, v19
	v_lshlrev_b64 v[66:67], 3, v[6:7]
	v_add_nc_u32_e32 v6, -2, v4
	v_add_co_u32 v47, vcc_lo, s8, v47
	v_add_co_ci_u32_e32 v48, vcc_lo, s9, v48, vcc_lo
	s_delay_alu instid0(VALU_DEP_3)
	v_lshlrev_b64 v[68:69], 3, v[6:7]
	v_fma_f32 v3, -v35, v39, v18
	v_add_nc_u32_e32 v6, 4, v46
	v_add_co_u32 v46, vcc_lo, s8, v66
	global_load_b64 v[70:71], v[47:48], off
	v_fmac_f32_e32 v3, v36, v40
	v_add_co_ci_u32_e32 v47, vcc_lo, s9, v67, vcc_lo
	v_add_co_u32 v66, vcc_lo, s8, v68
	v_lshlrev_b64 v[48:49], 3, v[6:7]
	v_dual_fmac_f32 v15, v56, v41 :: v_dual_add_nc_u32 v6, -13, v4
	v_add_co_ci_u32_e32 v67, vcc_lo, s9, v69, vcc_lo
	v_fma_f32 v3, -v37, v41, v3
	s_delay_alu instid0(VALU_DEP_4)
	v_add_co_u32 v48, vcc_lo, s10, v48
	s_clause 0x1
	global_load_b64 v[66:67], v[66:67], off
	global_load_b64 v[68:69], v[46:47], off
	v_lshlrev_b64 v[46:47], 3, v[6:7]
	s_waitcnt vmcnt(6)
	v_dual_fmac_f32 v3, v30, v42 :: v_dual_add_nc_u32 v6, -7, v4
	v_add_co_ci_u32_e32 v49, vcc_lo, s11, v49, vcc_lo
	v_fmac_f32_e32 v13, v31, v42
	s_delay_alu instid0(VALU_DEP_3) | instskip(SKIP_3) | instid1(VALU_DEP_3)
	v_lshlrev_b64 v[72:73], 3, v[6:7]
	v_add_nc_u32_e32 v6, -1, v4
	v_add_co_u32 v74, vcc_lo, s8, v46
	v_add_co_ci_u32_e32 v75, vcc_lo, s9, v47, vcc_lo
	v_lshlrev_b64 v[76:77], 3, v[6:7]
	v_add_nc_u32_e32 v6, -12, v4
	v_dual_fmac_f32 v16, v27, v38 :: v_dual_fmac_f32 v19, v58, v40
	global_load_b128 v[46:49], v[48:49], off
	v_add_co_u32 v72, vcc_lo, s8, v72
	v_add_co_ci_u32_e32 v73, vcc_lo, s9, v73, vcc_lo
	v_add_co_u32 v76, vcc_lo, s8, v76
	v_fma_f32 v19, -v59, v41, v19
	v_add_co_ci_u32_e32 v77, vcc_lo, s9, v77, vcc_lo
	global_load_b64 v[74:75], v[74:75], off
	v_fma_f32 v3, -v31, v43, v3
	v_fma_f32 v8, -v27, v39, v21
	s_clause 0x1
	global_load_b64 v[76:77], v[76:77], off
	global_load_b64 v[72:73], v[72:73], off
	v_dual_fmac_f32 v16, v26, v39 :: v_dual_fmac_f32 v3, v32, v44
	v_dual_fmac_f32 v13, v30, v43 :: v_dual_fmac_f32 v20, v52, v38
	s_delay_alu instid0(VALU_DEP_2) | instskip(NEXT) | instid1(VALU_DEP_2)
	v_fma_f32 v3, -v33, v45, v3
	v_fmac_f32_e32 v13, v33, v44
	s_delay_alu instid0(VALU_DEP_3) | instskip(SKIP_1) | instid1(VALU_DEP_3)
	v_fma_f32 v18, -v53, v39, v20
	v_fmac_f32_e32 v8, v28, v40
	v_dual_fmac_f32 v16, v29, v40 :: v_dual_fmac_f32 v13, v32, v45
	s_waitcnt vmcnt(8)
	s_delay_alu instid0(VALU_DEP_3) | instskip(SKIP_3) | instid1(VALU_DEP_4)
	v_dual_fmac_f32 v18, v56, v40 :: v_dual_fmac_f32 v15, v61, v42
	v_lshlrev_b64 v[78:79], 3, v[6:7]
	v_add_nc_u32_e32 v6, -6, v4
	v_add_nc_u32_e32 v4, 0x60, v4
	v_dual_fmac_f32 v14, v55, v38 :: v_dual_fmac_f32 v15, v60, v43
	s_waitcnt vmcnt(7)
	v_fmac_f32_e32 v19, v62, v42
	v_lshlrev_b64 v[5:6], 3, v[6:7]
	v_add_co_u32 v78, vcc_lo, s8, v78
	v_add_co_ci_u32_e32 v79, vcc_lo, s9, v79, vcc_lo
	v_fmac_f32_e32 v14, v54, v39
	s_delay_alu instid0(VALU_DEP_4)
	v_add_co_u32 v5, vcc_lo, s8, v5
	v_add_co_ci_u32_e32 v6, vcc_lo, s9, v6, vcc_lo
	s_clause 0x2
	global_load_b64 v[78:79], v[78:79], off
	global_load_b64 v[5:6], v[5:6], off
	;; [unrolled: 1-line block ×3, first 2 shown]
	v_fma_f32 v19, -v63, v43, v19
	v_fmac_f32_e32 v16, v28, v41
	v_cmp_ge_i32_e32 vcc_lo, v2, v17
	s_or_b32 s2, vcc_lo, s2
	s_waitcnt vmcnt(8)
	v_fmac_f32_e32 v19, v66, v44
	s_waitcnt vmcnt(7)
	v_fmac_f32_e32 v15, v69, v44
	v_fmac_f32_e32 v14, v59, v40
	s_delay_alu instid0(VALU_DEP_3) | instskip(NEXT) | instid1(VALU_DEP_3)
	v_fma_f32 v19, -v67, v45, v19
	v_fmac_f32_e32 v15, v68, v45
	s_delay_alu instid0(VALU_DEP_3)
	v_fmac_f32_e32 v14, v58, v41
	s_waitcnt vmcnt(6)
	v_fmac_f32_e32 v3, v22, v46
	v_fma_f32 v8, -v29, v41, v8
	v_fmac_f32_e32 v13, v23, v46
	v_fma_f32 v18, -v57, v41, v18
	s_delay_alu instid0(VALU_DEP_4) | instskip(NEXT) | instid1(VALU_DEP_3)
	v_fma_f32 v3, -v23, v47, v3
	v_dual_fmac_f32 v8, v64, v42 :: v_dual_fmac_f32 v13, v22, v47
	s_delay_alu instid0(VALU_DEP_3) | instskip(NEXT) | instid1(VALU_DEP_3)
	v_fmac_f32_e32 v18, v60, v42
	v_dual_fmac_f32 v16, v65, v42 :: v_dual_fmac_f32 v3, v24, v48
	s_delay_alu instid0(VALU_DEP_3) | instskip(NEXT) | instid1(VALU_DEP_4)
	v_fma_f32 v8, -v65, v43, v8
	v_fmac_f32_e32 v13, v25, v48
	s_delay_alu instid0(VALU_DEP_4)
	v_fma_f32 v18, -v61, v43, v18
	s_waitcnt vmcnt(3)
	v_fmac_f32_e32 v15, v73, v46
	v_fmac_f32_e32 v14, v63, v42
	v_dual_fmac_f32 v8, v70, v44 :: v_dual_fmac_f32 v13, v24, v49
	v_fmac_f32_e32 v18, v68, v44
	s_delay_alu instid0(VALU_DEP_4) | instskip(SKIP_2) | instid1(VALU_DEP_4)
	v_fmac_f32_e32 v15, v72, v47
	v_fmac_f32_e32 v16, v64, v43
	v_dual_fmac_f32 v14, v62, v43 :: v_dual_fmac_f32 v19, v76, v46
	v_fma_f32 v18, -v69, v45, v18
	v_fma_f32 v8, -v71, v45, v8
	s_delay_alu instid0(VALU_DEP_3) | instskip(NEXT) | instid1(VALU_DEP_3)
	v_fmac_f32_e32 v14, v67, v44
	v_fmac_f32_e32 v18, v72, v46
	s_delay_alu instid0(VALU_DEP_3) | instskip(NEXT) | instid1(VALU_DEP_3)
	v_fmac_f32_e32 v8, v74, v46
	v_fmac_f32_e32 v14, v66, v45
	s_delay_alu instid0(VALU_DEP_3) | instskip(SKIP_2) | instid1(VALU_DEP_4)
	v_fma_f32 v20, -v73, v47, v18
	v_fma_f32 v18, -v25, v49, v3
	v_fma_f32 v3, -v77, v47, v19
	v_fmac_f32_e32 v14, v77, v46
	v_fma_f32 v8, -v75, v47, v8
	s_delay_alu instid0(VALU_DEP_2) | instskip(SKIP_1) | instid1(VALU_DEP_2)
	v_fmac_f32_e32 v14, v76, v47
	s_waitcnt vmcnt(2)
	v_fmac_f32_e32 v8, v78, v48
	s_waitcnt vmcnt(1)
	v_fmac_f32_e32 v15, v6, v48
	v_fmac_f32_e32 v16, v71, v44
	;; [unrolled: 1-line block ×3, first 2 shown]
	s_waitcnt vmcnt(0)
	v_fmac_f32_e32 v3, v50, v48
	v_dual_fmac_f32 v14, v51, v48 :: v_dual_fmac_f32 v15, v5, v49
	v_fmac_f32_e32 v16, v70, v45
	v_fma_f32 v21, -v79, v49, v8
	v_fma_f32 v20, -v6, v49, v20
	;; [unrolled: 1-line block ×3, first 2 shown]
	v_fmac_f32_e32 v14, v50, v49
	v_fmac_f32_e32 v16, v75, v46
	s_delay_alu instid0(VALU_DEP_1) | instskip(NEXT) | instid1(VALU_DEP_1)
	v_fmac_f32_e32 v16, v74, v47
	v_fmac_f32_e32 v16, v79, v48
	s_delay_alu instid0(VALU_DEP_1)
	v_fmac_f32_e32 v16, v78, v49
	s_and_not1_b32 exec_lo, exec_lo, s2
	s_cbranch_execnz .LBB94_21
; %bb.22:
	s_or_b32 exec_lo, exec_lo, s2
.LBB94_23:
	s_delay_alu instid0(SALU_CYCLE_1)
	s_or_b32 exec_lo, exec_lo, s3
.LBB94_24:
	v_mbcnt_lo_u32_b32 v2, -1, 0
	s_delay_alu instid0(VALU_DEP_1) | instskip(NEXT) | instid1(VALU_DEP_1)
	v_xor_b32_e32 v3, 2, v2
	v_cmp_gt_i32_e32 vcc_lo, 32, v3
	v_cndmask_b32_e32 v3, v2, v3, vcc_lo
	s_delay_alu instid0(VALU_DEP_1)
	v_lshlrev_b32_e32 v3, 2, v3
	ds_bpermute_b32 v4, v3, v18
	ds_bpermute_b32 v5, v3, v13
	;; [unrolled: 1-line block ×8, first 2 shown]
	v_xor_b32_e32 v3, 1, v2
	s_delay_alu instid0(VALU_DEP_1)
	v_cmp_gt_i32_e32 vcc_lo, 32, v3
	v_cndmask_b32_e32 v2, v2, v3, vcc_lo
	v_cmp_eq_u32_e32 vcc_lo, 3, v0
	s_waitcnt lgkmcnt(6)
	v_add_f32_e32 v6, v13, v5
	s_waitcnt lgkmcnt(5)
	v_add_f32_e32 v7, v21, v7
	;; [unrolled: 2-line block ×3, first 2 shown]
	s_waitcnt lgkmcnt(3)
	v_dual_add_f32 v16, v20, v17 :: v_dual_lshlrev_b32 v25, 2, v2
	s_waitcnt lgkmcnt(2)
	v_dual_add_f32 v2, v18, v4 :: v_dual_add_f32 v15, v15, v22
	s_waitcnt lgkmcnt(1)
	v_add_f32_e32 v3, v19, v23
	s_waitcnt lgkmcnt(0)
	v_add_f32_e32 v5, v14, v24
	ds_bpermute_b32 v8, v25, v6
	ds_bpermute_b32 v4, v25, v2
	;; [unrolled: 1-line block ×8, first 2 shown]
	s_and_b32 exec_lo, exec_lo, vcc_lo
	s_cbranch_execz .LBB94_29
; %bb.25:
	s_load_b64 s[2:3], s[0:1], 0x38
	v_cmp_eq_f32_e32 vcc_lo, 0, v11
	v_cmp_eq_f32_e64 s0, 0, v12
	s_waitcnt lgkmcnt(0)
	v_add_f32_e32 v4, v2, v4
	v_dual_add_f32 v8, v6, v8 :: v_dual_add_f32 v3, v3, v14
	v_dual_add_f32 v0, v7, v18 :: v_dual_add_f32 v5, v5, v17
	;; [unrolled: 1-line block ×3, first 2 shown]
	v_add_f32_e32 v6, v15, v21
	s_and_b32 s0, vcc_lo, s0
	s_delay_alu instid0(SALU_CYCLE_1) | instskip(NEXT) | instid1(SALU_CYCLE_1)
	s_and_saveexec_b32 s1, s0
	s_xor_b32 s0, exec_lo, s1
	s_cbranch_execz .LBB94_27
; %bb.26:
	v_mul_f32_e64 v11, v8, -v10
	v_mul_f32_e32 v12, v8, v9
	v_mul_f32_e64 v13, v7, -v10
	v_mul_f32_e32 v14, v7, v9
	v_mul_f32_e64 v15, v6, -v10
	v_fmac_f32_e32 v11, v9, v4
	v_dual_fmac_f32 v12, v10, v4 :: v_dual_lshlrev_b32 v17, 2, v1
	s_delay_alu instid0(VALU_DEP_3) | instskip(SKIP_1) | instid1(VALU_DEP_3)
	v_dual_mul_f32 v16, v6, v9 :: v_dual_fmac_f32 v15, v9, v2
	v_fmac_f32_e32 v13, v9, v0
	v_ashrrev_i32_e32 v18, 31, v17
                                        ; implicit-def: $vgpr1
                                        ; implicit-def: $vgpr4
                                        ; implicit-def: $vgpr8
	s_delay_alu instid0(VALU_DEP_3) | instskip(NEXT) | instid1(VALU_DEP_2)
	v_fmac_f32_e32 v16, v10, v2
                                        ; implicit-def: $vgpr2
	v_lshlrev_b64 v[6:7], 3, v[17:18]
	v_mul_f32_e64 v17, v5, -v10
	v_mul_f32_e32 v18, v5, v9
	v_fmac_f32_e32 v14, v10, v0
                                        ; implicit-def: $vgpr0
                                        ; implicit-def: $vgpr5
	s_delay_alu instid0(VALU_DEP_3)
	v_fmac_f32_e32 v17, v9, v3
	v_add_co_u32 v6, vcc_lo, s2, v6
	v_add_co_ci_u32_e32 v7, vcc_lo, s3, v7, vcc_lo
	v_fmac_f32_e32 v18, v10, v3
	s_clause 0x1
	global_store_b128 v[6:7], v[11:14], off
	global_store_b128 v[6:7], v[15:18], off offset:16
                                        ; implicit-def: $vgpr9
                                        ; implicit-def: $vgpr10
                                        ; implicit-def: $vgpr11
                                        ; implicit-def: $vgpr12
                                        ; implicit-def: $vgpr7
                                        ; implicit-def: $vgpr6
                                        ; implicit-def: $vgpr3
.LBB94_27:
	s_and_not1_saveexec_b32 s0, s0
	s_cbranch_execz .LBB94_29
; %bb.28:
	v_mul_f32_e32 v22, v8, v9
	v_lshlrev_b32_e32 v13, 2, v1
	v_mul_f32_e64 v1, v8, -v10
	v_mul_f32_e64 v23, v7, -v10
	v_mul_f32_e32 v24, v7, v9
	v_mul_f32_e64 v7, v6, -v10
	s_delay_alu instid0(VALU_DEP_4) | instskip(SKIP_2) | instid1(VALU_DEP_4)
	v_dual_mul_f32 v6, v6, v9 :: v_dual_fmac_f32 v1, v9, v4
	v_fmac_f32_e32 v22, v10, v4
	v_ashrrev_i32_e32 v14, 31, v13
	v_fmac_f32_e32 v7, v9, v2
	v_mul_f32_e64 v27, v5, -v10
	v_fmac_f32_e32 v23, v9, v0
	v_fmac_f32_e32 v24, v10, v0
	v_lshlrev_b64 v[13:14], 3, v[13:14]
	s_delay_alu instid0(VALU_DEP_4) | instskip(NEXT) | instid1(VALU_DEP_2)
	v_fmac_f32_e32 v27, v9, v3
	v_add_co_u32 v25, vcc_lo, s2, v13
	s_delay_alu instid0(VALU_DEP_3)
	v_add_co_ci_u32_e32 v26, vcc_lo, s3, v14, vcc_lo
	s_clause 0x1
	global_load_b128 v[13:16], v[25:26], off
	global_load_b128 v[17:20], v[25:26], off offset:16
	v_mul_f32_e32 v8, v5, v9
	s_waitcnt vmcnt(1)
	v_dual_fmac_f32 v6, v10, v2 :: v_dual_fmac_f32 v1, v11, v13
	v_fmac_f32_e32 v23, v11, v15
	s_waitcnt vmcnt(0)
	v_dual_fmac_f32 v8, v10, v3 :: v_dual_fmac_f32 v7, v11, v17
	v_dual_fmac_f32 v22, v12, v13 :: v_dual_fmac_f32 v27, v11, v19
	v_fmac_f32_e32 v24, v12, v15
	v_fmac_f32_e32 v6, v12, v17
	s_delay_alu instid0(VALU_DEP_4)
	v_fmac_f32_e32 v8, v12, v19
	v_fma_f32 v21, -v12, v14, v1
	v_fmac_f32_e32 v22, v11, v14
	v_fma_f32 v23, -v12, v16, v23
	;; [unrolled: 2-line block ×4, first 2 shown]
	v_fmac_f32_e32 v8, v11, v20
	s_clause 0x1
	global_store_b128 v[25:26], v[21:24], off
	global_store_b128 v[25:26], v[5:8], off offset:16
.LBB94_29:
	s_nop 0
	s_sendmsg sendmsg(MSG_DEALLOC_VGPRS)
	s_endpgm
	.section	.rodata,"a",@progbits
	.p2align	6, 0x0
	.amdhsa_kernel _ZN9rocsparseL19gebsrmvn_4xn_kernelILj128ELj6ELj4E21rocsparse_complex_numIfEEEvi20rocsparse_direction_NS_24const_host_device_scalarIT2_EEPKiS8_PKS5_SA_S6_PS5_21rocsparse_index_base_b
		.amdhsa_group_segment_fixed_size 0
		.amdhsa_private_segment_fixed_size 0
		.amdhsa_kernarg_size 72
		.amdhsa_user_sgpr_count 15
		.amdhsa_user_sgpr_dispatch_ptr 0
		.amdhsa_user_sgpr_queue_ptr 0
		.amdhsa_user_sgpr_kernarg_segment_ptr 1
		.amdhsa_user_sgpr_dispatch_id 0
		.amdhsa_user_sgpr_private_segment_size 0
		.amdhsa_wavefront_size32 1
		.amdhsa_uses_dynamic_stack 0
		.amdhsa_enable_private_segment 0
		.amdhsa_system_sgpr_workgroup_id_x 1
		.amdhsa_system_sgpr_workgroup_id_y 0
		.amdhsa_system_sgpr_workgroup_id_z 0
		.amdhsa_system_sgpr_workgroup_info 0
		.amdhsa_system_vgpr_workitem_id 0
		.amdhsa_next_free_vgpr 82
		.amdhsa_next_free_sgpr 16
		.amdhsa_reserve_vcc 1
		.amdhsa_float_round_mode_32 0
		.amdhsa_float_round_mode_16_64 0
		.amdhsa_float_denorm_mode_32 3
		.amdhsa_float_denorm_mode_16_64 3
		.amdhsa_dx10_clamp 1
		.amdhsa_ieee_mode 1
		.amdhsa_fp16_overflow 0
		.amdhsa_workgroup_processor_mode 1
		.amdhsa_memory_ordered 1
		.amdhsa_forward_progress 0
		.amdhsa_shared_vgpr_count 0
		.amdhsa_exception_fp_ieee_invalid_op 0
		.amdhsa_exception_fp_denorm_src 0
		.amdhsa_exception_fp_ieee_div_zero 0
		.amdhsa_exception_fp_ieee_overflow 0
		.amdhsa_exception_fp_ieee_underflow 0
		.amdhsa_exception_fp_ieee_inexact 0
		.amdhsa_exception_int_div_zero 0
	.end_amdhsa_kernel
	.section	.text._ZN9rocsparseL19gebsrmvn_4xn_kernelILj128ELj6ELj4E21rocsparse_complex_numIfEEEvi20rocsparse_direction_NS_24const_host_device_scalarIT2_EEPKiS8_PKS5_SA_S6_PS5_21rocsparse_index_base_b,"axG",@progbits,_ZN9rocsparseL19gebsrmvn_4xn_kernelILj128ELj6ELj4E21rocsparse_complex_numIfEEEvi20rocsparse_direction_NS_24const_host_device_scalarIT2_EEPKiS8_PKS5_SA_S6_PS5_21rocsparse_index_base_b,comdat
.Lfunc_end94:
	.size	_ZN9rocsparseL19gebsrmvn_4xn_kernelILj128ELj6ELj4E21rocsparse_complex_numIfEEEvi20rocsparse_direction_NS_24const_host_device_scalarIT2_EEPKiS8_PKS5_SA_S6_PS5_21rocsparse_index_base_b, .Lfunc_end94-_ZN9rocsparseL19gebsrmvn_4xn_kernelILj128ELj6ELj4E21rocsparse_complex_numIfEEEvi20rocsparse_direction_NS_24const_host_device_scalarIT2_EEPKiS8_PKS5_SA_S6_PS5_21rocsparse_index_base_b
                                        ; -- End function
	.section	.AMDGPU.csdata,"",@progbits
; Kernel info:
; codeLenInByte = 3768
; NumSgprs: 18
; NumVgprs: 82
; ScratchSize: 0
; MemoryBound: 0
; FloatMode: 240
; IeeeMode: 1
; LDSByteSize: 0 bytes/workgroup (compile time only)
; SGPRBlocks: 2
; VGPRBlocks: 10
; NumSGPRsForWavesPerEU: 18
; NumVGPRsForWavesPerEU: 82
; Occupancy: 16
; WaveLimiterHint : 1
; COMPUTE_PGM_RSRC2:SCRATCH_EN: 0
; COMPUTE_PGM_RSRC2:USER_SGPR: 15
; COMPUTE_PGM_RSRC2:TRAP_HANDLER: 0
; COMPUTE_PGM_RSRC2:TGID_X_EN: 1
; COMPUTE_PGM_RSRC2:TGID_Y_EN: 0
; COMPUTE_PGM_RSRC2:TGID_Z_EN: 0
; COMPUTE_PGM_RSRC2:TIDIG_COMP_CNT: 0
	.section	.text._ZN9rocsparseL19gebsrmvn_4xn_kernelILj128ELj6ELj8E21rocsparse_complex_numIfEEEvi20rocsparse_direction_NS_24const_host_device_scalarIT2_EEPKiS8_PKS5_SA_S6_PS5_21rocsparse_index_base_b,"axG",@progbits,_ZN9rocsparseL19gebsrmvn_4xn_kernelILj128ELj6ELj8E21rocsparse_complex_numIfEEEvi20rocsparse_direction_NS_24const_host_device_scalarIT2_EEPKiS8_PKS5_SA_S6_PS5_21rocsparse_index_base_b,comdat
	.globl	_ZN9rocsparseL19gebsrmvn_4xn_kernelILj128ELj6ELj8E21rocsparse_complex_numIfEEEvi20rocsparse_direction_NS_24const_host_device_scalarIT2_EEPKiS8_PKS5_SA_S6_PS5_21rocsparse_index_base_b ; -- Begin function _ZN9rocsparseL19gebsrmvn_4xn_kernelILj128ELj6ELj8E21rocsparse_complex_numIfEEEvi20rocsparse_direction_NS_24const_host_device_scalarIT2_EEPKiS8_PKS5_SA_S6_PS5_21rocsparse_index_base_b
	.p2align	8
	.type	_ZN9rocsparseL19gebsrmvn_4xn_kernelILj128ELj6ELj8E21rocsparse_complex_numIfEEEvi20rocsparse_direction_NS_24const_host_device_scalarIT2_EEPKiS8_PKS5_SA_S6_PS5_21rocsparse_index_base_b,@function
_ZN9rocsparseL19gebsrmvn_4xn_kernelILj128ELj6ELj8E21rocsparse_complex_numIfEEEvi20rocsparse_direction_NS_24const_host_device_scalarIT2_EEPKiS8_PKS5_SA_S6_PS5_21rocsparse_index_base_b: ; @_ZN9rocsparseL19gebsrmvn_4xn_kernelILj128ELj6ELj8E21rocsparse_complex_numIfEEEvi20rocsparse_direction_NS_24const_host_device_scalarIT2_EEPKiS8_PKS5_SA_S6_PS5_21rocsparse_index_base_b
; %bb.0:
	s_clause 0x2
	s_load_b64 s[12:13], s[0:1], 0x40
	s_load_b64 s[4:5], s[0:1], 0x8
	;; [unrolled: 1-line block ×3, first 2 shown]
	s_waitcnt lgkmcnt(0)
	s_bitcmp1_b32 s13, 0
	v_mov_b32_e32 v9, s4
	s_cselect_b32 s6, -1, 0
	s_delay_alu instid0(SALU_CYCLE_1)
	s_and_b32 vcc_lo, exec_lo, s6
	s_xor_b32 s6, s6, -1
	s_cbranch_vccz .LBB95_15
; %bb.1:
	v_cndmask_b32_e64 v1, 0, 1, s6
	v_mov_b32_e32 v10, s5
	s_and_not1_b32 vcc_lo, exec_lo, s6
	s_cbranch_vccz .LBB95_16
.LBB95_2:
	s_delay_alu instid0(VALU_DEP_2)
	v_cmp_ne_u32_e32 vcc_lo, 1, v1
	v_mov_b32_e32 v11, s2
	s_cbranch_vccz .LBB95_17
.LBB95_3:
	v_cmp_ne_u32_e32 vcc_lo, 1, v1
	v_mov_b32_e32 v12, s3
	s_cbranch_vccnz .LBB95_5
.LBB95_4:
	v_dual_mov_b32 v1, s2 :: v_dual_mov_b32 v2, s3
	flat_load_b32 v12, v[1:2] offset:4
.LBB95_5:
	s_waitcnt vmcnt(0) lgkmcnt(0)
	v_cmp_eq_f32_e32 vcc_lo, 0, v9
	v_cmp_eq_f32_e64 s2, 0, v10
	s_delay_alu instid0(VALU_DEP_1)
	s_and_b32 s4, vcc_lo, s2
	s_mov_b32 s2, -1
	s_and_saveexec_b32 s3, s4
; %bb.6:
	v_cmp_neq_f32_e32 vcc_lo, 1.0, v11
	v_cmp_neq_f32_e64 s2, 0, v12
	s_delay_alu instid0(VALU_DEP_1) | instskip(NEXT) | instid1(SALU_CYCLE_1)
	s_or_b32 s2, vcc_lo, s2
	s_or_not1_b32 s2, s2, exec_lo
; %bb.7:
	s_or_b32 exec_lo, exec_lo, s3
	s_and_saveexec_b32 s3, s2
	s_cbranch_execz .LBB95_29
; %bb.8:
	s_load_b64 s[2:3], s[0:1], 0x0
	v_lshrrev_b32_e32 v1, 3, v0
	s_delay_alu instid0(VALU_DEP_1) | instskip(SKIP_1) | instid1(VALU_DEP_1)
	v_lshl_or_b32 v1, s15, 4, v1
	s_waitcnt lgkmcnt(0)
	v_cmp_gt_i32_e32 vcc_lo, s2, v1
	s_and_b32 exec_lo, exec_lo, vcc_lo
	s_cbranch_execz .LBB95_29
; %bb.9:
	s_load_b256 s[4:11], s[0:1], 0x10
	v_ashrrev_i32_e32 v2, 31, v1
	v_and_b32_e32 v0, 7, v0
	s_cmp_lg_u32 s3, 0
	s_delay_alu instid0(VALU_DEP_2) | instskip(SKIP_1) | instid1(VALU_DEP_1)
	v_lshlrev_b64 v[2:3], 2, v[1:2]
	s_waitcnt lgkmcnt(0)
	v_add_co_u32 v2, vcc_lo, s4, v2
	s_delay_alu instid0(VALU_DEP_2) | instskip(SKIP_4) | instid1(VALU_DEP_2)
	v_add_co_ci_u32_e32 v3, vcc_lo, s5, v3, vcc_lo
	global_load_b64 v[2:3], v[2:3], off
	s_waitcnt vmcnt(0)
	v_subrev_nc_u32_e32 v2, s12, v2
	v_subrev_nc_u32_e32 v17, s12, v3
	v_add_nc_u32_e32 v2, v2, v0
	s_delay_alu instid0(VALU_DEP_1)
	v_cmp_lt_i32_e64 s2, v2, v17
	s_cbranch_scc0 .LBB95_18
; %bb.10:
	v_dual_mov_b32 v13, 0 :: v_dual_mov_b32 v18, 0
	v_dual_mov_b32 v19, 0 :: v_dual_mov_b32 v14, 0
	;; [unrolled: 1-line block ×4, first 2 shown]
	s_mov_b32 s3, 0
	s_and_saveexec_b32 s4, s2
	s_cbranch_execz .LBB95_14
; %bb.11:
	v_mad_u64_u32 v[3:4], null, v2, 24, 20
	v_dual_mov_b32 v6, 0 :: v_dual_mov_b32 v7, v2
	v_dual_mov_b32 v13, 0 :: v_dual_mov_b32 v18, 0
	;; [unrolled: 1-line block ×5, first 2 shown]
	s_mov_b32 s5, 0
.LBB95_12:                              ; =>This Inner Loop Header: Depth=1
	v_ashrrev_i32_e32 v8, 31, v7
	s_delay_alu instid0(VALU_DEP_1) | instskip(NEXT) | instid1(VALU_DEP_1)
	v_lshlrev_b64 v[4:5], 2, v[7:8]
	v_add_co_u32 v4, vcc_lo, s6, v4
	s_delay_alu instid0(VALU_DEP_2) | instskip(SKIP_3) | instid1(VALU_DEP_2)
	v_add_co_ci_u32_e32 v5, vcc_lo, s7, v5, vcc_lo
	global_load_b32 v8, v[4:5], off
	v_subrev_nc_u32_e32 v5, 20, v3
	v_mov_b32_e32 v4, v6
	v_lshlrev_b64 v[22:23], 3, v[5:6]
	v_add_nc_u32_e32 v5, -12, v3
	s_delay_alu instid0(VALU_DEP_3) | instskip(NEXT) | instid1(VALU_DEP_2)
	v_lshlrev_b64 v[24:25], 3, v[3:4]
	v_lshlrev_b64 v[4:5], 3, v[5:6]
	s_delay_alu instid0(VALU_DEP_4) | instskip(SKIP_1) | instid1(VALU_DEP_4)
	v_add_co_u32 v34, vcc_lo, s8, v22
	v_add_co_ci_u32_e32 v35, vcc_lo, s9, v23, vcc_lo
	v_add_co_u32 v78, vcc_lo, s8, v24
	v_add_co_ci_u32_e32 v79, vcc_lo, s9, v25, vcc_lo
	;; [unrolled: 2-line block ×3, first 2 shown]
	s_clause 0x5
	global_load_b128 v[22:25], v[34:35], off offset:48
	global_load_b128 v[26:29], v[34:35], off offset:32
	global_load_b128 v[30:33], v[34:35], off offset:16
	global_load_b128 v[34:37], v[34:35], off
	global_load_b128 v[38:41], v[4:5], off offset:16
	global_load_b128 v[42:45], v[4:5], off
	v_mov_b32_e32 v51, v6
	s_waitcnt vmcnt(6)
	v_subrev_nc_u32_e32 v4, s12, v8
	s_delay_alu instid0(VALU_DEP_1) | instskip(NEXT) | instid1(VALU_DEP_1)
	v_mul_lo_u32 v50, v4, 6
	v_lshlrev_b64 v[46:47], 3, v[50:51]
	s_delay_alu instid0(VALU_DEP_1) | instskip(NEXT) | instid1(VALU_DEP_2)
	v_add_co_u32 v46, vcc_lo, s10, v46
	v_add_co_ci_u32_e32 v47, vcc_lo, s11, v47, vcc_lo
	global_load_b128 v[46:49], v[46:47], off
	v_add_nc_u32_e32 v5, 2, v50
	s_delay_alu instid0(VALU_DEP_1) | instskip(SKIP_1) | instid1(VALU_DEP_1)
	v_lshlrev_b64 v[51:52], 3, v[5:6]
	v_add_nc_u32_e32 v5, -8, v3
	v_lshlrev_b64 v[54:55], 3, v[5:6]
	s_delay_alu instid0(VALU_DEP_3) | instskip(SKIP_2) | instid1(VALU_DEP_4)
	v_add_co_u32 v51, vcc_lo, s10, v51
	v_add_nc_u32_e32 v5, -4, v3
	v_add_co_ci_u32_e32 v52, vcc_lo, s11, v52, vcc_lo
	v_add_co_u32 v58, vcc_lo, s8, v54
	s_delay_alu instid0(VALU_DEP_3)
	v_lshlrev_b64 v[62:63], 3, v[5:6]
	v_add_nc_u32_e32 v5, 4, v50
	global_load_b128 v[50:53], v[51:52], off
	v_add_co_ci_u32_e32 v59, vcc_lo, s9, v55, vcc_lo
	v_add_nc_u32_e32 v7, 8, v7
	s_clause 0x1
	global_load_b128 v[54:57], v[58:59], off
	global_load_b128 v[58:61], v[58:59], off offset:16
	v_add_co_u32 v66, vcc_lo, s8, v62
	v_add_co_ci_u32_e32 v67, vcc_lo, s9, v63, vcc_lo
	s_waitcnt vmcnt(3)
	v_fmac_f32_e32 v14, v33, v46
	v_fmac_f32_e32 v18, v34, v46
	;; [unrolled: 1-line block ×4, first 2 shown]
	s_delay_alu instid0(VALU_DEP_4)
	v_fmac_f32_e32 v14, v32, v47
	v_lshlrev_b64 v[4:5], 3, v[5:6]
	v_fmac_f32_e32 v19, v32, v46
	v_dual_fmac_f32 v16, v36, v47 :: v_dual_fmac_f32 v13, v35, v46
	v_fma_f32 v8, -v31, v47, v20
	v_fmac_f32_e32 v21, v36, v46
	v_add_co_u32 v4, vcc_lo, s10, v4
	v_add_co_ci_u32_e32 v5, vcc_lo, s11, v5, vcc_lo
	s_delay_alu instid0(VALU_DEP_4)
	v_fmac_f32_e32 v8, v22, v48
	s_clause 0x1
	global_load_b128 v[62:65], v[66:67], off offset:16
	global_load_b128 v[66:69], v[66:67], off
	global_load_b128 v[70:73], v[4:5], off
	s_clause 0x1
	global_load_b128 v[74:77], v[78:79], off
	global_load_b128 v[78:81], v[78:79], off offset:16
	v_fma_f32 v4, -v35, v47, v18
	v_dual_fmac_f32 v16, v29, v48 :: v_dual_add_nc_u32 v3, 0xc0, v3
	v_dual_fmac_f32 v13, v34, v47 :: v_dual_fmac_f32 v14, v25, v48
	v_fma_f32 v18, -v33, v47, v19
	s_delay_alu instid0(VALU_DEP_4) | instskip(SKIP_2) | instid1(VALU_DEP_3)
	v_dual_fmac_f32 v15, v31, v46 :: v_dual_fmac_f32 v4, v26, v48
	v_fma_f32 v5, -v37, v47, v21
	v_fmac_f32_e32 v16, v28, v49
	v_dual_fmac_f32 v18, v24, v48 :: v_dual_fmac_f32 v15, v30, v47
	v_fmac_f32_e32 v14, v24, v49
	v_fma_f32 v4, -v27, v49, v4
	v_fmac_f32_e32 v13, v27, v48
	s_waitcnt vmcnt(7)
	v_dual_fmac_f32 v5, v28, v48 :: v_dual_fmac_f32 v16, v45, v50
	v_fma_f32 v8, -v23, v49, v8
	v_fmac_f32_e32 v15, v23, v48
	v_fma_f32 v18, -v25, v49, v18
	v_fmac_f32_e32 v4, v42, v50
	v_fmac_f32_e32 v13, v26, v49
	v_fma_f32 v5, -v29, v49, v5
	v_fmac_f32_e32 v8, v38, v50
	v_dual_fmac_f32 v18, v40, v50 :: v_dual_fmac_f32 v15, v22, v49
	v_fmac_f32_e32 v14, v41, v50
	v_dual_fmac_f32 v13, v43, v50 :: v_dual_fmac_f32 v16, v44, v51
	v_fma_f32 v4, -v43, v51, v4
	v_fmac_f32_e32 v5, v44, v50
	s_delay_alu instid0(VALU_DEP_4)
	v_dual_fmac_f32 v15, v39, v50 :: v_dual_fmac_f32 v14, v40, v51
	s_waitcnt vmcnt(6)
	v_dual_fmac_f32 v13, v42, v51 :: v_dual_fmac_f32 v16, v57, v52
	v_fma_f32 v8, -v39, v51, v8
	v_fma_f32 v18, -v41, v51, v18
	v_fmac_f32_e32 v15, v38, v51
	v_fmac_f32_e32 v4, v54, v52
	v_fma_f32 v5, -v45, v51, v5
	v_dual_fmac_f32 v13, v55, v52 :: v_dual_fmac_f32 v16, v56, v53
	s_waitcnt vmcnt(5)
	v_fmac_f32_e32 v18, v60, v52
	v_fmac_f32_e32 v14, v61, v52
	v_fma_f32 v4, -v55, v53, v4
	v_fmac_f32_e32 v13, v54, v53
	v_fmac_f32_e32 v5, v56, v52
	;; [unrolled: 1-line block ×3, first 2 shown]
	v_dual_fmac_f32 v15, v59, v52 :: v_dual_fmac_f32 v14, v60, v53
	v_fma_f32 v18, -v61, v53, v18
	v_cmp_ge_i32_e32 vcc_lo, v7, v17
	s_delay_alu instid0(VALU_DEP_3)
	v_fmac_f32_e32 v15, v58, v53
	s_or_b32 s5, vcc_lo, s5
	s_waitcnt vmcnt(2)
	v_fmac_f32_e32 v16, v69, v70
	v_fmac_f32_e32 v4, v66, v70
	v_fma_f32 v5, -v57, v53, v5
	v_fmac_f32_e32 v13, v67, v70
	v_fma_f32 v8, -v59, v53, v8
	v_dual_fmac_f32 v15, v63, v70 :: v_dual_fmac_f32 v16, v68, v71
	s_delay_alu instid0(VALU_DEP_3) | instskip(NEXT) | instid1(VALU_DEP_3)
	v_dual_fmac_f32 v18, v64, v70 :: v_dual_fmac_f32 v13, v66, v71
	v_fmac_f32_e32 v8, v62, v70
	s_delay_alu instid0(VALU_DEP_3)
	v_dual_fmac_f32 v14, v65, v70 :: v_dual_fmac_f32 v15, v62, v71
	v_fma_f32 v4, -v67, v71, v4
	v_fmac_f32_e32 v5, v68, v70
	v_fma_f32 v19, -v65, v71, v18
	s_waitcnt vmcnt(0)
	v_dual_fmac_f32 v14, v64, v71 :: v_dual_fmac_f32 v15, v79, v72
	v_fmac_f32_e32 v4, v74, v72
	v_fma_f32 v5, -v69, v71, v5
	v_fmac_f32_e32 v13, v75, v72
	v_fma_f32 v8, -v63, v71, v8
	v_fmac_f32_e32 v16, v77, v72
	v_fmac_f32_e32 v19, v80, v72
	;; [unrolled: 1-line block ×5, first 2 shown]
	v_dual_fmac_f32 v14, v81, v72 :: v_dual_fmac_f32 v15, v78, v73
	v_fma_f32 v18, -v75, v73, v4
	v_fma_f32 v21, -v77, v73, v5
	v_fmac_f32_e32 v16, v76, v73
	v_fma_f32 v20, -v79, v73, v8
	v_fma_f32 v19, -v81, v73, v19
	v_fmac_f32_e32 v14, v80, v73
	s_and_not1_b32 exec_lo, exec_lo, s5
	s_cbranch_execnz .LBB95_12
; %bb.13:
	s_or_b32 exec_lo, exec_lo, s5
.LBB95_14:
	s_delay_alu instid0(SALU_CYCLE_1) | instskip(NEXT) | instid1(SALU_CYCLE_1)
	s_or_b32 exec_lo, exec_lo, s4
	s_and_not1_b32 vcc_lo, exec_lo, s3
	s_cbranch_vccz .LBB95_19
	s_branch .LBB95_24
.LBB95_15:
	v_dual_mov_b32 v1, s4 :: v_dual_mov_b32 v2, s5
	flat_load_b32 v9, v[1:2]
	v_cndmask_b32_e64 v1, 0, 1, s6
	v_mov_b32_e32 v10, s5
	s_and_not1_b32 vcc_lo, exec_lo, s6
	s_cbranch_vccnz .LBB95_2
.LBB95_16:
	v_dual_mov_b32 v2, s4 :: v_dual_mov_b32 v3, s5
	flat_load_b32 v10, v[2:3] offset:4
	v_cmp_ne_u32_e32 vcc_lo, 1, v1
	v_mov_b32_e32 v11, s2
	s_cbranch_vccnz .LBB95_3
.LBB95_17:
	v_dual_mov_b32 v2, s2 :: v_dual_mov_b32 v3, s3
	flat_load_b32 v11, v[2:3]
	v_cmp_ne_u32_e32 vcc_lo, 1, v1
	v_mov_b32_e32 v12, s3
	s_cbranch_vccz .LBB95_4
	s_branch .LBB95_5
.LBB95_18:
                                        ; implicit-def: $vgpr13
                                        ; implicit-def: $vgpr18
                                        ; implicit-def: $vgpr19
                                        ; implicit-def: $vgpr14
                                        ; implicit-def: $vgpr20
                                        ; implicit-def: $vgpr15
                                        ; implicit-def: $vgpr21
                                        ; implicit-def: $vgpr16
.LBB95_19:
	v_dual_mov_b32 v13, 0 :: v_dual_mov_b32 v18, 0
	v_dual_mov_b32 v19, 0 :: v_dual_mov_b32 v14, 0
	;; [unrolled: 1-line block ×4, first 2 shown]
	s_and_saveexec_b32 s3, s2
	s_cbranch_execz .LBB95_23
; %bb.20:
	v_mad_u64_u32 v[4:5], null, v2, 24, 23
	v_dual_mov_b32 v7, 0 :: v_dual_mov_b32 v18, 0
	v_dual_mov_b32 v13, 0 :: v_dual_mov_b32 v14, 0
	;; [unrolled: 1-line block ×4, first 2 shown]
	v_mov_b32_e32 v21, 0
	s_mov_b32 s2, 0
.LBB95_21:                              ; =>This Inner Loop Header: Depth=1
	v_ashrrev_i32_e32 v3, 31, v2
	v_dual_mov_b32 v47, v7 :: v_dual_add_nc_u32 v22, -11, v4
	v_dual_mov_b32 v23, v7 :: v_dual_add_nc_u32 v24, -5, v4
	s_delay_alu instid0(VALU_DEP_3) | instskip(SKIP_1) | instid1(VALU_DEP_3)
	v_lshlrev_b64 v[5:6], 2, v[2:3]
	v_mov_b32_e32 v25, v7
	v_lshlrev_b64 v[22:23], 3, v[22:23]
	s_delay_alu instid0(VALU_DEP_3) | instskip(NEXT) | instid1(VALU_DEP_4)
	v_add_co_u32 v5, vcc_lo, s6, v5
	v_add_co_ci_u32_e32 v6, vcc_lo, s7, v6, vcc_lo
	global_load_b32 v3, v[5:6], off
	v_subrev_nc_u32_e32 v6, 23, v4
	v_mov_b32_e32 v5, v7
	s_delay_alu instid0(VALU_DEP_2) | instskip(SKIP_2) | instid1(VALU_DEP_2)
	v_lshlrev_b64 v[26:27], 3, v[6:7]
	v_add_nc_u32_e32 v6, -10, v4
	v_lshlrev_b64 v[24:25], 3, v[24:25]
	v_lshlrev_b64 v[38:39], 3, v[6:7]
	v_add_nc_u32_e32 v6, -4, v4
	v_add_co_u32 v34, vcc_lo, s8, v26
	v_add_co_ci_u32_e32 v35, vcc_lo, s9, v27, vcc_lo
	v_lshlrev_b64 v[28:29], 3, v[4:5]
	v_add_co_u32 v40, vcc_lo, s8, v22
	v_add_co_ci_u32_e32 v41, vcc_lo, s9, v23, vcc_lo
	v_add_co_u32 v42, vcc_lo, s8, v24
	v_add_co_ci_u32_e32 v43, vcc_lo, s9, v25, vcc_lo
	v_add_co_u32 v50, vcc_lo, s8, v28
	v_lshlrev_b64 v[5:6], 3, v[6:7]
	v_add_co_ci_u32_e32 v51, vcc_lo, s9, v29, vcc_lo
	v_add_co_u32 v38, vcc_lo, s8, v38
	v_add_co_ci_u32_e32 v39, vcc_lo, s9, v39, vcc_lo
	s_delay_alu instid0(VALU_DEP_4)
	v_add_co_u32 v5, vcc_lo, s8, v5
	v_add_co_ci_u32_e32 v6, vcc_lo, s9, v6, vcc_lo
	s_clause 0x7
	global_load_b128 v[22:25], v[34:35], off offset:32
	global_load_b128 v[26:29], v[34:35], off offset:48
	global_load_b128 v[30:33], v[34:35], off offset:16
	global_load_b128 v[34:37], v[34:35], off
	global_load_b64 v[52:53], v[40:41], off
	global_load_b64 v[54:55], v[42:43], off
	;; [unrolled: 1-line block ×4, first 2 shown]
	s_waitcnt vmcnt(8)
	v_subrev_nc_u32_e32 v3, s12, v3
	s_delay_alu instid0(VALU_DEP_1) | instskip(NEXT) | instid1(VALU_DEP_1)
	v_mul_lo_u32 v46, v3, 6
	v_add_nc_u32_e32 v6, 2, v46
	v_lshlrev_b64 v[38:39], 3, v[46:47]
	s_delay_alu instid0(VALU_DEP_2) | instskip(NEXT) | instid1(VALU_DEP_2)
	v_lshlrev_b64 v[40:41], 3, v[6:7]
	v_add_co_u32 v38, vcc_lo, s10, v38
	s_delay_alu instid0(VALU_DEP_3) | instskip(NEXT) | instid1(VALU_DEP_3)
	v_add_co_ci_u32_e32 v39, vcc_lo, s11, v39, vcc_lo
	v_add_co_u32 v42, vcc_lo, s10, v40
	s_delay_alu instid0(VALU_DEP_4)
	v_add_co_ci_u32_e32 v43, vcc_lo, s11, v41, vcc_lo
	s_clause 0x1
	global_load_b128 v[38:41], v[38:39], off
	global_load_b128 v[42:45], v[42:43], off
	s_waitcnt vmcnt(1)
	v_dual_fmac_f32 v13, v35, v38 :: v_dual_add_nc_u32 v6, -15, v4
	s_delay_alu instid0(VALU_DEP_1) | instskip(SKIP_2) | instid1(VALU_DEP_4)
	v_lshlrev_b64 v[47:48], 3, v[6:7]
	v_dual_fmac_f32 v21, v26, v38 :: v_dual_add_nc_u32 v6, -9, v4
	v_fmac_f32_e32 v15, v53, v38
	v_dual_fmac_f32 v13, v34, v39 :: v_dual_add_nc_u32 v2, 8, v2
	s_delay_alu instid0(VALU_DEP_3) | instskip(SKIP_3) | instid1(VALU_DEP_3)
	v_lshlrev_b64 v[60:61], 3, v[6:7]
	v_add_nc_u32_e32 v6, -3, v4
	v_add_co_u32 v47, vcc_lo, s8, v47
	v_add_co_ci_u32_e32 v48, vcc_lo, s9, v48, vcc_lo
	v_lshlrev_b64 v[62:63], 3, v[6:7]
	v_add_co_u32 v60, vcc_lo, s8, v60
	v_add_co_ci_u32_e32 v61, vcc_lo, s9, v61, vcc_lo
	global_load_b64 v[64:65], v[47:48], off
	v_add_co_u32 v62, vcc_lo, s8, v62
	global_load_b64 v[60:61], v[60:61], off
	v_add_co_ci_u32_e32 v63, vcc_lo, s9, v63, vcc_lo
	v_dual_fmac_f32 v19, v54, v38 :: v_dual_add_nc_u32 v6, -14, v4
	v_fmac_f32_e32 v15, v52, v39
	global_load_b64 v[62:63], v[62:63], off
	v_fmac_f32_e32 v13, v37, v40
	v_lshlrev_b64 v[47:48], 3, v[6:7]
	v_add_nc_u32_e32 v6, -8, v4
	v_dual_fmac_f32 v18, v34, v38 :: v_dual_fmac_f32 v15, v57, v40
	s_delay_alu instid0(VALU_DEP_4) | instskip(SKIP_1) | instid1(VALU_DEP_4)
	v_fmac_f32_e32 v13, v36, v41
	v_fma_f32 v19, -v55, v39, v19
	v_lshlrev_b64 v[66:67], 3, v[6:7]
	v_add_nc_u32_e32 v6, -2, v4
	v_add_co_u32 v47, vcc_lo, s8, v47
	v_add_co_ci_u32_e32 v48, vcc_lo, s9, v48, vcc_lo
	s_delay_alu instid0(VALU_DEP_3)
	v_lshlrev_b64 v[68:69], 3, v[6:7]
	v_fma_f32 v3, -v35, v39, v18
	v_add_nc_u32_e32 v6, 4, v46
	v_add_co_u32 v46, vcc_lo, s8, v66
	global_load_b64 v[70:71], v[47:48], off
	v_fmac_f32_e32 v3, v36, v40
	v_add_co_ci_u32_e32 v47, vcc_lo, s9, v67, vcc_lo
	v_add_co_u32 v66, vcc_lo, s8, v68
	v_lshlrev_b64 v[48:49], 3, v[6:7]
	v_dual_fmac_f32 v15, v56, v41 :: v_dual_add_nc_u32 v6, -13, v4
	v_add_co_ci_u32_e32 v67, vcc_lo, s9, v69, vcc_lo
	v_fma_f32 v3, -v37, v41, v3
	s_delay_alu instid0(VALU_DEP_4)
	v_add_co_u32 v48, vcc_lo, s10, v48
	s_clause 0x1
	global_load_b64 v[66:67], v[66:67], off
	global_load_b64 v[68:69], v[46:47], off
	v_lshlrev_b64 v[46:47], 3, v[6:7]
	s_waitcnt vmcnt(6)
	v_dual_fmac_f32 v3, v30, v42 :: v_dual_add_nc_u32 v6, -7, v4
	v_add_co_ci_u32_e32 v49, vcc_lo, s11, v49, vcc_lo
	v_fmac_f32_e32 v13, v31, v42
	s_delay_alu instid0(VALU_DEP_3) | instskip(SKIP_3) | instid1(VALU_DEP_3)
	v_lshlrev_b64 v[72:73], 3, v[6:7]
	v_add_nc_u32_e32 v6, -1, v4
	v_add_co_u32 v74, vcc_lo, s8, v46
	v_add_co_ci_u32_e32 v75, vcc_lo, s9, v47, vcc_lo
	v_lshlrev_b64 v[76:77], 3, v[6:7]
	v_add_nc_u32_e32 v6, -12, v4
	v_dual_fmac_f32 v16, v27, v38 :: v_dual_fmac_f32 v19, v58, v40
	global_load_b128 v[46:49], v[48:49], off
	v_add_co_u32 v72, vcc_lo, s8, v72
	v_add_co_ci_u32_e32 v73, vcc_lo, s9, v73, vcc_lo
	v_add_co_u32 v76, vcc_lo, s8, v76
	v_fma_f32 v19, -v59, v41, v19
	v_add_co_ci_u32_e32 v77, vcc_lo, s9, v77, vcc_lo
	global_load_b64 v[74:75], v[74:75], off
	v_fma_f32 v3, -v31, v43, v3
	v_fma_f32 v8, -v27, v39, v21
	s_clause 0x1
	global_load_b64 v[76:77], v[76:77], off
	global_load_b64 v[72:73], v[72:73], off
	v_dual_fmac_f32 v16, v26, v39 :: v_dual_fmac_f32 v3, v32, v44
	v_dual_fmac_f32 v13, v30, v43 :: v_dual_fmac_f32 v20, v52, v38
	s_delay_alu instid0(VALU_DEP_2) | instskip(NEXT) | instid1(VALU_DEP_2)
	v_fma_f32 v3, -v33, v45, v3
	v_fmac_f32_e32 v13, v33, v44
	s_delay_alu instid0(VALU_DEP_3) | instskip(SKIP_1) | instid1(VALU_DEP_3)
	v_fma_f32 v18, -v53, v39, v20
	v_fmac_f32_e32 v8, v28, v40
	v_dual_fmac_f32 v16, v29, v40 :: v_dual_fmac_f32 v13, v32, v45
	s_waitcnt vmcnt(8)
	s_delay_alu instid0(VALU_DEP_3) | instskip(SKIP_3) | instid1(VALU_DEP_4)
	v_dual_fmac_f32 v18, v56, v40 :: v_dual_fmac_f32 v15, v61, v42
	v_lshlrev_b64 v[78:79], 3, v[6:7]
	v_add_nc_u32_e32 v6, -6, v4
	v_add_nc_u32_e32 v4, 0xc0, v4
	v_dual_fmac_f32 v14, v55, v38 :: v_dual_fmac_f32 v15, v60, v43
	s_waitcnt vmcnt(7)
	v_fmac_f32_e32 v19, v62, v42
	v_lshlrev_b64 v[5:6], 3, v[6:7]
	v_add_co_u32 v78, vcc_lo, s8, v78
	v_add_co_ci_u32_e32 v79, vcc_lo, s9, v79, vcc_lo
	v_fmac_f32_e32 v14, v54, v39
	s_delay_alu instid0(VALU_DEP_4)
	v_add_co_u32 v5, vcc_lo, s8, v5
	v_add_co_ci_u32_e32 v6, vcc_lo, s9, v6, vcc_lo
	s_clause 0x2
	global_load_b64 v[78:79], v[78:79], off
	global_load_b64 v[5:6], v[5:6], off
	;; [unrolled: 1-line block ×3, first 2 shown]
	v_fma_f32 v19, -v63, v43, v19
	v_fmac_f32_e32 v16, v28, v41
	v_cmp_ge_i32_e32 vcc_lo, v2, v17
	s_or_b32 s2, vcc_lo, s2
	s_waitcnt vmcnt(8)
	v_fmac_f32_e32 v19, v66, v44
	s_waitcnt vmcnt(7)
	v_fmac_f32_e32 v15, v69, v44
	v_fmac_f32_e32 v14, v59, v40
	s_delay_alu instid0(VALU_DEP_3) | instskip(NEXT) | instid1(VALU_DEP_3)
	v_fma_f32 v19, -v67, v45, v19
	v_fmac_f32_e32 v15, v68, v45
	s_delay_alu instid0(VALU_DEP_3)
	v_fmac_f32_e32 v14, v58, v41
	s_waitcnt vmcnt(6)
	v_fmac_f32_e32 v3, v22, v46
	v_fma_f32 v8, -v29, v41, v8
	v_fmac_f32_e32 v13, v23, v46
	v_fma_f32 v18, -v57, v41, v18
	s_delay_alu instid0(VALU_DEP_4) | instskip(NEXT) | instid1(VALU_DEP_3)
	v_fma_f32 v3, -v23, v47, v3
	v_dual_fmac_f32 v8, v64, v42 :: v_dual_fmac_f32 v13, v22, v47
	s_delay_alu instid0(VALU_DEP_3) | instskip(NEXT) | instid1(VALU_DEP_3)
	v_fmac_f32_e32 v18, v60, v42
	v_dual_fmac_f32 v16, v65, v42 :: v_dual_fmac_f32 v3, v24, v48
	s_delay_alu instid0(VALU_DEP_3) | instskip(NEXT) | instid1(VALU_DEP_4)
	v_fma_f32 v8, -v65, v43, v8
	v_fmac_f32_e32 v13, v25, v48
	s_delay_alu instid0(VALU_DEP_4)
	v_fma_f32 v18, -v61, v43, v18
	s_waitcnt vmcnt(3)
	v_fmac_f32_e32 v15, v73, v46
	v_fmac_f32_e32 v14, v63, v42
	v_dual_fmac_f32 v8, v70, v44 :: v_dual_fmac_f32 v13, v24, v49
	v_fmac_f32_e32 v18, v68, v44
	s_delay_alu instid0(VALU_DEP_4) | instskip(SKIP_2) | instid1(VALU_DEP_4)
	v_fmac_f32_e32 v15, v72, v47
	v_fmac_f32_e32 v16, v64, v43
	v_dual_fmac_f32 v14, v62, v43 :: v_dual_fmac_f32 v19, v76, v46
	v_fma_f32 v18, -v69, v45, v18
	v_fma_f32 v8, -v71, v45, v8
	s_delay_alu instid0(VALU_DEP_3) | instskip(NEXT) | instid1(VALU_DEP_3)
	v_fmac_f32_e32 v14, v67, v44
	v_fmac_f32_e32 v18, v72, v46
	s_delay_alu instid0(VALU_DEP_3) | instskip(NEXT) | instid1(VALU_DEP_3)
	v_fmac_f32_e32 v8, v74, v46
	v_fmac_f32_e32 v14, v66, v45
	s_delay_alu instid0(VALU_DEP_3) | instskip(SKIP_2) | instid1(VALU_DEP_4)
	v_fma_f32 v20, -v73, v47, v18
	v_fma_f32 v18, -v25, v49, v3
	;; [unrolled: 1-line block ×3, first 2 shown]
	v_fmac_f32_e32 v14, v77, v46
	v_fma_f32 v8, -v75, v47, v8
	s_delay_alu instid0(VALU_DEP_2) | instskip(SKIP_1) | instid1(VALU_DEP_2)
	v_fmac_f32_e32 v14, v76, v47
	s_waitcnt vmcnt(2)
	v_fmac_f32_e32 v8, v78, v48
	s_waitcnt vmcnt(1)
	v_fmac_f32_e32 v15, v6, v48
	v_fmac_f32_e32 v16, v71, v44
	;; [unrolled: 1-line block ×3, first 2 shown]
	s_waitcnt vmcnt(0)
	v_fmac_f32_e32 v3, v50, v48
	v_dual_fmac_f32 v14, v51, v48 :: v_dual_fmac_f32 v15, v5, v49
	v_fmac_f32_e32 v16, v70, v45
	v_fma_f32 v21, -v79, v49, v8
	v_fma_f32 v20, -v6, v49, v20
	;; [unrolled: 1-line block ×3, first 2 shown]
	v_fmac_f32_e32 v14, v50, v49
	v_fmac_f32_e32 v16, v75, v46
	s_delay_alu instid0(VALU_DEP_1) | instskip(NEXT) | instid1(VALU_DEP_1)
	v_fmac_f32_e32 v16, v74, v47
	v_fmac_f32_e32 v16, v79, v48
	s_delay_alu instid0(VALU_DEP_1)
	v_fmac_f32_e32 v16, v78, v49
	s_and_not1_b32 exec_lo, exec_lo, s2
	s_cbranch_execnz .LBB95_21
; %bb.22:
	s_or_b32 exec_lo, exec_lo, s2
.LBB95_23:
	s_delay_alu instid0(SALU_CYCLE_1)
	s_or_b32 exec_lo, exec_lo, s3
.LBB95_24:
	v_mbcnt_lo_u32_b32 v2, -1, 0
	s_delay_alu instid0(VALU_DEP_1) | instskip(SKIP_1) | instid1(VALU_DEP_2)
	v_xor_b32_e32 v3, 4, v2
	v_xor_b32_e32 v23, 2, v2
	v_cmp_gt_i32_e32 vcc_lo, 32, v3
	v_cndmask_b32_e32 v3, v2, v3, vcc_lo
	s_delay_alu instid0(VALU_DEP_3) | instskip(NEXT) | instid1(VALU_DEP_2)
	v_cmp_gt_i32_e32 vcc_lo, 32, v23
	v_lshlrev_b32_e32 v3, 2, v3
	ds_bpermute_b32 v4, v3, v18
	s_waitcnt lgkmcnt(0)
	v_add_f32_e32 v4, v18, v4
	ds_bpermute_b32 v5, v3, v13
	ds_bpermute_b32 v7, v3, v16
	;; [unrolled: 1-line block ×7, first 2 shown]
	s_waitcnt lgkmcnt(5)
	v_dual_add_f32 v5, v13, v5 :: v_dual_add_f32 v16, v16, v7
	v_cndmask_b32_e32 v23, v2, v23, vcc_lo
	s_waitcnt lgkmcnt(3)
	v_dual_add_f32 v13, v21, v6 :: v_dual_add_f32 v8, v20, v8
	s_waitcnt lgkmcnt(0)
	v_dual_add_f32 v15, v15, v17 :: v_dual_add_f32 v18, v14, v3
	v_lshlrev_b32_e32 v23, 2, v23
	ds_bpermute_b32 v3, v23, v4
	v_add_f32_e32 v17, v19, v22
	ds_bpermute_b32 v6, v23, v5
	ds_bpermute_b32 v7, v23, v13
	;; [unrolled: 1-line block ×7, first 2 shown]
	v_xor_b32_e32 v23, 1, v2
	s_delay_alu instid0(VALU_DEP_1)
	v_cmp_gt_i32_e32 vcc_lo, 32, v23
	v_cndmask_b32_e32 v2, v2, v23, vcc_lo
	v_cmp_eq_u32_e32 vcc_lo, 7, v0
	s_waitcnt lgkmcnt(6)
	v_add_f32_e32 v6, v5, v6
	s_waitcnt lgkmcnt(5)
	v_add_f32_e32 v7, v13, v7
	v_dual_add_f32 v2, v4, v3 :: v_dual_lshlrev_b32 v23, 2, v2
	s_waitcnt lgkmcnt(4)
	v_add_f32_e32 v13, v16, v14
	s_waitcnt lgkmcnt(2)
	v_dual_add_f32 v14, v8, v19 :: v_dual_add_f32 v15, v15, v20
	s_waitcnt lgkmcnt(1)
	v_add_f32_e32 v3, v17, v21
	s_waitcnt lgkmcnt(0)
	v_add_f32_e32 v5, v18, v22
	ds_bpermute_b32 v4, v23, v2
	ds_bpermute_b32 v8, v23, v6
	;; [unrolled: 1-line block ×8, first 2 shown]
	s_and_b32 exec_lo, exec_lo, vcc_lo
	s_cbranch_execz .LBB95_29
; %bb.25:
	s_load_b64 s[2:3], s[0:1], 0x38
	v_cmp_eq_f32_e32 vcc_lo, 0, v11
	v_cmp_eq_f32_e64 s0, 0, v12
	s_waitcnt lgkmcnt(0)
	v_add_f32_e32 v4, v2, v4
	v_dual_add_f32 v8, v6, v8 :: v_dual_add_f32 v5, v5, v17
	v_dual_add_f32 v0, v7, v18 :: v_dual_add_f32 v7, v13, v19
	v_add_f32_e32 v2, v14, v20
	v_add_f32_e32 v6, v15, v21
	;; [unrolled: 1-line block ×3, first 2 shown]
	s_and_b32 s0, vcc_lo, s0
	s_delay_alu instid0(SALU_CYCLE_1) | instskip(NEXT) | instid1(SALU_CYCLE_1)
	s_and_saveexec_b32 s1, s0
	s_xor_b32 s0, exec_lo, s1
	s_cbranch_execz .LBB95_27
; %bb.26:
	v_mul_f32_e64 v11, v8, -v10
	v_mul_f32_e32 v12, v8, v9
	v_mul_f32_e64 v13, v7, -v10
	v_mul_f32_e32 v14, v7, v9
	v_mul_f32_e64 v15, v6, -v10
	v_fmac_f32_e32 v11, v9, v4
	v_dual_fmac_f32 v12, v10, v4 :: v_dual_lshlrev_b32 v17, 2, v1
	s_delay_alu instid0(VALU_DEP_3) | instskip(SKIP_1) | instid1(VALU_DEP_3)
	v_dual_mul_f32 v16, v6, v9 :: v_dual_fmac_f32 v15, v9, v2
	v_fmac_f32_e32 v13, v9, v0
	v_ashrrev_i32_e32 v18, 31, v17
                                        ; implicit-def: $vgpr1
                                        ; implicit-def: $vgpr4
                                        ; implicit-def: $vgpr8
	s_delay_alu instid0(VALU_DEP_3) | instskip(NEXT) | instid1(VALU_DEP_2)
	v_fmac_f32_e32 v16, v10, v2
                                        ; implicit-def: $vgpr2
	v_lshlrev_b64 v[6:7], 3, v[17:18]
	v_mul_f32_e64 v17, v5, -v10
	v_mul_f32_e32 v18, v5, v9
	v_fmac_f32_e32 v14, v10, v0
                                        ; implicit-def: $vgpr0
                                        ; implicit-def: $vgpr5
	s_delay_alu instid0(VALU_DEP_3)
	v_fmac_f32_e32 v17, v9, v3
	v_add_co_u32 v6, vcc_lo, s2, v6
	v_add_co_ci_u32_e32 v7, vcc_lo, s3, v7, vcc_lo
	v_fmac_f32_e32 v18, v10, v3
	s_clause 0x1
	global_store_b128 v[6:7], v[11:14], off
	global_store_b128 v[6:7], v[15:18], off offset:16
                                        ; implicit-def: $vgpr9
                                        ; implicit-def: $vgpr10
                                        ; implicit-def: $vgpr11
                                        ; implicit-def: $vgpr12
                                        ; implicit-def: $vgpr7
                                        ; implicit-def: $vgpr6
                                        ; implicit-def: $vgpr3
.LBB95_27:
	s_and_not1_saveexec_b32 s0, s0
	s_cbranch_execz .LBB95_29
; %bb.28:
	v_mul_f32_e32 v22, v8, v9
	v_lshlrev_b32_e32 v13, 2, v1
	v_mul_f32_e64 v1, v8, -v10
	v_mul_f32_e64 v23, v7, -v10
	v_mul_f32_e32 v24, v7, v9
	v_mul_f32_e64 v7, v6, -v10
	s_delay_alu instid0(VALU_DEP_4) | instskip(SKIP_2) | instid1(VALU_DEP_4)
	v_dual_mul_f32 v6, v6, v9 :: v_dual_fmac_f32 v1, v9, v4
	v_fmac_f32_e32 v22, v10, v4
	v_ashrrev_i32_e32 v14, 31, v13
	v_fmac_f32_e32 v7, v9, v2
	v_mul_f32_e64 v27, v5, -v10
	v_fmac_f32_e32 v23, v9, v0
	v_fmac_f32_e32 v24, v10, v0
	v_lshlrev_b64 v[13:14], 3, v[13:14]
	s_delay_alu instid0(VALU_DEP_4) | instskip(NEXT) | instid1(VALU_DEP_2)
	v_fmac_f32_e32 v27, v9, v3
	v_add_co_u32 v25, vcc_lo, s2, v13
	s_delay_alu instid0(VALU_DEP_3)
	v_add_co_ci_u32_e32 v26, vcc_lo, s3, v14, vcc_lo
	s_clause 0x1
	global_load_b128 v[13:16], v[25:26], off
	global_load_b128 v[17:20], v[25:26], off offset:16
	v_mul_f32_e32 v8, v5, v9
	s_waitcnt vmcnt(1)
	v_dual_fmac_f32 v6, v10, v2 :: v_dual_fmac_f32 v1, v11, v13
	v_fmac_f32_e32 v23, v11, v15
	s_waitcnt vmcnt(0)
	v_dual_fmac_f32 v8, v10, v3 :: v_dual_fmac_f32 v7, v11, v17
	v_dual_fmac_f32 v22, v12, v13 :: v_dual_fmac_f32 v27, v11, v19
	v_fmac_f32_e32 v24, v12, v15
	v_fmac_f32_e32 v6, v12, v17
	s_delay_alu instid0(VALU_DEP_4)
	v_fmac_f32_e32 v8, v12, v19
	v_fma_f32 v21, -v12, v14, v1
	v_fmac_f32_e32 v22, v11, v14
	v_fma_f32 v23, -v12, v16, v23
	;; [unrolled: 2-line block ×4, first 2 shown]
	v_fmac_f32_e32 v8, v11, v20
	s_clause 0x1
	global_store_b128 v[25:26], v[21:24], off
	global_store_b128 v[25:26], v[5:8], off offset:16
.LBB95_29:
	s_nop 0
	s_sendmsg sendmsg(MSG_DEALLOC_VGPRS)
	s_endpgm
	.section	.rodata,"a",@progbits
	.p2align	6, 0x0
	.amdhsa_kernel _ZN9rocsparseL19gebsrmvn_4xn_kernelILj128ELj6ELj8E21rocsparse_complex_numIfEEEvi20rocsparse_direction_NS_24const_host_device_scalarIT2_EEPKiS8_PKS5_SA_S6_PS5_21rocsparse_index_base_b
		.amdhsa_group_segment_fixed_size 0
		.amdhsa_private_segment_fixed_size 0
		.amdhsa_kernarg_size 72
		.amdhsa_user_sgpr_count 15
		.amdhsa_user_sgpr_dispatch_ptr 0
		.amdhsa_user_sgpr_queue_ptr 0
		.amdhsa_user_sgpr_kernarg_segment_ptr 1
		.amdhsa_user_sgpr_dispatch_id 0
		.amdhsa_user_sgpr_private_segment_size 0
		.amdhsa_wavefront_size32 1
		.amdhsa_uses_dynamic_stack 0
		.amdhsa_enable_private_segment 0
		.amdhsa_system_sgpr_workgroup_id_x 1
		.amdhsa_system_sgpr_workgroup_id_y 0
		.amdhsa_system_sgpr_workgroup_id_z 0
		.amdhsa_system_sgpr_workgroup_info 0
		.amdhsa_system_vgpr_workitem_id 0
		.amdhsa_next_free_vgpr 82
		.amdhsa_next_free_sgpr 16
		.amdhsa_reserve_vcc 1
		.amdhsa_float_round_mode_32 0
		.amdhsa_float_round_mode_16_64 0
		.amdhsa_float_denorm_mode_32 3
		.amdhsa_float_denorm_mode_16_64 3
		.amdhsa_dx10_clamp 1
		.amdhsa_ieee_mode 1
		.amdhsa_fp16_overflow 0
		.amdhsa_workgroup_processor_mode 1
		.amdhsa_memory_ordered 1
		.amdhsa_forward_progress 0
		.amdhsa_shared_vgpr_count 0
		.amdhsa_exception_fp_ieee_invalid_op 0
		.amdhsa_exception_fp_denorm_src 0
		.amdhsa_exception_fp_ieee_div_zero 0
		.amdhsa_exception_fp_ieee_overflow 0
		.amdhsa_exception_fp_ieee_underflow 0
		.amdhsa_exception_fp_ieee_inexact 0
		.amdhsa_exception_int_div_zero 0
	.end_amdhsa_kernel
	.section	.text._ZN9rocsparseL19gebsrmvn_4xn_kernelILj128ELj6ELj8E21rocsparse_complex_numIfEEEvi20rocsparse_direction_NS_24const_host_device_scalarIT2_EEPKiS8_PKS5_SA_S6_PS5_21rocsparse_index_base_b,"axG",@progbits,_ZN9rocsparseL19gebsrmvn_4xn_kernelILj128ELj6ELj8E21rocsparse_complex_numIfEEEvi20rocsparse_direction_NS_24const_host_device_scalarIT2_EEPKiS8_PKS5_SA_S6_PS5_21rocsparse_index_base_b,comdat
.Lfunc_end95:
	.size	_ZN9rocsparseL19gebsrmvn_4xn_kernelILj128ELj6ELj8E21rocsparse_complex_numIfEEEvi20rocsparse_direction_NS_24const_host_device_scalarIT2_EEPKiS8_PKS5_SA_S6_PS5_21rocsparse_index_base_b, .Lfunc_end95-_ZN9rocsparseL19gebsrmvn_4xn_kernelILj128ELj6ELj8E21rocsparse_complex_numIfEEEvi20rocsparse_direction_NS_24const_host_device_scalarIT2_EEPKiS8_PKS5_SA_S6_PS5_21rocsparse_index_base_b
                                        ; -- End function
	.section	.AMDGPU.csdata,"",@progbits
; Kernel info:
; codeLenInByte = 3892
; NumSgprs: 18
; NumVgprs: 82
; ScratchSize: 0
; MemoryBound: 0
; FloatMode: 240
; IeeeMode: 1
; LDSByteSize: 0 bytes/workgroup (compile time only)
; SGPRBlocks: 2
; VGPRBlocks: 10
; NumSGPRsForWavesPerEU: 18
; NumVGPRsForWavesPerEU: 82
; Occupancy: 16
; WaveLimiterHint : 1
; COMPUTE_PGM_RSRC2:SCRATCH_EN: 0
; COMPUTE_PGM_RSRC2:USER_SGPR: 15
; COMPUTE_PGM_RSRC2:TRAP_HANDLER: 0
; COMPUTE_PGM_RSRC2:TGID_X_EN: 1
; COMPUTE_PGM_RSRC2:TGID_Y_EN: 0
; COMPUTE_PGM_RSRC2:TGID_Z_EN: 0
; COMPUTE_PGM_RSRC2:TIDIG_COMP_CNT: 0
	.section	.text._ZN9rocsparseL19gebsrmvn_4xn_kernelILj128ELj6ELj16E21rocsparse_complex_numIfEEEvi20rocsparse_direction_NS_24const_host_device_scalarIT2_EEPKiS8_PKS5_SA_S6_PS5_21rocsparse_index_base_b,"axG",@progbits,_ZN9rocsparseL19gebsrmvn_4xn_kernelILj128ELj6ELj16E21rocsparse_complex_numIfEEEvi20rocsparse_direction_NS_24const_host_device_scalarIT2_EEPKiS8_PKS5_SA_S6_PS5_21rocsparse_index_base_b,comdat
	.globl	_ZN9rocsparseL19gebsrmvn_4xn_kernelILj128ELj6ELj16E21rocsparse_complex_numIfEEEvi20rocsparse_direction_NS_24const_host_device_scalarIT2_EEPKiS8_PKS5_SA_S6_PS5_21rocsparse_index_base_b ; -- Begin function _ZN9rocsparseL19gebsrmvn_4xn_kernelILj128ELj6ELj16E21rocsparse_complex_numIfEEEvi20rocsparse_direction_NS_24const_host_device_scalarIT2_EEPKiS8_PKS5_SA_S6_PS5_21rocsparse_index_base_b
	.p2align	8
	.type	_ZN9rocsparseL19gebsrmvn_4xn_kernelILj128ELj6ELj16E21rocsparse_complex_numIfEEEvi20rocsparse_direction_NS_24const_host_device_scalarIT2_EEPKiS8_PKS5_SA_S6_PS5_21rocsparse_index_base_b,@function
_ZN9rocsparseL19gebsrmvn_4xn_kernelILj128ELj6ELj16E21rocsparse_complex_numIfEEEvi20rocsparse_direction_NS_24const_host_device_scalarIT2_EEPKiS8_PKS5_SA_S6_PS5_21rocsparse_index_base_b: ; @_ZN9rocsparseL19gebsrmvn_4xn_kernelILj128ELj6ELj16E21rocsparse_complex_numIfEEEvi20rocsparse_direction_NS_24const_host_device_scalarIT2_EEPKiS8_PKS5_SA_S6_PS5_21rocsparse_index_base_b
; %bb.0:
	s_clause 0x2
	s_load_b64 s[12:13], s[0:1], 0x40
	s_load_b64 s[4:5], s[0:1], 0x8
	;; [unrolled: 1-line block ×3, first 2 shown]
	s_waitcnt lgkmcnt(0)
	s_bitcmp1_b32 s13, 0
	v_mov_b32_e32 v9, s4
	s_cselect_b32 s6, -1, 0
	s_delay_alu instid0(SALU_CYCLE_1)
	s_and_b32 vcc_lo, exec_lo, s6
	s_xor_b32 s6, s6, -1
	s_cbranch_vccz .LBB96_15
; %bb.1:
	v_cndmask_b32_e64 v1, 0, 1, s6
	v_mov_b32_e32 v10, s5
	s_and_not1_b32 vcc_lo, exec_lo, s6
	s_cbranch_vccz .LBB96_16
.LBB96_2:
	s_delay_alu instid0(VALU_DEP_2)
	v_cmp_ne_u32_e32 vcc_lo, 1, v1
	v_mov_b32_e32 v11, s2
	s_cbranch_vccz .LBB96_17
.LBB96_3:
	v_cmp_ne_u32_e32 vcc_lo, 1, v1
	v_mov_b32_e32 v12, s3
	s_cbranch_vccnz .LBB96_5
.LBB96_4:
	v_dual_mov_b32 v1, s2 :: v_dual_mov_b32 v2, s3
	flat_load_b32 v12, v[1:2] offset:4
.LBB96_5:
	s_waitcnt vmcnt(0) lgkmcnt(0)
	v_cmp_eq_f32_e32 vcc_lo, 0, v9
	v_cmp_eq_f32_e64 s2, 0, v10
	s_delay_alu instid0(VALU_DEP_1)
	s_and_b32 s4, vcc_lo, s2
	s_mov_b32 s2, -1
	s_and_saveexec_b32 s3, s4
; %bb.6:
	v_cmp_neq_f32_e32 vcc_lo, 1.0, v11
	v_cmp_neq_f32_e64 s2, 0, v12
	s_delay_alu instid0(VALU_DEP_1) | instskip(NEXT) | instid1(SALU_CYCLE_1)
	s_or_b32 s2, vcc_lo, s2
	s_or_not1_b32 s2, s2, exec_lo
; %bb.7:
	s_or_b32 exec_lo, exec_lo, s3
	s_and_saveexec_b32 s3, s2
	s_cbranch_execz .LBB96_29
; %bb.8:
	s_load_b64 s[2:3], s[0:1], 0x0
	v_lshrrev_b32_e32 v1, 4, v0
	s_delay_alu instid0(VALU_DEP_1) | instskip(SKIP_1) | instid1(VALU_DEP_1)
	v_lshl_or_b32 v1, s15, 3, v1
	s_waitcnt lgkmcnt(0)
	v_cmp_gt_i32_e32 vcc_lo, s2, v1
	s_and_b32 exec_lo, exec_lo, vcc_lo
	s_cbranch_execz .LBB96_29
; %bb.9:
	s_load_b256 s[4:11], s[0:1], 0x10
	v_ashrrev_i32_e32 v2, 31, v1
	v_and_b32_e32 v0, 15, v0
	s_cmp_lg_u32 s3, 0
	s_delay_alu instid0(VALU_DEP_2) | instskip(SKIP_1) | instid1(VALU_DEP_1)
	v_lshlrev_b64 v[2:3], 2, v[1:2]
	s_waitcnt lgkmcnt(0)
	v_add_co_u32 v2, vcc_lo, s4, v2
	s_delay_alu instid0(VALU_DEP_2) | instskip(SKIP_4) | instid1(VALU_DEP_2)
	v_add_co_ci_u32_e32 v3, vcc_lo, s5, v3, vcc_lo
	global_load_b64 v[2:3], v[2:3], off
	s_waitcnt vmcnt(0)
	v_subrev_nc_u32_e32 v2, s12, v2
	v_subrev_nc_u32_e32 v17, s12, v3
	v_add_nc_u32_e32 v2, v2, v0
	s_delay_alu instid0(VALU_DEP_1)
	v_cmp_lt_i32_e64 s2, v2, v17
	s_cbranch_scc0 .LBB96_18
; %bb.10:
	v_dual_mov_b32 v13, 0 :: v_dual_mov_b32 v18, 0
	v_dual_mov_b32 v19, 0 :: v_dual_mov_b32 v14, 0
	;; [unrolled: 1-line block ×4, first 2 shown]
	s_mov_b32 s3, 0
	s_and_saveexec_b32 s4, s2
	s_cbranch_execz .LBB96_14
; %bb.11:
	v_mad_u64_u32 v[3:4], null, v2, 24, 20
	v_dual_mov_b32 v6, 0 :: v_dual_mov_b32 v7, v2
	v_dual_mov_b32 v13, 0 :: v_dual_mov_b32 v18, 0
	;; [unrolled: 1-line block ×5, first 2 shown]
	s_mov_b32 s5, 0
.LBB96_12:                              ; =>This Inner Loop Header: Depth=1
	v_ashrrev_i32_e32 v8, 31, v7
	s_delay_alu instid0(VALU_DEP_1) | instskip(NEXT) | instid1(VALU_DEP_1)
	v_lshlrev_b64 v[4:5], 2, v[7:8]
	v_add_co_u32 v4, vcc_lo, s6, v4
	s_delay_alu instid0(VALU_DEP_2) | instskip(SKIP_3) | instid1(VALU_DEP_2)
	v_add_co_ci_u32_e32 v5, vcc_lo, s7, v5, vcc_lo
	global_load_b32 v8, v[4:5], off
	v_subrev_nc_u32_e32 v5, 20, v3
	v_mov_b32_e32 v4, v6
	v_lshlrev_b64 v[22:23], 3, v[5:6]
	v_add_nc_u32_e32 v5, -12, v3
	s_delay_alu instid0(VALU_DEP_3) | instskip(NEXT) | instid1(VALU_DEP_2)
	v_lshlrev_b64 v[24:25], 3, v[3:4]
	v_lshlrev_b64 v[4:5], 3, v[5:6]
	s_delay_alu instid0(VALU_DEP_4) | instskip(SKIP_1) | instid1(VALU_DEP_4)
	v_add_co_u32 v34, vcc_lo, s8, v22
	v_add_co_ci_u32_e32 v35, vcc_lo, s9, v23, vcc_lo
	v_add_co_u32 v78, vcc_lo, s8, v24
	v_add_co_ci_u32_e32 v79, vcc_lo, s9, v25, vcc_lo
	;; [unrolled: 2-line block ×3, first 2 shown]
	s_clause 0x5
	global_load_b128 v[22:25], v[34:35], off offset:48
	global_load_b128 v[26:29], v[34:35], off offset:32
	;; [unrolled: 1-line block ×3, first 2 shown]
	global_load_b128 v[34:37], v[34:35], off
	global_load_b128 v[38:41], v[4:5], off offset:16
	global_load_b128 v[42:45], v[4:5], off
	v_mov_b32_e32 v51, v6
	s_waitcnt vmcnt(6)
	v_subrev_nc_u32_e32 v4, s12, v8
	s_delay_alu instid0(VALU_DEP_1) | instskip(NEXT) | instid1(VALU_DEP_1)
	v_mul_lo_u32 v50, v4, 6
	v_lshlrev_b64 v[46:47], 3, v[50:51]
	s_delay_alu instid0(VALU_DEP_1) | instskip(NEXT) | instid1(VALU_DEP_2)
	v_add_co_u32 v46, vcc_lo, s10, v46
	v_add_co_ci_u32_e32 v47, vcc_lo, s11, v47, vcc_lo
	global_load_b128 v[46:49], v[46:47], off
	v_add_nc_u32_e32 v5, 2, v50
	s_delay_alu instid0(VALU_DEP_1) | instskip(SKIP_1) | instid1(VALU_DEP_1)
	v_lshlrev_b64 v[51:52], 3, v[5:6]
	v_add_nc_u32_e32 v5, -8, v3
	v_lshlrev_b64 v[54:55], 3, v[5:6]
	s_delay_alu instid0(VALU_DEP_3) | instskip(SKIP_2) | instid1(VALU_DEP_4)
	v_add_co_u32 v51, vcc_lo, s10, v51
	v_add_nc_u32_e32 v5, -4, v3
	v_add_co_ci_u32_e32 v52, vcc_lo, s11, v52, vcc_lo
	v_add_co_u32 v58, vcc_lo, s8, v54
	s_delay_alu instid0(VALU_DEP_3)
	v_lshlrev_b64 v[62:63], 3, v[5:6]
	v_add_nc_u32_e32 v5, 4, v50
	global_load_b128 v[50:53], v[51:52], off
	v_add_co_ci_u32_e32 v59, vcc_lo, s9, v55, vcc_lo
	v_add_nc_u32_e32 v7, 16, v7
	s_clause 0x1
	global_load_b128 v[54:57], v[58:59], off
	global_load_b128 v[58:61], v[58:59], off offset:16
	v_add_co_u32 v66, vcc_lo, s8, v62
	v_add_co_ci_u32_e32 v67, vcc_lo, s9, v63, vcc_lo
	s_waitcnt vmcnt(3)
	v_fmac_f32_e32 v14, v33, v46
	v_fmac_f32_e32 v18, v34, v46
	;; [unrolled: 1-line block ×4, first 2 shown]
	s_delay_alu instid0(VALU_DEP_4)
	v_fmac_f32_e32 v14, v32, v47
	v_lshlrev_b64 v[4:5], 3, v[5:6]
	v_fmac_f32_e32 v19, v32, v46
	v_dual_fmac_f32 v16, v36, v47 :: v_dual_fmac_f32 v13, v35, v46
	v_fma_f32 v8, -v31, v47, v20
	v_fmac_f32_e32 v21, v36, v46
	v_add_co_u32 v4, vcc_lo, s10, v4
	v_add_co_ci_u32_e32 v5, vcc_lo, s11, v5, vcc_lo
	s_delay_alu instid0(VALU_DEP_4)
	v_fmac_f32_e32 v8, v22, v48
	s_clause 0x1
	global_load_b128 v[62:65], v[66:67], off offset:16
	global_load_b128 v[66:69], v[66:67], off
	global_load_b128 v[70:73], v[4:5], off
	s_clause 0x1
	global_load_b128 v[74:77], v[78:79], off
	global_load_b128 v[78:81], v[78:79], off offset:16
	v_fma_f32 v4, -v35, v47, v18
	v_dual_fmac_f32 v16, v29, v48 :: v_dual_add_nc_u32 v3, 0x180, v3
	v_dual_fmac_f32 v13, v34, v47 :: v_dual_fmac_f32 v14, v25, v48
	v_fma_f32 v18, -v33, v47, v19
	s_delay_alu instid0(VALU_DEP_4) | instskip(SKIP_2) | instid1(VALU_DEP_3)
	v_dual_fmac_f32 v15, v31, v46 :: v_dual_fmac_f32 v4, v26, v48
	v_fma_f32 v5, -v37, v47, v21
	v_fmac_f32_e32 v16, v28, v49
	v_dual_fmac_f32 v18, v24, v48 :: v_dual_fmac_f32 v15, v30, v47
	v_fmac_f32_e32 v14, v24, v49
	v_fma_f32 v4, -v27, v49, v4
	v_fmac_f32_e32 v13, v27, v48
	s_waitcnt vmcnt(7)
	v_dual_fmac_f32 v5, v28, v48 :: v_dual_fmac_f32 v16, v45, v50
	v_fma_f32 v8, -v23, v49, v8
	v_fmac_f32_e32 v15, v23, v48
	v_fma_f32 v18, -v25, v49, v18
	v_fmac_f32_e32 v4, v42, v50
	v_fmac_f32_e32 v13, v26, v49
	v_fma_f32 v5, -v29, v49, v5
	v_fmac_f32_e32 v8, v38, v50
	v_dual_fmac_f32 v18, v40, v50 :: v_dual_fmac_f32 v15, v22, v49
	v_fmac_f32_e32 v14, v41, v50
	v_dual_fmac_f32 v13, v43, v50 :: v_dual_fmac_f32 v16, v44, v51
	v_fma_f32 v4, -v43, v51, v4
	v_fmac_f32_e32 v5, v44, v50
	s_delay_alu instid0(VALU_DEP_4)
	v_dual_fmac_f32 v15, v39, v50 :: v_dual_fmac_f32 v14, v40, v51
	s_waitcnt vmcnt(6)
	v_dual_fmac_f32 v13, v42, v51 :: v_dual_fmac_f32 v16, v57, v52
	v_fma_f32 v8, -v39, v51, v8
	v_fma_f32 v18, -v41, v51, v18
	v_fmac_f32_e32 v15, v38, v51
	v_fmac_f32_e32 v4, v54, v52
	v_fma_f32 v5, -v45, v51, v5
	v_dual_fmac_f32 v13, v55, v52 :: v_dual_fmac_f32 v16, v56, v53
	s_waitcnt vmcnt(5)
	v_fmac_f32_e32 v18, v60, v52
	v_fmac_f32_e32 v14, v61, v52
	v_fma_f32 v4, -v55, v53, v4
	v_fmac_f32_e32 v13, v54, v53
	v_fmac_f32_e32 v5, v56, v52
	;; [unrolled: 1-line block ×3, first 2 shown]
	v_dual_fmac_f32 v15, v59, v52 :: v_dual_fmac_f32 v14, v60, v53
	v_fma_f32 v18, -v61, v53, v18
	v_cmp_ge_i32_e32 vcc_lo, v7, v17
	s_delay_alu instid0(VALU_DEP_3)
	v_fmac_f32_e32 v15, v58, v53
	s_or_b32 s5, vcc_lo, s5
	s_waitcnt vmcnt(2)
	v_fmac_f32_e32 v16, v69, v70
	v_fmac_f32_e32 v4, v66, v70
	v_fma_f32 v5, -v57, v53, v5
	v_fmac_f32_e32 v13, v67, v70
	v_fma_f32 v8, -v59, v53, v8
	v_dual_fmac_f32 v15, v63, v70 :: v_dual_fmac_f32 v16, v68, v71
	s_delay_alu instid0(VALU_DEP_3) | instskip(NEXT) | instid1(VALU_DEP_3)
	v_dual_fmac_f32 v18, v64, v70 :: v_dual_fmac_f32 v13, v66, v71
	v_fmac_f32_e32 v8, v62, v70
	s_delay_alu instid0(VALU_DEP_3)
	v_dual_fmac_f32 v14, v65, v70 :: v_dual_fmac_f32 v15, v62, v71
	v_fma_f32 v4, -v67, v71, v4
	v_fmac_f32_e32 v5, v68, v70
	v_fma_f32 v19, -v65, v71, v18
	s_waitcnt vmcnt(0)
	v_dual_fmac_f32 v14, v64, v71 :: v_dual_fmac_f32 v15, v79, v72
	v_fmac_f32_e32 v4, v74, v72
	v_fma_f32 v5, -v69, v71, v5
	v_fmac_f32_e32 v13, v75, v72
	v_fma_f32 v8, -v63, v71, v8
	v_fmac_f32_e32 v16, v77, v72
	v_fmac_f32_e32 v19, v80, v72
	;; [unrolled: 1-line block ×5, first 2 shown]
	v_dual_fmac_f32 v14, v81, v72 :: v_dual_fmac_f32 v15, v78, v73
	v_fma_f32 v18, -v75, v73, v4
	v_fma_f32 v21, -v77, v73, v5
	v_fmac_f32_e32 v16, v76, v73
	v_fma_f32 v20, -v79, v73, v8
	v_fma_f32 v19, -v81, v73, v19
	v_fmac_f32_e32 v14, v80, v73
	s_and_not1_b32 exec_lo, exec_lo, s5
	s_cbranch_execnz .LBB96_12
; %bb.13:
	s_or_b32 exec_lo, exec_lo, s5
.LBB96_14:
	s_delay_alu instid0(SALU_CYCLE_1) | instskip(NEXT) | instid1(SALU_CYCLE_1)
	s_or_b32 exec_lo, exec_lo, s4
	s_and_not1_b32 vcc_lo, exec_lo, s3
	s_cbranch_vccz .LBB96_19
	s_branch .LBB96_24
.LBB96_15:
	v_dual_mov_b32 v1, s4 :: v_dual_mov_b32 v2, s5
	flat_load_b32 v9, v[1:2]
	v_cndmask_b32_e64 v1, 0, 1, s6
	v_mov_b32_e32 v10, s5
	s_and_not1_b32 vcc_lo, exec_lo, s6
	s_cbranch_vccnz .LBB96_2
.LBB96_16:
	v_dual_mov_b32 v2, s4 :: v_dual_mov_b32 v3, s5
	flat_load_b32 v10, v[2:3] offset:4
	v_cmp_ne_u32_e32 vcc_lo, 1, v1
	v_mov_b32_e32 v11, s2
	s_cbranch_vccnz .LBB96_3
.LBB96_17:
	v_dual_mov_b32 v2, s2 :: v_dual_mov_b32 v3, s3
	flat_load_b32 v11, v[2:3]
	v_cmp_ne_u32_e32 vcc_lo, 1, v1
	v_mov_b32_e32 v12, s3
	s_cbranch_vccz .LBB96_4
	s_branch .LBB96_5
.LBB96_18:
                                        ; implicit-def: $vgpr13
                                        ; implicit-def: $vgpr18
                                        ; implicit-def: $vgpr19
                                        ; implicit-def: $vgpr14
                                        ; implicit-def: $vgpr20
                                        ; implicit-def: $vgpr15
                                        ; implicit-def: $vgpr21
                                        ; implicit-def: $vgpr16
.LBB96_19:
	v_dual_mov_b32 v13, 0 :: v_dual_mov_b32 v18, 0
	v_dual_mov_b32 v19, 0 :: v_dual_mov_b32 v14, 0
	;; [unrolled: 1-line block ×4, first 2 shown]
	s_and_saveexec_b32 s3, s2
	s_cbranch_execz .LBB96_23
; %bb.20:
	v_mad_u64_u32 v[4:5], null, v2, 24, 23
	v_dual_mov_b32 v7, 0 :: v_dual_mov_b32 v18, 0
	v_dual_mov_b32 v13, 0 :: v_dual_mov_b32 v14, 0
	;; [unrolled: 1-line block ×4, first 2 shown]
	v_mov_b32_e32 v21, 0
	s_mov_b32 s2, 0
.LBB96_21:                              ; =>This Inner Loop Header: Depth=1
	v_ashrrev_i32_e32 v3, 31, v2
	v_dual_mov_b32 v47, v7 :: v_dual_add_nc_u32 v22, -11, v4
	v_dual_mov_b32 v23, v7 :: v_dual_add_nc_u32 v24, -5, v4
	s_delay_alu instid0(VALU_DEP_3) | instskip(SKIP_1) | instid1(VALU_DEP_3)
	v_lshlrev_b64 v[5:6], 2, v[2:3]
	v_mov_b32_e32 v25, v7
	v_lshlrev_b64 v[22:23], 3, v[22:23]
	s_delay_alu instid0(VALU_DEP_3) | instskip(NEXT) | instid1(VALU_DEP_4)
	v_add_co_u32 v5, vcc_lo, s6, v5
	v_add_co_ci_u32_e32 v6, vcc_lo, s7, v6, vcc_lo
	global_load_b32 v3, v[5:6], off
	v_subrev_nc_u32_e32 v6, 23, v4
	v_mov_b32_e32 v5, v7
	s_delay_alu instid0(VALU_DEP_2) | instskip(SKIP_2) | instid1(VALU_DEP_2)
	v_lshlrev_b64 v[26:27], 3, v[6:7]
	v_add_nc_u32_e32 v6, -10, v4
	v_lshlrev_b64 v[24:25], 3, v[24:25]
	v_lshlrev_b64 v[38:39], 3, v[6:7]
	v_add_nc_u32_e32 v6, -4, v4
	v_add_co_u32 v34, vcc_lo, s8, v26
	v_add_co_ci_u32_e32 v35, vcc_lo, s9, v27, vcc_lo
	v_lshlrev_b64 v[28:29], 3, v[4:5]
	v_add_co_u32 v40, vcc_lo, s8, v22
	v_add_co_ci_u32_e32 v41, vcc_lo, s9, v23, vcc_lo
	v_add_co_u32 v42, vcc_lo, s8, v24
	v_add_co_ci_u32_e32 v43, vcc_lo, s9, v25, vcc_lo
	v_add_co_u32 v50, vcc_lo, s8, v28
	v_lshlrev_b64 v[5:6], 3, v[6:7]
	v_add_co_ci_u32_e32 v51, vcc_lo, s9, v29, vcc_lo
	v_add_co_u32 v38, vcc_lo, s8, v38
	v_add_co_ci_u32_e32 v39, vcc_lo, s9, v39, vcc_lo
	s_delay_alu instid0(VALU_DEP_4)
	v_add_co_u32 v5, vcc_lo, s8, v5
	v_add_co_ci_u32_e32 v6, vcc_lo, s9, v6, vcc_lo
	s_clause 0x7
	global_load_b128 v[22:25], v[34:35], off offset:32
	global_load_b128 v[26:29], v[34:35], off offset:48
	;; [unrolled: 1-line block ×3, first 2 shown]
	global_load_b128 v[34:37], v[34:35], off
	global_load_b64 v[52:53], v[40:41], off
	global_load_b64 v[54:55], v[42:43], off
	;; [unrolled: 1-line block ×4, first 2 shown]
	s_waitcnt vmcnt(8)
	v_subrev_nc_u32_e32 v3, s12, v3
	s_delay_alu instid0(VALU_DEP_1) | instskip(NEXT) | instid1(VALU_DEP_1)
	v_mul_lo_u32 v46, v3, 6
	v_add_nc_u32_e32 v6, 2, v46
	v_lshlrev_b64 v[38:39], 3, v[46:47]
	s_delay_alu instid0(VALU_DEP_2) | instskip(NEXT) | instid1(VALU_DEP_2)
	v_lshlrev_b64 v[40:41], 3, v[6:7]
	v_add_co_u32 v38, vcc_lo, s10, v38
	s_delay_alu instid0(VALU_DEP_3) | instskip(NEXT) | instid1(VALU_DEP_3)
	v_add_co_ci_u32_e32 v39, vcc_lo, s11, v39, vcc_lo
	v_add_co_u32 v42, vcc_lo, s10, v40
	s_delay_alu instid0(VALU_DEP_4)
	v_add_co_ci_u32_e32 v43, vcc_lo, s11, v41, vcc_lo
	s_clause 0x1
	global_load_b128 v[38:41], v[38:39], off
	global_load_b128 v[42:45], v[42:43], off
	s_waitcnt vmcnt(1)
	v_dual_fmac_f32 v13, v35, v38 :: v_dual_add_nc_u32 v6, -15, v4
	s_delay_alu instid0(VALU_DEP_1) | instskip(SKIP_2) | instid1(VALU_DEP_4)
	v_lshlrev_b64 v[47:48], 3, v[6:7]
	v_dual_fmac_f32 v21, v26, v38 :: v_dual_add_nc_u32 v6, -9, v4
	v_fmac_f32_e32 v15, v53, v38
	v_dual_fmac_f32 v13, v34, v39 :: v_dual_add_nc_u32 v2, 16, v2
	s_delay_alu instid0(VALU_DEP_3) | instskip(SKIP_3) | instid1(VALU_DEP_3)
	v_lshlrev_b64 v[60:61], 3, v[6:7]
	v_add_nc_u32_e32 v6, -3, v4
	v_add_co_u32 v47, vcc_lo, s8, v47
	v_add_co_ci_u32_e32 v48, vcc_lo, s9, v48, vcc_lo
	v_lshlrev_b64 v[62:63], 3, v[6:7]
	v_add_co_u32 v60, vcc_lo, s8, v60
	v_add_co_ci_u32_e32 v61, vcc_lo, s9, v61, vcc_lo
	global_load_b64 v[64:65], v[47:48], off
	v_add_co_u32 v62, vcc_lo, s8, v62
	global_load_b64 v[60:61], v[60:61], off
	v_add_co_ci_u32_e32 v63, vcc_lo, s9, v63, vcc_lo
	v_dual_fmac_f32 v19, v54, v38 :: v_dual_add_nc_u32 v6, -14, v4
	v_fmac_f32_e32 v15, v52, v39
	global_load_b64 v[62:63], v[62:63], off
	v_fmac_f32_e32 v13, v37, v40
	v_lshlrev_b64 v[47:48], 3, v[6:7]
	v_add_nc_u32_e32 v6, -8, v4
	v_dual_fmac_f32 v18, v34, v38 :: v_dual_fmac_f32 v15, v57, v40
	s_delay_alu instid0(VALU_DEP_4) | instskip(SKIP_1) | instid1(VALU_DEP_4)
	v_fmac_f32_e32 v13, v36, v41
	v_fma_f32 v19, -v55, v39, v19
	v_lshlrev_b64 v[66:67], 3, v[6:7]
	v_add_nc_u32_e32 v6, -2, v4
	v_add_co_u32 v47, vcc_lo, s8, v47
	v_add_co_ci_u32_e32 v48, vcc_lo, s9, v48, vcc_lo
	s_delay_alu instid0(VALU_DEP_3)
	v_lshlrev_b64 v[68:69], 3, v[6:7]
	v_fma_f32 v3, -v35, v39, v18
	v_add_nc_u32_e32 v6, 4, v46
	v_add_co_u32 v46, vcc_lo, s8, v66
	global_load_b64 v[70:71], v[47:48], off
	v_fmac_f32_e32 v3, v36, v40
	v_add_co_ci_u32_e32 v47, vcc_lo, s9, v67, vcc_lo
	v_add_co_u32 v66, vcc_lo, s8, v68
	v_lshlrev_b64 v[48:49], 3, v[6:7]
	v_dual_fmac_f32 v15, v56, v41 :: v_dual_add_nc_u32 v6, -13, v4
	v_add_co_ci_u32_e32 v67, vcc_lo, s9, v69, vcc_lo
	v_fma_f32 v3, -v37, v41, v3
	s_delay_alu instid0(VALU_DEP_4)
	v_add_co_u32 v48, vcc_lo, s10, v48
	s_clause 0x1
	global_load_b64 v[66:67], v[66:67], off
	global_load_b64 v[68:69], v[46:47], off
	v_lshlrev_b64 v[46:47], 3, v[6:7]
	s_waitcnt vmcnt(6)
	v_dual_fmac_f32 v3, v30, v42 :: v_dual_add_nc_u32 v6, -7, v4
	v_add_co_ci_u32_e32 v49, vcc_lo, s11, v49, vcc_lo
	v_fmac_f32_e32 v13, v31, v42
	s_delay_alu instid0(VALU_DEP_3) | instskip(SKIP_3) | instid1(VALU_DEP_3)
	v_lshlrev_b64 v[72:73], 3, v[6:7]
	v_add_nc_u32_e32 v6, -1, v4
	v_add_co_u32 v74, vcc_lo, s8, v46
	v_add_co_ci_u32_e32 v75, vcc_lo, s9, v47, vcc_lo
	v_lshlrev_b64 v[76:77], 3, v[6:7]
	v_add_nc_u32_e32 v6, -12, v4
	v_dual_fmac_f32 v16, v27, v38 :: v_dual_fmac_f32 v19, v58, v40
	global_load_b128 v[46:49], v[48:49], off
	v_add_co_u32 v72, vcc_lo, s8, v72
	v_add_co_ci_u32_e32 v73, vcc_lo, s9, v73, vcc_lo
	v_add_co_u32 v76, vcc_lo, s8, v76
	v_fma_f32 v19, -v59, v41, v19
	v_add_co_ci_u32_e32 v77, vcc_lo, s9, v77, vcc_lo
	global_load_b64 v[74:75], v[74:75], off
	v_fma_f32 v3, -v31, v43, v3
	v_fma_f32 v8, -v27, v39, v21
	s_clause 0x1
	global_load_b64 v[76:77], v[76:77], off
	global_load_b64 v[72:73], v[72:73], off
	v_dual_fmac_f32 v16, v26, v39 :: v_dual_fmac_f32 v3, v32, v44
	v_dual_fmac_f32 v13, v30, v43 :: v_dual_fmac_f32 v20, v52, v38
	s_delay_alu instid0(VALU_DEP_2) | instskip(NEXT) | instid1(VALU_DEP_2)
	v_fma_f32 v3, -v33, v45, v3
	v_fmac_f32_e32 v13, v33, v44
	s_delay_alu instid0(VALU_DEP_3) | instskip(SKIP_1) | instid1(VALU_DEP_3)
	v_fma_f32 v18, -v53, v39, v20
	v_fmac_f32_e32 v8, v28, v40
	v_dual_fmac_f32 v16, v29, v40 :: v_dual_fmac_f32 v13, v32, v45
	s_waitcnt vmcnt(8)
	s_delay_alu instid0(VALU_DEP_3) | instskip(SKIP_3) | instid1(VALU_DEP_4)
	v_dual_fmac_f32 v18, v56, v40 :: v_dual_fmac_f32 v15, v61, v42
	v_lshlrev_b64 v[78:79], 3, v[6:7]
	v_add_nc_u32_e32 v6, -6, v4
	v_add_nc_u32_e32 v4, 0x180, v4
	v_dual_fmac_f32 v14, v55, v38 :: v_dual_fmac_f32 v15, v60, v43
	s_waitcnt vmcnt(7)
	v_fmac_f32_e32 v19, v62, v42
	v_lshlrev_b64 v[5:6], 3, v[6:7]
	v_add_co_u32 v78, vcc_lo, s8, v78
	v_add_co_ci_u32_e32 v79, vcc_lo, s9, v79, vcc_lo
	v_fmac_f32_e32 v14, v54, v39
	s_delay_alu instid0(VALU_DEP_4)
	v_add_co_u32 v5, vcc_lo, s8, v5
	v_add_co_ci_u32_e32 v6, vcc_lo, s9, v6, vcc_lo
	s_clause 0x2
	global_load_b64 v[78:79], v[78:79], off
	global_load_b64 v[5:6], v[5:6], off
	;; [unrolled: 1-line block ×3, first 2 shown]
	v_fma_f32 v19, -v63, v43, v19
	v_fmac_f32_e32 v16, v28, v41
	v_cmp_ge_i32_e32 vcc_lo, v2, v17
	s_or_b32 s2, vcc_lo, s2
	s_waitcnt vmcnt(8)
	v_fmac_f32_e32 v19, v66, v44
	s_waitcnt vmcnt(7)
	v_fmac_f32_e32 v15, v69, v44
	v_fmac_f32_e32 v14, v59, v40
	s_delay_alu instid0(VALU_DEP_3) | instskip(NEXT) | instid1(VALU_DEP_3)
	v_fma_f32 v19, -v67, v45, v19
	v_fmac_f32_e32 v15, v68, v45
	s_delay_alu instid0(VALU_DEP_3)
	v_fmac_f32_e32 v14, v58, v41
	s_waitcnt vmcnt(6)
	v_fmac_f32_e32 v3, v22, v46
	v_fma_f32 v8, -v29, v41, v8
	v_fmac_f32_e32 v13, v23, v46
	v_fma_f32 v18, -v57, v41, v18
	s_delay_alu instid0(VALU_DEP_4) | instskip(NEXT) | instid1(VALU_DEP_3)
	v_fma_f32 v3, -v23, v47, v3
	v_dual_fmac_f32 v8, v64, v42 :: v_dual_fmac_f32 v13, v22, v47
	s_delay_alu instid0(VALU_DEP_3) | instskip(NEXT) | instid1(VALU_DEP_3)
	v_fmac_f32_e32 v18, v60, v42
	v_dual_fmac_f32 v16, v65, v42 :: v_dual_fmac_f32 v3, v24, v48
	s_delay_alu instid0(VALU_DEP_3) | instskip(NEXT) | instid1(VALU_DEP_4)
	v_fma_f32 v8, -v65, v43, v8
	v_fmac_f32_e32 v13, v25, v48
	s_delay_alu instid0(VALU_DEP_4)
	v_fma_f32 v18, -v61, v43, v18
	s_waitcnt vmcnt(3)
	v_fmac_f32_e32 v15, v73, v46
	v_fmac_f32_e32 v14, v63, v42
	v_dual_fmac_f32 v8, v70, v44 :: v_dual_fmac_f32 v13, v24, v49
	v_fmac_f32_e32 v18, v68, v44
	s_delay_alu instid0(VALU_DEP_4) | instskip(SKIP_2) | instid1(VALU_DEP_4)
	v_fmac_f32_e32 v15, v72, v47
	v_fmac_f32_e32 v16, v64, v43
	v_dual_fmac_f32 v14, v62, v43 :: v_dual_fmac_f32 v19, v76, v46
	v_fma_f32 v18, -v69, v45, v18
	v_fma_f32 v8, -v71, v45, v8
	s_delay_alu instid0(VALU_DEP_3) | instskip(NEXT) | instid1(VALU_DEP_3)
	v_fmac_f32_e32 v14, v67, v44
	v_fmac_f32_e32 v18, v72, v46
	s_delay_alu instid0(VALU_DEP_3) | instskip(NEXT) | instid1(VALU_DEP_3)
	v_fmac_f32_e32 v8, v74, v46
	v_fmac_f32_e32 v14, v66, v45
	s_delay_alu instid0(VALU_DEP_3) | instskip(SKIP_2) | instid1(VALU_DEP_4)
	v_fma_f32 v20, -v73, v47, v18
	v_fma_f32 v18, -v25, v49, v3
	;; [unrolled: 1-line block ×3, first 2 shown]
	v_fmac_f32_e32 v14, v77, v46
	v_fma_f32 v8, -v75, v47, v8
	s_delay_alu instid0(VALU_DEP_2) | instskip(SKIP_1) | instid1(VALU_DEP_2)
	v_fmac_f32_e32 v14, v76, v47
	s_waitcnt vmcnt(2)
	v_fmac_f32_e32 v8, v78, v48
	s_waitcnt vmcnt(1)
	v_fmac_f32_e32 v15, v6, v48
	v_fmac_f32_e32 v16, v71, v44
	;; [unrolled: 1-line block ×3, first 2 shown]
	s_waitcnt vmcnt(0)
	v_fmac_f32_e32 v3, v50, v48
	v_dual_fmac_f32 v14, v51, v48 :: v_dual_fmac_f32 v15, v5, v49
	v_fmac_f32_e32 v16, v70, v45
	v_fma_f32 v21, -v79, v49, v8
	v_fma_f32 v20, -v6, v49, v20
	;; [unrolled: 1-line block ×3, first 2 shown]
	v_fmac_f32_e32 v14, v50, v49
	v_fmac_f32_e32 v16, v75, v46
	s_delay_alu instid0(VALU_DEP_1) | instskip(NEXT) | instid1(VALU_DEP_1)
	v_fmac_f32_e32 v16, v74, v47
	v_fmac_f32_e32 v16, v79, v48
	s_delay_alu instid0(VALU_DEP_1)
	v_fmac_f32_e32 v16, v78, v49
	s_and_not1_b32 exec_lo, exec_lo, s2
	s_cbranch_execnz .LBB96_21
; %bb.22:
	s_or_b32 exec_lo, exec_lo, s2
.LBB96_23:
	s_delay_alu instid0(SALU_CYCLE_1)
	s_or_b32 exec_lo, exec_lo, s3
.LBB96_24:
	v_mbcnt_lo_u32_b32 v2, -1, 0
	s_delay_alu instid0(VALU_DEP_1) | instskip(SKIP_1) | instid1(VALU_DEP_2)
	v_xor_b32_e32 v3, 8, v2
	v_xor_b32_e32 v23, 4, v2
	v_cmp_gt_i32_e32 vcc_lo, 32, v3
	v_cndmask_b32_e32 v3, v2, v3, vcc_lo
	s_delay_alu instid0(VALU_DEP_3) | instskip(NEXT) | instid1(VALU_DEP_2)
	v_cmp_gt_i32_e32 vcc_lo, 32, v23
	v_lshlrev_b32_e32 v3, 2, v3
	ds_bpermute_b32 v4, v3, v18
	s_waitcnt lgkmcnt(0)
	v_add_f32_e32 v4, v18, v4
	ds_bpermute_b32 v8, v3, v20
	ds_bpermute_b32 v5, v3, v13
	;; [unrolled: 1-line block ×7, first 2 shown]
	s_waitcnt lgkmcnt(6)
	v_dual_cndmask_b32 v23, v2, v23 :: v_dual_add_f32 v8, v20, v8
	s_waitcnt lgkmcnt(4)
	s_delay_alu instid0(VALU_DEP_1)
	v_dual_add_f32 v6, v21, v6 :: v_dual_lshlrev_b32 v23, 2, v23
	s_waitcnt lgkmcnt(3)
	v_add_f32_e32 v7, v16, v7
	s_waitcnt lgkmcnt(0)
	v_add_f32_e32 v3, v14, v3
	ds_bpermute_b32 v14, v23, v4
	s_waitcnt lgkmcnt(0)
	v_add_f32_e32 v4, v4, v14
	ds_bpermute_b32 v18, v23, v7
	v_add_f32_e32 v5, v13, v5
	v_add_f32_e32 v13, v15, v17
	v_add_f32_e32 v15, v19, v22
	ds_bpermute_b32 v17, v23, v6
	ds_bpermute_b32 v19, v23, v8
	;; [unrolled: 1-line block ×4, first 2 shown]
	s_waitcnt lgkmcnt(3)
	v_add_f32_e32 v14, v6, v17
	s_waitcnt lgkmcnt(2)
	v_add_f32_e32 v8, v8, v19
	ds_bpermute_b32 v20, v23, v13
	s_waitcnt lgkmcnt(2)
	v_dual_add_f32 v5, v5, v16 :: v_dual_add_f32 v16, v7, v18
	s_waitcnt lgkmcnt(1)
	v_add_f32_e32 v18, v15, v21
	ds_bpermute_b32 v22, v23, v3
	v_xor_b32_e32 v23, 2, v2
	s_delay_alu instid0(VALU_DEP_1) | instskip(SKIP_1) | instid1(VALU_DEP_1)
	v_cmp_gt_i32_e32 vcc_lo, 32, v23
	v_cndmask_b32_e32 v23, v2, v23, vcc_lo
	v_lshlrev_b32_e32 v23, 2, v23
	s_waitcnt lgkmcnt(0)
	v_add_f32_e32 v19, v3, v22
	ds_bpermute_b32 v7, v23, v14
	ds_bpermute_b32 v15, v23, v8
	v_add_f32_e32 v17, v13, v20
	ds_bpermute_b32 v3, v23, v4
	ds_bpermute_b32 v6, v23, v5
	;; [unrolled: 1-line block ×5, first 2 shown]
	s_waitcnt lgkmcnt(6)
	v_add_f32_e32 v7, v14, v7
	s_waitcnt lgkmcnt(5)
	v_add_f32_e32 v14, v8, v15
	ds_bpermute_b32 v20, v23, v17
	v_xor_b32_e32 v23, 1, v2
	s_waitcnt lgkmcnt(3)
	v_add_f32_e32 v13, v16, v13
	s_delay_alu instid0(VALU_DEP_2) | instskip(SKIP_2) | instid1(VALU_DEP_2)
	v_cmp_gt_i32_e32 vcc_lo, 32, v23
	v_cndmask_b32_e32 v2, v2, v23, vcc_lo
	v_cmp_eq_u32_e32 vcc_lo, 15, v0
	v_dual_add_f32 v2, v4, v3 :: v_dual_lshlrev_b32 v23, 2, v2
	s_waitcnt lgkmcnt(2)
	v_dual_add_f32 v6, v5, v6 :: v_dual_add_f32 v3, v18, v21
	s_waitcnt lgkmcnt(0)
	v_add_f32_e32 v15, v17, v20
	v_add_f32_e32 v5, v19, v22
	ds_bpermute_b32 v4, v23, v2
	ds_bpermute_b32 v8, v23, v6
	;; [unrolled: 1-line block ×8, first 2 shown]
	s_and_b32 exec_lo, exec_lo, vcc_lo
	s_cbranch_execz .LBB96_29
; %bb.25:
	s_load_b64 s[2:3], s[0:1], 0x38
	v_cmp_eq_f32_e32 vcc_lo, 0, v11
	v_cmp_eq_f32_e64 s0, 0, v12
	s_waitcnt lgkmcnt(0)
	v_add_f32_e32 v4, v2, v4
	v_dual_add_f32 v8, v6, v8 :: v_dual_add_f32 v5, v5, v17
	v_dual_add_f32 v0, v7, v18 :: v_dual_add_f32 v7, v13, v19
	v_add_f32_e32 v2, v14, v20
	v_add_f32_e32 v6, v15, v21
	;; [unrolled: 1-line block ×3, first 2 shown]
	s_and_b32 s0, vcc_lo, s0
	s_delay_alu instid0(SALU_CYCLE_1) | instskip(NEXT) | instid1(SALU_CYCLE_1)
	s_and_saveexec_b32 s1, s0
	s_xor_b32 s0, exec_lo, s1
	s_cbranch_execz .LBB96_27
; %bb.26:
	v_mul_f32_e64 v11, v8, -v10
	v_mul_f32_e32 v12, v8, v9
	v_mul_f32_e64 v13, v7, -v10
	v_mul_f32_e32 v14, v7, v9
	v_mul_f32_e64 v15, v6, -v10
	v_fmac_f32_e32 v11, v9, v4
	v_dual_fmac_f32 v12, v10, v4 :: v_dual_lshlrev_b32 v17, 2, v1
	s_delay_alu instid0(VALU_DEP_3) | instskip(SKIP_1) | instid1(VALU_DEP_3)
	v_dual_mul_f32 v16, v6, v9 :: v_dual_fmac_f32 v15, v9, v2
	v_fmac_f32_e32 v13, v9, v0
	v_ashrrev_i32_e32 v18, 31, v17
                                        ; implicit-def: $vgpr1
                                        ; implicit-def: $vgpr4
                                        ; implicit-def: $vgpr8
	s_delay_alu instid0(VALU_DEP_3) | instskip(NEXT) | instid1(VALU_DEP_2)
	v_fmac_f32_e32 v16, v10, v2
                                        ; implicit-def: $vgpr2
	v_lshlrev_b64 v[6:7], 3, v[17:18]
	v_mul_f32_e64 v17, v5, -v10
	v_mul_f32_e32 v18, v5, v9
	v_fmac_f32_e32 v14, v10, v0
                                        ; implicit-def: $vgpr0
                                        ; implicit-def: $vgpr5
	s_delay_alu instid0(VALU_DEP_3)
	v_fmac_f32_e32 v17, v9, v3
	v_add_co_u32 v6, vcc_lo, s2, v6
	v_add_co_ci_u32_e32 v7, vcc_lo, s3, v7, vcc_lo
	v_fmac_f32_e32 v18, v10, v3
	s_clause 0x1
	global_store_b128 v[6:7], v[11:14], off
	global_store_b128 v[6:7], v[15:18], off offset:16
                                        ; implicit-def: $vgpr9
                                        ; implicit-def: $vgpr10
                                        ; implicit-def: $vgpr11
                                        ; implicit-def: $vgpr12
                                        ; implicit-def: $vgpr7
                                        ; implicit-def: $vgpr6
                                        ; implicit-def: $vgpr3
.LBB96_27:
	s_and_not1_saveexec_b32 s0, s0
	s_cbranch_execz .LBB96_29
; %bb.28:
	v_mul_f32_e32 v22, v8, v9
	v_lshlrev_b32_e32 v13, 2, v1
	v_mul_f32_e64 v1, v8, -v10
	v_mul_f32_e64 v23, v7, -v10
	v_mul_f32_e32 v24, v7, v9
	v_mul_f32_e64 v7, v6, -v10
	s_delay_alu instid0(VALU_DEP_4) | instskip(SKIP_2) | instid1(VALU_DEP_4)
	v_dual_mul_f32 v6, v6, v9 :: v_dual_fmac_f32 v1, v9, v4
	v_fmac_f32_e32 v22, v10, v4
	v_ashrrev_i32_e32 v14, 31, v13
	v_fmac_f32_e32 v7, v9, v2
	v_mul_f32_e64 v27, v5, -v10
	v_fmac_f32_e32 v23, v9, v0
	v_fmac_f32_e32 v24, v10, v0
	v_lshlrev_b64 v[13:14], 3, v[13:14]
	s_delay_alu instid0(VALU_DEP_4) | instskip(NEXT) | instid1(VALU_DEP_2)
	v_fmac_f32_e32 v27, v9, v3
	v_add_co_u32 v25, vcc_lo, s2, v13
	s_delay_alu instid0(VALU_DEP_3)
	v_add_co_ci_u32_e32 v26, vcc_lo, s3, v14, vcc_lo
	s_clause 0x1
	global_load_b128 v[13:16], v[25:26], off
	global_load_b128 v[17:20], v[25:26], off offset:16
	v_mul_f32_e32 v8, v5, v9
	s_waitcnt vmcnt(1)
	v_dual_fmac_f32 v6, v10, v2 :: v_dual_fmac_f32 v1, v11, v13
	v_fmac_f32_e32 v23, v11, v15
	s_waitcnt vmcnt(0)
	v_dual_fmac_f32 v8, v10, v3 :: v_dual_fmac_f32 v7, v11, v17
	v_dual_fmac_f32 v22, v12, v13 :: v_dual_fmac_f32 v27, v11, v19
	v_fmac_f32_e32 v24, v12, v15
	v_fmac_f32_e32 v6, v12, v17
	s_delay_alu instid0(VALU_DEP_4)
	v_fmac_f32_e32 v8, v12, v19
	v_fma_f32 v21, -v12, v14, v1
	v_fmac_f32_e32 v22, v11, v14
	v_fma_f32 v23, -v12, v16, v23
	;; [unrolled: 2-line block ×4, first 2 shown]
	v_fmac_f32_e32 v8, v11, v20
	s_clause 0x1
	global_store_b128 v[25:26], v[21:24], off
	global_store_b128 v[25:26], v[5:8], off offset:16
.LBB96_29:
	s_nop 0
	s_sendmsg sendmsg(MSG_DEALLOC_VGPRS)
	s_endpgm
	.section	.rodata,"a",@progbits
	.p2align	6, 0x0
	.amdhsa_kernel _ZN9rocsparseL19gebsrmvn_4xn_kernelILj128ELj6ELj16E21rocsparse_complex_numIfEEEvi20rocsparse_direction_NS_24const_host_device_scalarIT2_EEPKiS8_PKS5_SA_S6_PS5_21rocsparse_index_base_b
		.amdhsa_group_segment_fixed_size 0
		.amdhsa_private_segment_fixed_size 0
		.amdhsa_kernarg_size 72
		.amdhsa_user_sgpr_count 15
		.amdhsa_user_sgpr_dispatch_ptr 0
		.amdhsa_user_sgpr_queue_ptr 0
		.amdhsa_user_sgpr_kernarg_segment_ptr 1
		.amdhsa_user_sgpr_dispatch_id 0
		.amdhsa_user_sgpr_private_segment_size 0
		.amdhsa_wavefront_size32 1
		.amdhsa_uses_dynamic_stack 0
		.amdhsa_enable_private_segment 0
		.amdhsa_system_sgpr_workgroup_id_x 1
		.amdhsa_system_sgpr_workgroup_id_y 0
		.amdhsa_system_sgpr_workgroup_id_z 0
		.amdhsa_system_sgpr_workgroup_info 0
		.amdhsa_system_vgpr_workitem_id 0
		.amdhsa_next_free_vgpr 82
		.amdhsa_next_free_sgpr 16
		.amdhsa_reserve_vcc 1
		.amdhsa_float_round_mode_32 0
		.amdhsa_float_round_mode_16_64 0
		.amdhsa_float_denorm_mode_32 3
		.amdhsa_float_denorm_mode_16_64 3
		.amdhsa_dx10_clamp 1
		.amdhsa_ieee_mode 1
		.amdhsa_fp16_overflow 0
		.amdhsa_workgroup_processor_mode 1
		.amdhsa_memory_ordered 1
		.amdhsa_forward_progress 0
		.amdhsa_shared_vgpr_count 0
		.amdhsa_exception_fp_ieee_invalid_op 0
		.amdhsa_exception_fp_denorm_src 0
		.amdhsa_exception_fp_ieee_div_zero 0
		.amdhsa_exception_fp_ieee_overflow 0
		.amdhsa_exception_fp_ieee_underflow 0
		.amdhsa_exception_fp_ieee_inexact 0
		.amdhsa_exception_int_div_zero 0
	.end_amdhsa_kernel
	.section	.text._ZN9rocsparseL19gebsrmvn_4xn_kernelILj128ELj6ELj16E21rocsparse_complex_numIfEEEvi20rocsparse_direction_NS_24const_host_device_scalarIT2_EEPKiS8_PKS5_SA_S6_PS5_21rocsparse_index_base_b,"axG",@progbits,_ZN9rocsparseL19gebsrmvn_4xn_kernelILj128ELj6ELj16E21rocsparse_complex_numIfEEEvi20rocsparse_direction_NS_24const_host_device_scalarIT2_EEPKiS8_PKS5_SA_S6_PS5_21rocsparse_index_base_b,comdat
.Lfunc_end96:
	.size	_ZN9rocsparseL19gebsrmvn_4xn_kernelILj128ELj6ELj16E21rocsparse_complex_numIfEEEvi20rocsparse_direction_NS_24const_host_device_scalarIT2_EEPKiS8_PKS5_SA_S6_PS5_21rocsparse_index_base_b, .Lfunc_end96-_ZN9rocsparseL19gebsrmvn_4xn_kernelILj128ELj6ELj16E21rocsparse_complex_numIfEEEvi20rocsparse_direction_NS_24const_host_device_scalarIT2_EEPKiS8_PKS5_SA_S6_PS5_21rocsparse_index_base_b
                                        ; -- End function
	.section	.AMDGPU.csdata,"",@progbits
; Kernel info:
; codeLenInByte = 4036
; NumSgprs: 18
; NumVgprs: 82
; ScratchSize: 0
; MemoryBound: 0
; FloatMode: 240
; IeeeMode: 1
; LDSByteSize: 0 bytes/workgroup (compile time only)
; SGPRBlocks: 2
; VGPRBlocks: 10
; NumSGPRsForWavesPerEU: 18
; NumVGPRsForWavesPerEU: 82
; Occupancy: 16
; WaveLimiterHint : 1
; COMPUTE_PGM_RSRC2:SCRATCH_EN: 0
; COMPUTE_PGM_RSRC2:USER_SGPR: 15
; COMPUTE_PGM_RSRC2:TRAP_HANDLER: 0
; COMPUTE_PGM_RSRC2:TGID_X_EN: 1
; COMPUTE_PGM_RSRC2:TGID_Y_EN: 0
; COMPUTE_PGM_RSRC2:TGID_Z_EN: 0
; COMPUTE_PGM_RSRC2:TIDIG_COMP_CNT: 0
	.section	.text._ZN9rocsparseL19gebsrmvn_4xn_kernelILj128ELj6ELj32E21rocsparse_complex_numIfEEEvi20rocsparse_direction_NS_24const_host_device_scalarIT2_EEPKiS8_PKS5_SA_S6_PS5_21rocsparse_index_base_b,"axG",@progbits,_ZN9rocsparseL19gebsrmvn_4xn_kernelILj128ELj6ELj32E21rocsparse_complex_numIfEEEvi20rocsparse_direction_NS_24const_host_device_scalarIT2_EEPKiS8_PKS5_SA_S6_PS5_21rocsparse_index_base_b,comdat
	.globl	_ZN9rocsparseL19gebsrmvn_4xn_kernelILj128ELj6ELj32E21rocsparse_complex_numIfEEEvi20rocsparse_direction_NS_24const_host_device_scalarIT2_EEPKiS8_PKS5_SA_S6_PS5_21rocsparse_index_base_b ; -- Begin function _ZN9rocsparseL19gebsrmvn_4xn_kernelILj128ELj6ELj32E21rocsparse_complex_numIfEEEvi20rocsparse_direction_NS_24const_host_device_scalarIT2_EEPKiS8_PKS5_SA_S6_PS5_21rocsparse_index_base_b
	.p2align	8
	.type	_ZN9rocsparseL19gebsrmvn_4xn_kernelILj128ELj6ELj32E21rocsparse_complex_numIfEEEvi20rocsparse_direction_NS_24const_host_device_scalarIT2_EEPKiS8_PKS5_SA_S6_PS5_21rocsparse_index_base_b,@function
_ZN9rocsparseL19gebsrmvn_4xn_kernelILj128ELj6ELj32E21rocsparse_complex_numIfEEEvi20rocsparse_direction_NS_24const_host_device_scalarIT2_EEPKiS8_PKS5_SA_S6_PS5_21rocsparse_index_base_b: ; @_ZN9rocsparseL19gebsrmvn_4xn_kernelILj128ELj6ELj32E21rocsparse_complex_numIfEEEvi20rocsparse_direction_NS_24const_host_device_scalarIT2_EEPKiS8_PKS5_SA_S6_PS5_21rocsparse_index_base_b
; %bb.0:
	s_clause 0x2
	s_load_b64 s[12:13], s[0:1], 0x40
	s_load_b64 s[4:5], s[0:1], 0x8
	;; [unrolled: 1-line block ×3, first 2 shown]
	s_waitcnt lgkmcnt(0)
	s_bitcmp1_b32 s13, 0
	v_mov_b32_e32 v9, s4
	s_cselect_b32 s6, -1, 0
	s_delay_alu instid0(SALU_CYCLE_1)
	s_and_b32 vcc_lo, exec_lo, s6
	s_xor_b32 s6, s6, -1
	s_cbranch_vccz .LBB97_15
; %bb.1:
	v_cndmask_b32_e64 v1, 0, 1, s6
	v_mov_b32_e32 v10, s5
	s_and_not1_b32 vcc_lo, exec_lo, s6
	s_cbranch_vccz .LBB97_16
.LBB97_2:
	s_delay_alu instid0(VALU_DEP_2)
	v_cmp_ne_u32_e32 vcc_lo, 1, v1
	v_mov_b32_e32 v11, s2
	s_cbranch_vccz .LBB97_17
.LBB97_3:
	v_cmp_ne_u32_e32 vcc_lo, 1, v1
	v_mov_b32_e32 v12, s3
	s_cbranch_vccnz .LBB97_5
.LBB97_4:
	v_dual_mov_b32 v1, s2 :: v_dual_mov_b32 v2, s3
	flat_load_b32 v12, v[1:2] offset:4
.LBB97_5:
	s_waitcnt vmcnt(0) lgkmcnt(0)
	v_cmp_eq_f32_e32 vcc_lo, 0, v9
	v_cmp_eq_f32_e64 s2, 0, v10
	s_delay_alu instid0(VALU_DEP_1)
	s_and_b32 s4, vcc_lo, s2
	s_mov_b32 s2, -1
	s_and_saveexec_b32 s3, s4
; %bb.6:
	v_cmp_neq_f32_e32 vcc_lo, 1.0, v11
	v_cmp_neq_f32_e64 s2, 0, v12
	s_delay_alu instid0(VALU_DEP_1) | instskip(NEXT) | instid1(SALU_CYCLE_1)
	s_or_b32 s2, vcc_lo, s2
	s_or_not1_b32 s2, s2, exec_lo
; %bb.7:
	s_or_b32 exec_lo, exec_lo, s3
	s_and_saveexec_b32 s3, s2
	s_cbranch_execz .LBB97_29
; %bb.8:
	s_load_b64 s[2:3], s[0:1], 0x0
	v_lshrrev_b32_e32 v1, 5, v0
	s_delay_alu instid0(VALU_DEP_1) | instskip(SKIP_1) | instid1(VALU_DEP_1)
	v_lshl_or_b32 v1, s15, 2, v1
	s_waitcnt lgkmcnt(0)
	v_cmp_gt_i32_e32 vcc_lo, s2, v1
	s_and_b32 exec_lo, exec_lo, vcc_lo
	s_cbranch_execz .LBB97_29
; %bb.9:
	s_load_b256 s[4:11], s[0:1], 0x10
	v_ashrrev_i32_e32 v2, 31, v1
	v_and_b32_e32 v0, 31, v0
	s_cmp_lg_u32 s3, 0
	s_delay_alu instid0(VALU_DEP_2) | instskip(SKIP_1) | instid1(VALU_DEP_1)
	v_lshlrev_b64 v[2:3], 2, v[1:2]
	s_waitcnt lgkmcnt(0)
	v_add_co_u32 v2, vcc_lo, s4, v2
	s_delay_alu instid0(VALU_DEP_2) | instskip(SKIP_4) | instid1(VALU_DEP_2)
	v_add_co_ci_u32_e32 v3, vcc_lo, s5, v3, vcc_lo
	global_load_b64 v[2:3], v[2:3], off
	s_waitcnt vmcnt(0)
	v_subrev_nc_u32_e32 v2, s12, v2
	v_subrev_nc_u32_e32 v17, s12, v3
	v_add_nc_u32_e32 v2, v2, v0
	s_delay_alu instid0(VALU_DEP_1)
	v_cmp_lt_i32_e64 s2, v2, v17
	s_cbranch_scc0 .LBB97_18
; %bb.10:
	v_dual_mov_b32 v13, 0 :: v_dual_mov_b32 v18, 0
	v_dual_mov_b32 v19, 0 :: v_dual_mov_b32 v14, 0
	;; [unrolled: 1-line block ×4, first 2 shown]
	s_mov_b32 s3, 0
	s_and_saveexec_b32 s4, s2
	s_cbranch_execz .LBB97_14
; %bb.11:
	v_mad_u64_u32 v[3:4], null, v2, 24, 20
	v_dual_mov_b32 v6, 0 :: v_dual_mov_b32 v7, v2
	v_dual_mov_b32 v13, 0 :: v_dual_mov_b32 v18, 0
	;; [unrolled: 1-line block ×5, first 2 shown]
	s_mov_b32 s5, 0
.LBB97_12:                              ; =>This Inner Loop Header: Depth=1
	v_ashrrev_i32_e32 v8, 31, v7
	s_delay_alu instid0(VALU_DEP_1) | instskip(NEXT) | instid1(VALU_DEP_1)
	v_lshlrev_b64 v[4:5], 2, v[7:8]
	v_add_co_u32 v4, vcc_lo, s6, v4
	s_delay_alu instid0(VALU_DEP_2) | instskip(SKIP_3) | instid1(VALU_DEP_2)
	v_add_co_ci_u32_e32 v5, vcc_lo, s7, v5, vcc_lo
	global_load_b32 v8, v[4:5], off
	v_subrev_nc_u32_e32 v5, 20, v3
	v_mov_b32_e32 v4, v6
	v_lshlrev_b64 v[22:23], 3, v[5:6]
	v_add_nc_u32_e32 v5, -12, v3
	s_delay_alu instid0(VALU_DEP_3) | instskip(NEXT) | instid1(VALU_DEP_2)
	v_lshlrev_b64 v[24:25], 3, v[3:4]
	v_lshlrev_b64 v[4:5], 3, v[5:6]
	s_delay_alu instid0(VALU_DEP_4) | instskip(SKIP_1) | instid1(VALU_DEP_4)
	v_add_co_u32 v34, vcc_lo, s8, v22
	v_add_co_ci_u32_e32 v35, vcc_lo, s9, v23, vcc_lo
	v_add_co_u32 v78, vcc_lo, s8, v24
	v_add_co_ci_u32_e32 v79, vcc_lo, s9, v25, vcc_lo
	;; [unrolled: 2-line block ×3, first 2 shown]
	s_clause 0x5
	global_load_b128 v[22:25], v[34:35], off offset:48
	global_load_b128 v[26:29], v[34:35], off offset:32
	;; [unrolled: 1-line block ×3, first 2 shown]
	global_load_b128 v[34:37], v[34:35], off
	global_load_b128 v[38:41], v[4:5], off offset:16
	global_load_b128 v[42:45], v[4:5], off
	v_mov_b32_e32 v51, v6
	s_waitcnt vmcnt(6)
	v_subrev_nc_u32_e32 v4, s12, v8
	s_delay_alu instid0(VALU_DEP_1) | instskip(NEXT) | instid1(VALU_DEP_1)
	v_mul_lo_u32 v50, v4, 6
	v_lshlrev_b64 v[46:47], 3, v[50:51]
	s_delay_alu instid0(VALU_DEP_1) | instskip(NEXT) | instid1(VALU_DEP_2)
	v_add_co_u32 v46, vcc_lo, s10, v46
	v_add_co_ci_u32_e32 v47, vcc_lo, s11, v47, vcc_lo
	global_load_b128 v[46:49], v[46:47], off
	v_add_nc_u32_e32 v5, 2, v50
	s_delay_alu instid0(VALU_DEP_1) | instskip(SKIP_1) | instid1(VALU_DEP_1)
	v_lshlrev_b64 v[51:52], 3, v[5:6]
	v_add_nc_u32_e32 v5, -8, v3
	v_lshlrev_b64 v[54:55], 3, v[5:6]
	s_delay_alu instid0(VALU_DEP_3) | instskip(SKIP_2) | instid1(VALU_DEP_4)
	v_add_co_u32 v51, vcc_lo, s10, v51
	v_add_nc_u32_e32 v5, -4, v3
	v_add_co_ci_u32_e32 v52, vcc_lo, s11, v52, vcc_lo
	v_add_co_u32 v58, vcc_lo, s8, v54
	s_delay_alu instid0(VALU_DEP_3)
	v_lshlrev_b64 v[62:63], 3, v[5:6]
	v_add_nc_u32_e32 v5, 4, v50
	global_load_b128 v[50:53], v[51:52], off
	v_add_co_ci_u32_e32 v59, vcc_lo, s9, v55, vcc_lo
	v_add_nc_u32_e32 v7, 32, v7
	s_clause 0x1
	global_load_b128 v[54:57], v[58:59], off
	global_load_b128 v[58:61], v[58:59], off offset:16
	v_add_co_u32 v66, vcc_lo, s8, v62
	v_add_co_ci_u32_e32 v67, vcc_lo, s9, v63, vcc_lo
	s_waitcnt vmcnt(3)
	v_fmac_f32_e32 v14, v33, v46
	v_fmac_f32_e32 v18, v34, v46
	;; [unrolled: 1-line block ×4, first 2 shown]
	s_delay_alu instid0(VALU_DEP_4)
	v_fmac_f32_e32 v14, v32, v47
	v_lshlrev_b64 v[4:5], 3, v[5:6]
	v_fmac_f32_e32 v19, v32, v46
	v_dual_fmac_f32 v16, v36, v47 :: v_dual_fmac_f32 v13, v35, v46
	v_fma_f32 v8, -v31, v47, v20
	v_fmac_f32_e32 v21, v36, v46
	v_add_co_u32 v4, vcc_lo, s10, v4
	v_add_co_ci_u32_e32 v5, vcc_lo, s11, v5, vcc_lo
	s_delay_alu instid0(VALU_DEP_4)
	v_fmac_f32_e32 v8, v22, v48
	s_clause 0x1
	global_load_b128 v[62:65], v[66:67], off offset:16
	global_load_b128 v[66:69], v[66:67], off
	global_load_b128 v[70:73], v[4:5], off
	s_clause 0x1
	global_load_b128 v[74:77], v[78:79], off
	global_load_b128 v[78:81], v[78:79], off offset:16
	v_fma_f32 v4, -v35, v47, v18
	v_dual_fmac_f32 v16, v29, v48 :: v_dual_add_nc_u32 v3, 0x300, v3
	v_dual_fmac_f32 v13, v34, v47 :: v_dual_fmac_f32 v14, v25, v48
	v_fma_f32 v18, -v33, v47, v19
	s_delay_alu instid0(VALU_DEP_4) | instskip(SKIP_2) | instid1(VALU_DEP_3)
	v_dual_fmac_f32 v15, v31, v46 :: v_dual_fmac_f32 v4, v26, v48
	v_fma_f32 v5, -v37, v47, v21
	v_fmac_f32_e32 v16, v28, v49
	v_dual_fmac_f32 v18, v24, v48 :: v_dual_fmac_f32 v15, v30, v47
	v_fmac_f32_e32 v14, v24, v49
	v_fma_f32 v4, -v27, v49, v4
	v_fmac_f32_e32 v13, v27, v48
	s_waitcnt vmcnt(7)
	v_dual_fmac_f32 v5, v28, v48 :: v_dual_fmac_f32 v16, v45, v50
	v_fma_f32 v8, -v23, v49, v8
	v_fmac_f32_e32 v15, v23, v48
	v_fma_f32 v18, -v25, v49, v18
	v_fmac_f32_e32 v4, v42, v50
	v_fmac_f32_e32 v13, v26, v49
	v_fma_f32 v5, -v29, v49, v5
	v_fmac_f32_e32 v8, v38, v50
	v_dual_fmac_f32 v18, v40, v50 :: v_dual_fmac_f32 v15, v22, v49
	v_fmac_f32_e32 v14, v41, v50
	v_dual_fmac_f32 v13, v43, v50 :: v_dual_fmac_f32 v16, v44, v51
	v_fma_f32 v4, -v43, v51, v4
	v_fmac_f32_e32 v5, v44, v50
	s_delay_alu instid0(VALU_DEP_4)
	v_dual_fmac_f32 v15, v39, v50 :: v_dual_fmac_f32 v14, v40, v51
	s_waitcnt vmcnt(6)
	v_dual_fmac_f32 v13, v42, v51 :: v_dual_fmac_f32 v16, v57, v52
	v_fma_f32 v8, -v39, v51, v8
	v_fma_f32 v18, -v41, v51, v18
	v_fmac_f32_e32 v15, v38, v51
	v_fmac_f32_e32 v4, v54, v52
	v_fma_f32 v5, -v45, v51, v5
	v_dual_fmac_f32 v13, v55, v52 :: v_dual_fmac_f32 v16, v56, v53
	s_waitcnt vmcnt(5)
	v_fmac_f32_e32 v18, v60, v52
	v_fmac_f32_e32 v14, v61, v52
	v_fma_f32 v4, -v55, v53, v4
	v_fmac_f32_e32 v13, v54, v53
	v_fmac_f32_e32 v5, v56, v52
	v_fmac_f32_e32 v8, v58, v52
	v_dual_fmac_f32 v15, v59, v52 :: v_dual_fmac_f32 v14, v60, v53
	v_fma_f32 v18, -v61, v53, v18
	v_cmp_ge_i32_e32 vcc_lo, v7, v17
	s_delay_alu instid0(VALU_DEP_3)
	v_fmac_f32_e32 v15, v58, v53
	s_or_b32 s5, vcc_lo, s5
	s_waitcnt vmcnt(2)
	v_fmac_f32_e32 v16, v69, v70
	v_fmac_f32_e32 v4, v66, v70
	v_fma_f32 v5, -v57, v53, v5
	v_fmac_f32_e32 v13, v67, v70
	v_fma_f32 v8, -v59, v53, v8
	v_dual_fmac_f32 v15, v63, v70 :: v_dual_fmac_f32 v16, v68, v71
	s_delay_alu instid0(VALU_DEP_3) | instskip(NEXT) | instid1(VALU_DEP_3)
	v_dual_fmac_f32 v18, v64, v70 :: v_dual_fmac_f32 v13, v66, v71
	v_fmac_f32_e32 v8, v62, v70
	s_delay_alu instid0(VALU_DEP_3)
	v_dual_fmac_f32 v14, v65, v70 :: v_dual_fmac_f32 v15, v62, v71
	v_fma_f32 v4, -v67, v71, v4
	v_fmac_f32_e32 v5, v68, v70
	v_fma_f32 v19, -v65, v71, v18
	s_waitcnt vmcnt(0)
	v_dual_fmac_f32 v14, v64, v71 :: v_dual_fmac_f32 v15, v79, v72
	v_fmac_f32_e32 v4, v74, v72
	v_fma_f32 v5, -v69, v71, v5
	v_fmac_f32_e32 v13, v75, v72
	v_fma_f32 v8, -v63, v71, v8
	v_fmac_f32_e32 v16, v77, v72
	v_fmac_f32_e32 v19, v80, v72
	;; [unrolled: 1-line block ×5, first 2 shown]
	v_dual_fmac_f32 v14, v81, v72 :: v_dual_fmac_f32 v15, v78, v73
	v_fma_f32 v18, -v75, v73, v4
	v_fma_f32 v21, -v77, v73, v5
	v_fmac_f32_e32 v16, v76, v73
	v_fma_f32 v20, -v79, v73, v8
	v_fma_f32 v19, -v81, v73, v19
	v_fmac_f32_e32 v14, v80, v73
	s_and_not1_b32 exec_lo, exec_lo, s5
	s_cbranch_execnz .LBB97_12
; %bb.13:
	s_or_b32 exec_lo, exec_lo, s5
.LBB97_14:
	s_delay_alu instid0(SALU_CYCLE_1) | instskip(NEXT) | instid1(SALU_CYCLE_1)
	s_or_b32 exec_lo, exec_lo, s4
	s_and_not1_b32 vcc_lo, exec_lo, s3
	s_cbranch_vccz .LBB97_19
	s_branch .LBB97_24
.LBB97_15:
	v_dual_mov_b32 v1, s4 :: v_dual_mov_b32 v2, s5
	flat_load_b32 v9, v[1:2]
	v_cndmask_b32_e64 v1, 0, 1, s6
	v_mov_b32_e32 v10, s5
	s_and_not1_b32 vcc_lo, exec_lo, s6
	s_cbranch_vccnz .LBB97_2
.LBB97_16:
	v_dual_mov_b32 v2, s4 :: v_dual_mov_b32 v3, s5
	flat_load_b32 v10, v[2:3] offset:4
	v_cmp_ne_u32_e32 vcc_lo, 1, v1
	v_mov_b32_e32 v11, s2
	s_cbranch_vccnz .LBB97_3
.LBB97_17:
	v_dual_mov_b32 v2, s2 :: v_dual_mov_b32 v3, s3
	flat_load_b32 v11, v[2:3]
	v_cmp_ne_u32_e32 vcc_lo, 1, v1
	v_mov_b32_e32 v12, s3
	s_cbranch_vccz .LBB97_4
	s_branch .LBB97_5
.LBB97_18:
                                        ; implicit-def: $vgpr13
                                        ; implicit-def: $vgpr18
                                        ; implicit-def: $vgpr19
                                        ; implicit-def: $vgpr14
                                        ; implicit-def: $vgpr20
                                        ; implicit-def: $vgpr15
                                        ; implicit-def: $vgpr21
                                        ; implicit-def: $vgpr16
.LBB97_19:
	v_dual_mov_b32 v13, 0 :: v_dual_mov_b32 v18, 0
	v_dual_mov_b32 v19, 0 :: v_dual_mov_b32 v14, 0
	;; [unrolled: 1-line block ×4, first 2 shown]
	s_and_saveexec_b32 s3, s2
	s_cbranch_execz .LBB97_23
; %bb.20:
	v_mad_u64_u32 v[4:5], null, v2, 24, 23
	v_dual_mov_b32 v7, 0 :: v_dual_mov_b32 v18, 0
	v_dual_mov_b32 v13, 0 :: v_dual_mov_b32 v14, 0
	;; [unrolled: 1-line block ×4, first 2 shown]
	v_mov_b32_e32 v21, 0
	s_mov_b32 s2, 0
.LBB97_21:                              ; =>This Inner Loop Header: Depth=1
	v_ashrrev_i32_e32 v3, 31, v2
	v_dual_mov_b32 v47, v7 :: v_dual_add_nc_u32 v22, -11, v4
	v_dual_mov_b32 v23, v7 :: v_dual_add_nc_u32 v24, -5, v4
	s_delay_alu instid0(VALU_DEP_3) | instskip(SKIP_1) | instid1(VALU_DEP_3)
	v_lshlrev_b64 v[5:6], 2, v[2:3]
	v_mov_b32_e32 v25, v7
	v_lshlrev_b64 v[22:23], 3, v[22:23]
	s_delay_alu instid0(VALU_DEP_3) | instskip(NEXT) | instid1(VALU_DEP_4)
	v_add_co_u32 v5, vcc_lo, s6, v5
	v_add_co_ci_u32_e32 v6, vcc_lo, s7, v6, vcc_lo
	global_load_b32 v3, v[5:6], off
	v_subrev_nc_u32_e32 v6, 23, v4
	v_mov_b32_e32 v5, v7
	s_delay_alu instid0(VALU_DEP_2) | instskip(SKIP_2) | instid1(VALU_DEP_2)
	v_lshlrev_b64 v[26:27], 3, v[6:7]
	v_add_nc_u32_e32 v6, -10, v4
	v_lshlrev_b64 v[24:25], 3, v[24:25]
	v_lshlrev_b64 v[38:39], 3, v[6:7]
	v_add_nc_u32_e32 v6, -4, v4
	v_add_co_u32 v34, vcc_lo, s8, v26
	v_add_co_ci_u32_e32 v35, vcc_lo, s9, v27, vcc_lo
	v_lshlrev_b64 v[28:29], 3, v[4:5]
	v_add_co_u32 v40, vcc_lo, s8, v22
	v_add_co_ci_u32_e32 v41, vcc_lo, s9, v23, vcc_lo
	v_add_co_u32 v42, vcc_lo, s8, v24
	v_add_co_ci_u32_e32 v43, vcc_lo, s9, v25, vcc_lo
	v_add_co_u32 v50, vcc_lo, s8, v28
	v_lshlrev_b64 v[5:6], 3, v[6:7]
	v_add_co_ci_u32_e32 v51, vcc_lo, s9, v29, vcc_lo
	v_add_co_u32 v38, vcc_lo, s8, v38
	v_add_co_ci_u32_e32 v39, vcc_lo, s9, v39, vcc_lo
	s_delay_alu instid0(VALU_DEP_4)
	v_add_co_u32 v5, vcc_lo, s8, v5
	v_add_co_ci_u32_e32 v6, vcc_lo, s9, v6, vcc_lo
	s_clause 0x7
	global_load_b128 v[22:25], v[34:35], off offset:32
	global_load_b128 v[26:29], v[34:35], off offset:48
	;; [unrolled: 1-line block ×3, first 2 shown]
	global_load_b128 v[34:37], v[34:35], off
	global_load_b64 v[52:53], v[40:41], off
	global_load_b64 v[54:55], v[42:43], off
	;; [unrolled: 1-line block ×4, first 2 shown]
	s_waitcnt vmcnt(8)
	v_subrev_nc_u32_e32 v3, s12, v3
	s_delay_alu instid0(VALU_DEP_1) | instskip(NEXT) | instid1(VALU_DEP_1)
	v_mul_lo_u32 v46, v3, 6
	v_add_nc_u32_e32 v6, 2, v46
	v_lshlrev_b64 v[38:39], 3, v[46:47]
	s_delay_alu instid0(VALU_DEP_2) | instskip(NEXT) | instid1(VALU_DEP_2)
	v_lshlrev_b64 v[40:41], 3, v[6:7]
	v_add_co_u32 v38, vcc_lo, s10, v38
	s_delay_alu instid0(VALU_DEP_3) | instskip(NEXT) | instid1(VALU_DEP_3)
	v_add_co_ci_u32_e32 v39, vcc_lo, s11, v39, vcc_lo
	v_add_co_u32 v42, vcc_lo, s10, v40
	s_delay_alu instid0(VALU_DEP_4)
	v_add_co_ci_u32_e32 v43, vcc_lo, s11, v41, vcc_lo
	s_clause 0x1
	global_load_b128 v[38:41], v[38:39], off
	global_load_b128 v[42:45], v[42:43], off
	s_waitcnt vmcnt(1)
	v_dual_fmac_f32 v13, v35, v38 :: v_dual_add_nc_u32 v6, -15, v4
	s_delay_alu instid0(VALU_DEP_1) | instskip(SKIP_2) | instid1(VALU_DEP_4)
	v_lshlrev_b64 v[47:48], 3, v[6:7]
	v_dual_fmac_f32 v21, v26, v38 :: v_dual_add_nc_u32 v6, -9, v4
	v_fmac_f32_e32 v15, v53, v38
	v_dual_fmac_f32 v13, v34, v39 :: v_dual_add_nc_u32 v2, 32, v2
	s_delay_alu instid0(VALU_DEP_3) | instskip(SKIP_3) | instid1(VALU_DEP_3)
	v_lshlrev_b64 v[60:61], 3, v[6:7]
	v_add_nc_u32_e32 v6, -3, v4
	v_add_co_u32 v47, vcc_lo, s8, v47
	v_add_co_ci_u32_e32 v48, vcc_lo, s9, v48, vcc_lo
	v_lshlrev_b64 v[62:63], 3, v[6:7]
	v_add_co_u32 v60, vcc_lo, s8, v60
	v_add_co_ci_u32_e32 v61, vcc_lo, s9, v61, vcc_lo
	global_load_b64 v[64:65], v[47:48], off
	v_add_co_u32 v62, vcc_lo, s8, v62
	global_load_b64 v[60:61], v[60:61], off
	v_add_co_ci_u32_e32 v63, vcc_lo, s9, v63, vcc_lo
	v_dual_fmac_f32 v19, v54, v38 :: v_dual_add_nc_u32 v6, -14, v4
	v_fmac_f32_e32 v15, v52, v39
	global_load_b64 v[62:63], v[62:63], off
	v_fmac_f32_e32 v13, v37, v40
	v_lshlrev_b64 v[47:48], 3, v[6:7]
	v_add_nc_u32_e32 v6, -8, v4
	v_dual_fmac_f32 v18, v34, v38 :: v_dual_fmac_f32 v15, v57, v40
	s_delay_alu instid0(VALU_DEP_4) | instskip(SKIP_1) | instid1(VALU_DEP_4)
	v_fmac_f32_e32 v13, v36, v41
	v_fma_f32 v19, -v55, v39, v19
	v_lshlrev_b64 v[66:67], 3, v[6:7]
	v_add_nc_u32_e32 v6, -2, v4
	v_add_co_u32 v47, vcc_lo, s8, v47
	v_add_co_ci_u32_e32 v48, vcc_lo, s9, v48, vcc_lo
	s_delay_alu instid0(VALU_DEP_3)
	v_lshlrev_b64 v[68:69], 3, v[6:7]
	v_fma_f32 v3, -v35, v39, v18
	v_add_nc_u32_e32 v6, 4, v46
	v_add_co_u32 v46, vcc_lo, s8, v66
	global_load_b64 v[70:71], v[47:48], off
	v_fmac_f32_e32 v3, v36, v40
	v_add_co_ci_u32_e32 v47, vcc_lo, s9, v67, vcc_lo
	v_add_co_u32 v66, vcc_lo, s8, v68
	v_lshlrev_b64 v[48:49], 3, v[6:7]
	v_dual_fmac_f32 v15, v56, v41 :: v_dual_add_nc_u32 v6, -13, v4
	v_add_co_ci_u32_e32 v67, vcc_lo, s9, v69, vcc_lo
	v_fma_f32 v3, -v37, v41, v3
	s_delay_alu instid0(VALU_DEP_4)
	v_add_co_u32 v48, vcc_lo, s10, v48
	s_clause 0x1
	global_load_b64 v[66:67], v[66:67], off
	global_load_b64 v[68:69], v[46:47], off
	v_lshlrev_b64 v[46:47], 3, v[6:7]
	s_waitcnt vmcnt(6)
	v_dual_fmac_f32 v3, v30, v42 :: v_dual_add_nc_u32 v6, -7, v4
	v_add_co_ci_u32_e32 v49, vcc_lo, s11, v49, vcc_lo
	v_fmac_f32_e32 v13, v31, v42
	s_delay_alu instid0(VALU_DEP_3) | instskip(SKIP_3) | instid1(VALU_DEP_3)
	v_lshlrev_b64 v[72:73], 3, v[6:7]
	v_add_nc_u32_e32 v6, -1, v4
	v_add_co_u32 v74, vcc_lo, s8, v46
	v_add_co_ci_u32_e32 v75, vcc_lo, s9, v47, vcc_lo
	v_lshlrev_b64 v[76:77], 3, v[6:7]
	v_add_nc_u32_e32 v6, -12, v4
	v_dual_fmac_f32 v16, v27, v38 :: v_dual_fmac_f32 v19, v58, v40
	global_load_b128 v[46:49], v[48:49], off
	v_add_co_u32 v72, vcc_lo, s8, v72
	v_add_co_ci_u32_e32 v73, vcc_lo, s9, v73, vcc_lo
	v_add_co_u32 v76, vcc_lo, s8, v76
	v_fma_f32 v19, -v59, v41, v19
	v_add_co_ci_u32_e32 v77, vcc_lo, s9, v77, vcc_lo
	global_load_b64 v[74:75], v[74:75], off
	v_fma_f32 v3, -v31, v43, v3
	v_fma_f32 v8, -v27, v39, v21
	s_clause 0x1
	global_load_b64 v[76:77], v[76:77], off
	global_load_b64 v[72:73], v[72:73], off
	v_dual_fmac_f32 v16, v26, v39 :: v_dual_fmac_f32 v3, v32, v44
	v_dual_fmac_f32 v13, v30, v43 :: v_dual_fmac_f32 v20, v52, v38
	s_delay_alu instid0(VALU_DEP_2) | instskip(NEXT) | instid1(VALU_DEP_2)
	v_fma_f32 v3, -v33, v45, v3
	v_fmac_f32_e32 v13, v33, v44
	s_delay_alu instid0(VALU_DEP_3) | instskip(SKIP_1) | instid1(VALU_DEP_3)
	v_fma_f32 v18, -v53, v39, v20
	v_fmac_f32_e32 v8, v28, v40
	v_dual_fmac_f32 v16, v29, v40 :: v_dual_fmac_f32 v13, v32, v45
	s_waitcnt vmcnt(8)
	s_delay_alu instid0(VALU_DEP_3) | instskip(SKIP_3) | instid1(VALU_DEP_4)
	v_dual_fmac_f32 v18, v56, v40 :: v_dual_fmac_f32 v15, v61, v42
	v_lshlrev_b64 v[78:79], 3, v[6:7]
	v_add_nc_u32_e32 v6, -6, v4
	v_add_nc_u32_e32 v4, 0x300, v4
	v_dual_fmac_f32 v14, v55, v38 :: v_dual_fmac_f32 v15, v60, v43
	s_waitcnt vmcnt(7)
	v_fmac_f32_e32 v19, v62, v42
	v_lshlrev_b64 v[5:6], 3, v[6:7]
	v_add_co_u32 v78, vcc_lo, s8, v78
	v_add_co_ci_u32_e32 v79, vcc_lo, s9, v79, vcc_lo
	v_fmac_f32_e32 v14, v54, v39
	s_delay_alu instid0(VALU_DEP_4)
	v_add_co_u32 v5, vcc_lo, s8, v5
	v_add_co_ci_u32_e32 v6, vcc_lo, s9, v6, vcc_lo
	s_clause 0x2
	global_load_b64 v[78:79], v[78:79], off
	global_load_b64 v[5:6], v[5:6], off
	;; [unrolled: 1-line block ×3, first 2 shown]
	v_fma_f32 v19, -v63, v43, v19
	v_fmac_f32_e32 v16, v28, v41
	v_cmp_ge_i32_e32 vcc_lo, v2, v17
	s_or_b32 s2, vcc_lo, s2
	s_waitcnt vmcnt(8)
	v_fmac_f32_e32 v19, v66, v44
	s_waitcnt vmcnt(7)
	v_fmac_f32_e32 v15, v69, v44
	v_fmac_f32_e32 v14, v59, v40
	s_delay_alu instid0(VALU_DEP_3) | instskip(NEXT) | instid1(VALU_DEP_3)
	v_fma_f32 v19, -v67, v45, v19
	v_fmac_f32_e32 v15, v68, v45
	s_delay_alu instid0(VALU_DEP_3)
	v_fmac_f32_e32 v14, v58, v41
	s_waitcnt vmcnt(6)
	v_fmac_f32_e32 v3, v22, v46
	v_fma_f32 v8, -v29, v41, v8
	v_fmac_f32_e32 v13, v23, v46
	v_fma_f32 v18, -v57, v41, v18
	s_delay_alu instid0(VALU_DEP_4) | instskip(NEXT) | instid1(VALU_DEP_3)
	v_fma_f32 v3, -v23, v47, v3
	v_dual_fmac_f32 v8, v64, v42 :: v_dual_fmac_f32 v13, v22, v47
	s_delay_alu instid0(VALU_DEP_3) | instskip(NEXT) | instid1(VALU_DEP_3)
	v_fmac_f32_e32 v18, v60, v42
	v_dual_fmac_f32 v16, v65, v42 :: v_dual_fmac_f32 v3, v24, v48
	s_delay_alu instid0(VALU_DEP_3) | instskip(NEXT) | instid1(VALU_DEP_4)
	v_fma_f32 v8, -v65, v43, v8
	v_fmac_f32_e32 v13, v25, v48
	s_delay_alu instid0(VALU_DEP_4)
	v_fma_f32 v18, -v61, v43, v18
	s_waitcnt vmcnt(3)
	v_fmac_f32_e32 v15, v73, v46
	v_fmac_f32_e32 v14, v63, v42
	v_dual_fmac_f32 v8, v70, v44 :: v_dual_fmac_f32 v13, v24, v49
	v_fmac_f32_e32 v18, v68, v44
	s_delay_alu instid0(VALU_DEP_4) | instskip(SKIP_2) | instid1(VALU_DEP_4)
	v_fmac_f32_e32 v15, v72, v47
	v_fmac_f32_e32 v16, v64, v43
	v_dual_fmac_f32 v14, v62, v43 :: v_dual_fmac_f32 v19, v76, v46
	v_fma_f32 v18, -v69, v45, v18
	v_fma_f32 v8, -v71, v45, v8
	s_delay_alu instid0(VALU_DEP_3) | instskip(NEXT) | instid1(VALU_DEP_3)
	v_fmac_f32_e32 v14, v67, v44
	v_fmac_f32_e32 v18, v72, v46
	s_delay_alu instid0(VALU_DEP_3) | instskip(NEXT) | instid1(VALU_DEP_3)
	v_fmac_f32_e32 v8, v74, v46
	v_fmac_f32_e32 v14, v66, v45
	s_delay_alu instid0(VALU_DEP_3) | instskip(SKIP_2) | instid1(VALU_DEP_4)
	v_fma_f32 v20, -v73, v47, v18
	v_fma_f32 v18, -v25, v49, v3
	;; [unrolled: 1-line block ×3, first 2 shown]
	v_fmac_f32_e32 v14, v77, v46
	v_fma_f32 v8, -v75, v47, v8
	s_delay_alu instid0(VALU_DEP_2) | instskip(SKIP_1) | instid1(VALU_DEP_2)
	v_fmac_f32_e32 v14, v76, v47
	s_waitcnt vmcnt(2)
	v_fmac_f32_e32 v8, v78, v48
	s_waitcnt vmcnt(1)
	v_fmac_f32_e32 v15, v6, v48
	v_fmac_f32_e32 v16, v71, v44
	;; [unrolled: 1-line block ×3, first 2 shown]
	s_waitcnt vmcnt(0)
	v_fmac_f32_e32 v3, v50, v48
	v_dual_fmac_f32 v14, v51, v48 :: v_dual_fmac_f32 v15, v5, v49
	v_fmac_f32_e32 v16, v70, v45
	v_fma_f32 v21, -v79, v49, v8
	v_fma_f32 v20, -v6, v49, v20
	;; [unrolled: 1-line block ×3, first 2 shown]
	v_fmac_f32_e32 v14, v50, v49
	v_fmac_f32_e32 v16, v75, v46
	s_delay_alu instid0(VALU_DEP_1) | instskip(NEXT) | instid1(VALU_DEP_1)
	v_fmac_f32_e32 v16, v74, v47
	v_fmac_f32_e32 v16, v79, v48
	s_delay_alu instid0(VALU_DEP_1)
	v_fmac_f32_e32 v16, v78, v49
	s_and_not1_b32 exec_lo, exec_lo, s2
	s_cbranch_execnz .LBB97_21
; %bb.22:
	s_or_b32 exec_lo, exec_lo, s2
.LBB97_23:
	s_delay_alu instid0(SALU_CYCLE_1)
	s_or_b32 exec_lo, exec_lo, s3
.LBB97_24:
	v_mbcnt_lo_u32_b32 v2, -1, 0
	s_delay_alu instid0(VALU_DEP_1) | instskip(SKIP_1) | instid1(VALU_DEP_2)
	v_xor_b32_e32 v3, 16, v2
	v_xor_b32_e32 v23, 8, v2
	v_cmp_gt_i32_e32 vcc_lo, 32, v3
	v_cndmask_b32_e32 v3, v2, v3, vcc_lo
	s_delay_alu instid0(VALU_DEP_3) | instskip(NEXT) | instid1(VALU_DEP_2)
	v_cmp_gt_i32_e32 vcc_lo, 32, v23
	v_lshlrev_b32_e32 v3, 2, v3
	ds_bpermute_b32 v4, v3, v18
	s_waitcnt lgkmcnt(0)
	v_add_f32_e32 v4, v18, v4
	ds_bpermute_b32 v8, v3, v20
	ds_bpermute_b32 v5, v3, v13
	;; [unrolled: 1-line block ×7, first 2 shown]
	s_waitcnt lgkmcnt(6)
	v_dual_cndmask_b32 v23, v2, v23 :: v_dual_add_f32 v8, v20, v8
	s_waitcnt lgkmcnt(4)
	s_delay_alu instid0(VALU_DEP_1)
	v_dual_add_f32 v6, v21, v6 :: v_dual_lshlrev_b32 v23, 2, v23
	v_add_f32_e32 v5, v13, v5
	s_waitcnt lgkmcnt(0)
	v_add_f32_e32 v3, v14, v3
	ds_bpermute_b32 v14, v23, v4
	s_waitcnt lgkmcnt(0)
	v_dual_add_f32 v4, v4, v14 :: v_dual_add_f32 v13, v15, v17
	ds_bpermute_b32 v17, v23, v6
	v_add_f32_e32 v15, v19, v22
	ds_bpermute_b32 v19, v23, v8
	v_add_f32_e32 v7, v16, v7
	ds_bpermute_b32 v20, v23, v13
	ds_bpermute_b32 v22, v23, v3
	;; [unrolled: 1-line block ×3, first 2 shown]
	s_waitcnt lgkmcnt(4)
	v_add_f32_e32 v6, v6, v17
	ds_bpermute_b32 v18, v23, v7
	s_waitcnt lgkmcnt(4)
	v_add_f32_e32 v8, v8, v19
	ds_bpermute_b32 v16, v23, v5
	v_xor_b32_e32 v23, 4, v2
	s_delay_alu instid0(VALU_DEP_1)
	v_cmp_gt_i32_e32 vcc_lo, 32, v23
	s_waitcnt lgkmcnt(1)
	v_add_f32_e32 v7, v7, v18
	v_cndmask_b32_e32 v23, v2, v23, vcc_lo
	s_waitcnt lgkmcnt(0)
	v_add_f32_e32 v5, v5, v16
	s_delay_alu instid0(VALU_DEP_2)
	v_lshlrev_b32_e32 v23, 2, v23
	ds_bpermute_b32 v19, v23, v8
	ds_bpermute_b32 v16, v23, v5
	;; [unrolled: 1-line block ×3, first 2 shown]
	s_waitcnt lgkmcnt(2)
	v_add_f32_e32 v8, v8, v19
	s_waitcnt lgkmcnt(1)
	v_dual_add_f32 v14, v15, v21 :: v_dual_add_f32 v5, v5, v16
	s_waitcnt lgkmcnt(0)
	v_add_f32_e32 v16, v7, v18
	v_add_f32_e32 v3, v3, v22
	ds_bpermute_b32 v21, v23, v14
	s_waitcnt lgkmcnt(0)
	v_add_f32_e32 v18, v14, v21
	ds_bpermute_b32 v15, v23, v4
	ds_bpermute_b32 v17, v23, v6
	;; [unrolled: 1-line block ×3, first 2 shown]
	s_waitcnt lgkmcnt(2)
	v_dual_add_f32 v4, v4, v15 :: v_dual_add_f32 v13, v13, v20
	s_waitcnt lgkmcnt(1)
	v_add_f32_e32 v15, v6, v17
	s_waitcnt lgkmcnt(0)
	v_add_f32_e32 v19, v3, v22
	ds_bpermute_b32 v20, v23, v13
	v_xor_b32_e32 v23, 2, v2
	s_delay_alu instid0(VALU_DEP_1) | instskip(SKIP_1) | instid1(VALU_DEP_1)
	v_cmp_gt_i32_e32 vcc_lo, 32, v23
	v_cndmask_b32_e32 v23, v2, v23, vcc_lo
	v_lshlrev_b32_e32 v23, 2, v23
	ds_bpermute_b32 v14, v23, v8
	ds_bpermute_b32 v3, v23, v4
	;; [unrolled: 1-line block ×6, first 2 shown]
	s_waitcnt lgkmcnt(5)
	v_dual_add_f32 v14, v8, v14 :: v_dual_add_f32 v17, v13, v20
	s_waitcnt lgkmcnt(3)
	v_add_f32_e32 v6, v5, v6
	ds_bpermute_b32 v13, v23, v16
	s_waitcnt lgkmcnt(3)
	v_add_f32_e32 v7, v15, v7
	s_waitcnt lgkmcnt(1)
	v_add_f32_e32 v5, v19, v22
	ds_bpermute_b32 v20, v23, v17
	v_xor_b32_e32 v23, 1, v2
	s_delay_alu instid0(VALU_DEP_1) | instskip(SKIP_2) | instid1(VALU_DEP_2)
	v_cmp_gt_i32_e32 vcc_lo, 32, v23
	v_cndmask_b32_e32 v2, v2, v23, vcc_lo
	v_cmp_eq_u32_e32 vcc_lo, 31, v0
	v_dual_add_f32 v2, v4, v3 :: v_dual_lshlrev_b32 v23, 2, v2
	s_waitcnt lgkmcnt(1)
	v_add_f32_e32 v13, v16, v13
	v_add_f32_e32 v3, v18, v21
	s_waitcnt lgkmcnt(0)
	v_add_f32_e32 v15, v17, v20
	ds_bpermute_b32 v8, v23, v6
	ds_bpermute_b32 v4, v23, v2
	ds_bpermute_b32 v18, v23, v7
	ds_bpermute_b32 v19, v23, v13
	ds_bpermute_b32 v20, v23, v14
	ds_bpermute_b32 v21, v23, v15
	ds_bpermute_b32 v16, v23, v3
	ds_bpermute_b32 v17, v23, v5
	s_and_b32 exec_lo, exec_lo, vcc_lo
	s_cbranch_execz .LBB97_29
; %bb.25:
	s_load_b64 s[2:3], s[0:1], 0x38
	v_cmp_eq_f32_e32 vcc_lo, 0, v11
	v_cmp_eq_f32_e64 s0, 0, v12
	s_waitcnt lgkmcnt(0)
	v_add_f32_e32 v4, v2, v4
	v_dual_add_f32 v8, v6, v8 :: v_dual_add_f32 v5, v5, v17
	v_dual_add_f32 v0, v7, v18 :: v_dual_add_f32 v7, v13, v19
	v_add_f32_e32 v2, v14, v20
	v_add_f32_e32 v6, v15, v21
	;; [unrolled: 1-line block ×3, first 2 shown]
	s_and_b32 s0, vcc_lo, s0
	s_delay_alu instid0(SALU_CYCLE_1) | instskip(NEXT) | instid1(SALU_CYCLE_1)
	s_and_saveexec_b32 s1, s0
	s_xor_b32 s0, exec_lo, s1
	s_cbranch_execz .LBB97_27
; %bb.26:
	v_mul_f32_e64 v11, v8, -v10
	v_mul_f32_e32 v12, v8, v9
	v_mul_f32_e64 v13, v7, -v10
	v_mul_f32_e32 v14, v7, v9
	v_mul_f32_e64 v15, v6, -v10
	v_fmac_f32_e32 v11, v9, v4
	v_dual_fmac_f32 v12, v10, v4 :: v_dual_lshlrev_b32 v17, 2, v1
	s_delay_alu instid0(VALU_DEP_3) | instskip(SKIP_1) | instid1(VALU_DEP_3)
	v_dual_mul_f32 v16, v6, v9 :: v_dual_fmac_f32 v15, v9, v2
	v_fmac_f32_e32 v13, v9, v0
	v_ashrrev_i32_e32 v18, 31, v17
                                        ; implicit-def: $vgpr1
                                        ; implicit-def: $vgpr4
                                        ; implicit-def: $vgpr8
	s_delay_alu instid0(VALU_DEP_3) | instskip(NEXT) | instid1(VALU_DEP_2)
	v_fmac_f32_e32 v16, v10, v2
                                        ; implicit-def: $vgpr2
	v_lshlrev_b64 v[6:7], 3, v[17:18]
	v_mul_f32_e64 v17, v5, -v10
	v_mul_f32_e32 v18, v5, v9
	v_fmac_f32_e32 v14, v10, v0
                                        ; implicit-def: $vgpr0
                                        ; implicit-def: $vgpr5
	s_delay_alu instid0(VALU_DEP_3)
	v_fmac_f32_e32 v17, v9, v3
	v_add_co_u32 v6, vcc_lo, s2, v6
	v_add_co_ci_u32_e32 v7, vcc_lo, s3, v7, vcc_lo
	v_fmac_f32_e32 v18, v10, v3
	s_clause 0x1
	global_store_b128 v[6:7], v[11:14], off
	global_store_b128 v[6:7], v[15:18], off offset:16
                                        ; implicit-def: $vgpr9
                                        ; implicit-def: $vgpr10
                                        ; implicit-def: $vgpr11
                                        ; implicit-def: $vgpr12
                                        ; implicit-def: $vgpr7
                                        ; implicit-def: $vgpr6
                                        ; implicit-def: $vgpr3
.LBB97_27:
	s_and_not1_saveexec_b32 s0, s0
	s_cbranch_execz .LBB97_29
; %bb.28:
	v_mul_f32_e32 v22, v8, v9
	v_lshlrev_b32_e32 v13, 2, v1
	v_mul_f32_e64 v1, v8, -v10
	v_mul_f32_e64 v23, v7, -v10
	v_mul_f32_e32 v24, v7, v9
	v_mul_f32_e64 v7, v6, -v10
	s_delay_alu instid0(VALU_DEP_4) | instskip(SKIP_2) | instid1(VALU_DEP_4)
	v_dual_mul_f32 v6, v6, v9 :: v_dual_fmac_f32 v1, v9, v4
	v_fmac_f32_e32 v22, v10, v4
	v_ashrrev_i32_e32 v14, 31, v13
	v_fmac_f32_e32 v7, v9, v2
	v_mul_f32_e64 v27, v5, -v10
	v_fmac_f32_e32 v23, v9, v0
	v_fmac_f32_e32 v24, v10, v0
	v_lshlrev_b64 v[13:14], 3, v[13:14]
	s_delay_alu instid0(VALU_DEP_4) | instskip(NEXT) | instid1(VALU_DEP_2)
	v_fmac_f32_e32 v27, v9, v3
	v_add_co_u32 v25, vcc_lo, s2, v13
	s_delay_alu instid0(VALU_DEP_3)
	v_add_co_ci_u32_e32 v26, vcc_lo, s3, v14, vcc_lo
	s_clause 0x1
	global_load_b128 v[13:16], v[25:26], off
	global_load_b128 v[17:20], v[25:26], off offset:16
	v_mul_f32_e32 v8, v5, v9
	s_waitcnt vmcnt(1)
	v_dual_fmac_f32 v6, v10, v2 :: v_dual_fmac_f32 v1, v11, v13
	v_fmac_f32_e32 v23, v11, v15
	s_waitcnt vmcnt(0)
	v_dual_fmac_f32 v8, v10, v3 :: v_dual_fmac_f32 v7, v11, v17
	v_dual_fmac_f32 v22, v12, v13 :: v_dual_fmac_f32 v27, v11, v19
	v_fmac_f32_e32 v24, v12, v15
	v_fmac_f32_e32 v6, v12, v17
	s_delay_alu instid0(VALU_DEP_4)
	v_fmac_f32_e32 v8, v12, v19
	v_fma_f32 v21, -v12, v14, v1
	v_fmac_f32_e32 v22, v11, v14
	v_fma_f32 v23, -v12, v16, v23
	;; [unrolled: 2-line block ×4, first 2 shown]
	v_fmac_f32_e32 v8, v11, v20
	s_clause 0x1
	global_store_b128 v[25:26], v[21:24], off
	global_store_b128 v[25:26], v[5:8], off offset:16
.LBB97_29:
	s_nop 0
	s_sendmsg sendmsg(MSG_DEALLOC_VGPRS)
	s_endpgm
	.section	.rodata,"a",@progbits
	.p2align	6, 0x0
	.amdhsa_kernel _ZN9rocsparseL19gebsrmvn_4xn_kernelILj128ELj6ELj32E21rocsparse_complex_numIfEEEvi20rocsparse_direction_NS_24const_host_device_scalarIT2_EEPKiS8_PKS5_SA_S6_PS5_21rocsparse_index_base_b
		.amdhsa_group_segment_fixed_size 0
		.amdhsa_private_segment_fixed_size 0
		.amdhsa_kernarg_size 72
		.amdhsa_user_sgpr_count 15
		.amdhsa_user_sgpr_dispatch_ptr 0
		.amdhsa_user_sgpr_queue_ptr 0
		.amdhsa_user_sgpr_kernarg_segment_ptr 1
		.amdhsa_user_sgpr_dispatch_id 0
		.amdhsa_user_sgpr_private_segment_size 0
		.amdhsa_wavefront_size32 1
		.amdhsa_uses_dynamic_stack 0
		.amdhsa_enable_private_segment 0
		.amdhsa_system_sgpr_workgroup_id_x 1
		.amdhsa_system_sgpr_workgroup_id_y 0
		.amdhsa_system_sgpr_workgroup_id_z 0
		.amdhsa_system_sgpr_workgroup_info 0
		.amdhsa_system_vgpr_workitem_id 0
		.amdhsa_next_free_vgpr 82
		.amdhsa_next_free_sgpr 16
		.amdhsa_reserve_vcc 1
		.amdhsa_float_round_mode_32 0
		.amdhsa_float_round_mode_16_64 0
		.amdhsa_float_denorm_mode_32 3
		.amdhsa_float_denorm_mode_16_64 3
		.amdhsa_dx10_clamp 1
		.amdhsa_ieee_mode 1
		.amdhsa_fp16_overflow 0
		.amdhsa_workgroup_processor_mode 1
		.amdhsa_memory_ordered 1
		.amdhsa_forward_progress 0
		.amdhsa_shared_vgpr_count 0
		.amdhsa_exception_fp_ieee_invalid_op 0
		.amdhsa_exception_fp_denorm_src 0
		.amdhsa_exception_fp_ieee_div_zero 0
		.amdhsa_exception_fp_ieee_overflow 0
		.amdhsa_exception_fp_ieee_underflow 0
		.amdhsa_exception_fp_ieee_inexact 0
		.amdhsa_exception_int_div_zero 0
	.end_amdhsa_kernel
	.section	.text._ZN9rocsparseL19gebsrmvn_4xn_kernelILj128ELj6ELj32E21rocsparse_complex_numIfEEEvi20rocsparse_direction_NS_24const_host_device_scalarIT2_EEPKiS8_PKS5_SA_S6_PS5_21rocsparse_index_base_b,"axG",@progbits,_ZN9rocsparseL19gebsrmvn_4xn_kernelILj128ELj6ELj32E21rocsparse_complex_numIfEEEvi20rocsparse_direction_NS_24const_host_device_scalarIT2_EEPKiS8_PKS5_SA_S6_PS5_21rocsparse_index_base_b,comdat
.Lfunc_end97:
	.size	_ZN9rocsparseL19gebsrmvn_4xn_kernelILj128ELj6ELj32E21rocsparse_complex_numIfEEEvi20rocsparse_direction_NS_24const_host_device_scalarIT2_EEPKiS8_PKS5_SA_S6_PS5_21rocsparse_index_base_b, .Lfunc_end97-_ZN9rocsparseL19gebsrmvn_4xn_kernelILj128ELj6ELj32E21rocsparse_complex_numIfEEEvi20rocsparse_direction_NS_24const_host_device_scalarIT2_EEPKiS8_PKS5_SA_S6_PS5_21rocsparse_index_base_b
                                        ; -- End function
	.section	.AMDGPU.csdata,"",@progbits
; Kernel info:
; codeLenInByte = 4180
; NumSgprs: 18
; NumVgprs: 82
; ScratchSize: 0
; MemoryBound: 0
; FloatMode: 240
; IeeeMode: 1
; LDSByteSize: 0 bytes/workgroup (compile time only)
; SGPRBlocks: 2
; VGPRBlocks: 10
; NumSGPRsForWavesPerEU: 18
; NumVGPRsForWavesPerEU: 82
; Occupancy: 16
; WaveLimiterHint : 1
; COMPUTE_PGM_RSRC2:SCRATCH_EN: 0
; COMPUTE_PGM_RSRC2:USER_SGPR: 15
; COMPUTE_PGM_RSRC2:TRAP_HANDLER: 0
; COMPUTE_PGM_RSRC2:TGID_X_EN: 1
; COMPUTE_PGM_RSRC2:TGID_Y_EN: 0
; COMPUTE_PGM_RSRC2:TGID_Z_EN: 0
; COMPUTE_PGM_RSRC2:TIDIG_COMP_CNT: 0
	.section	.text._ZN9rocsparseL19gebsrmvn_4xn_kernelILj128ELj6ELj64E21rocsparse_complex_numIfEEEvi20rocsparse_direction_NS_24const_host_device_scalarIT2_EEPKiS8_PKS5_SA_S6_PS5_21rocsparse_index_base_b,"axG",@progbits,_ZN9rocsparseL19gebsrmvn_4xn_kernelILj128ELj6ELj64E21rocsparse_complex_numIfEEEvi20rocsparse_direction_NS_24const_host_device_scalarIT2_EEPKiS8_PKS5_SA_S6_PS5_21rocsparse_index_base_b,comdat
	.globl	_ZN9rocsparseL19gebsrmvn_4xn_kernelILj128ELj6ELj64E21rocsparse_complex_numIfEEEvi20rocsparse_direction_NS_24const_host_device_scalarIT2_EEPKiS8_PKS5_SA_S6_PS5_21rocsparse_index_base_b ; -- Begin function _ZN9rocsparseL19gebsrmvn_4xn_kernelILj128ELj6ELj64E21rocsparse_complex_numIfEEEvi20rocsparse_direction_NS_24const_host_device_scalarIT2_EEPKiS8_PKS5_SA_S6_PS5_21rocsparse_index_base_b
	.p2align	8
	.type	_ZN9rocsparseL19gebsrmvn_4xn_kernelILj128ELj6ELj64E21rocsparse_complex_numIfEEEvi20rocsparse_direction_NS_24const_host_device_scalarIT2_EEPKiS8_PKS5_SA_S6_PS5_21rocsparse_index_base_b,@function
_ZN9rocsparseL19gebsrmvn_4xn_kernelILj128ELj6ELj64E21rocsparse_complex_numIfEEEvi20rocsparse_direction_NS_24const_host_device_scalarIT2_EEPKiS8_PKS5_SA_S6_PS5_21rocsparse_index_base_b: ; @_ZN9rocsparseL19gebsrmvn_4xn_kernelILj128ELj6ELj64E21rocsparse_complex_numIfEEEvi20rocsparse_direction_NS_24const_host_device_scalarIT2_EEPKiS8_PKS5_SA_S6_PS5_21rocsparse_index_base_b
; %bb.0:
	s_clause 0x2
	s_load_b64 s[12:13], s[0:1], 0x40
	s_load_b64 s[4:5], s[0:1], 0x8
	;; [unrolled: 1-line block ×3, first 2 shown]
	s_waitcnt lgkmcnt(0)
	s_bitcmp1_b32 s13, 0
	v_mov_b32_e32 v9, s4
	s_cselect_b32 s6, -1, 0
	s_delay_alu instid0(SALU_CYCLE_1)
	s_and_b32 vcc_lo, exec_lo, s6
	s_xor_b32 s6, s6, -1
	s_cbranch_vccz .LBB98_15
; %bb.1:
	v_cndmask_b32_e64 v1, 0, 1, s6
	v_mov_b32_e32 v10, s5
	s_and_not1_b32 vcc_lo, exec_lo, s6
	s_cbranch_vccz .LBB98_16
.LBB98_2:
	s_delay_alu instid0(VALU_DEP_2)
	v_cmp_ne_u32_e32 vcc_lo, 1, v1
	v_mov_b32_e32 v11, s2
	s_cbranch_vccz .LBB98_17
.LBB98_3:
	v_cmp_ne_u32_e32 vcc_lo, 1, v1
	v_mov_b32_e32 v12, s3
	s_cbranch_vccnz .LBB98_5
.LBB98_4:
	v_dual_mov_b32 v1, s2 :: v_dual_mov_b32 v2, s3
	flat_load_b32 v12, v[1:2] offset:4
.LBB98_5:
	s_waitcnt vmcnt(0) lgkmcnt(0)
	v_cmp_eq_f32_e32 vcc_lo, 0, v9
	v_cmp_eq_f32_e64 s2, 0, v10
	s_delay_alu instid0(VALU_DEP_1)
	s_and_b32 s4, vcc_lo, s2
	s_mov_b32 s2, -1
	s_and_saveexec_b32 s3, s4
; %bb.6:
	v_cmp_neq_f32_e32 vcc_lo, 1.0, v11
	v_cmp_neq_f32_e64 s2, 0, v12
	s_delay_alu instid0(VALU_DEP_1) | instskip(NEXT) | instid1(SALU_CYCLE_1)
	s_or_b32 s2, vcc_lo, s2
	s_or_not1_b32 s2, s2, exec_lo
; %bb.7:
	s_or_b32 exec_lo, exec_lo, s3
	s_and_saveexec_b32 s3, s2
	s_cbranch_execz .LBB98_29
; %bb.8:
	s_load_b64 s[2:3], s[0:1], 0x0
	v_lshrrev_b32_e32 v1, 6, v0
	s_delay_alu instid0(VALU_DEP_1) | instskip(SKIP_1) | instid1(VALU_DEP_1)
	v_lshl_or_b32 v1, s15, 1, v1
	s_waitcnt lgkmcnt(0)
	v_cmp_gt_i32_e32 vcc_lo, s2, v1
	s_and_b32 exec_lo, exec_lo, vcc_lo
	s_cbranch_execz .LBB98_29
; %bb.9:
	s_load_b256 s[4:11], s[0:1], 0x10
	v_ashrrev_i32_e32 v2, 31, v1
	v_and_b32_e32 v0, 63, v0
	s_cmp_lg_u32 s3, 0
	s_delay_alu instid0(VALU_DEP_2) | instskip(SKIP_1) | instid1(VALU_DEP_1)
	v_lshlrev_b64 v[2:3], 2, v[1:2]
	s_waitcnt lgkmcnt(0)
	v_add_co_u32 v2, vcc_lo, s4, v2
	s_delay_alu instid0(VALU_DEP_2) | instskip(SKIP_4) | instid1(VALU_DEP_2)
	v_add_co_ci_u32_e32 v3, vcc_lo, s5, v3, vcc_lo
	global_load_b64 v[2:3], v[2:3], off
	s_waitcnt vmcnt(0)
	v_subrev_nc_u32_e32 v2, s12, v2
	v_subrev_nc_u32_e32 v17, s12, v3
	v_add_nc_u32_e32 v2, v2, v0
	s_delay_alu instid0(VALU_DEP_1)
	v_cmp_lt_i32_e64 s2, v2, v17
	s_cbranch_scc0 .LBB98_18
; %bb.10:
	v_dual_mov_b32 v13, 0 :: v_dual_mov_b32 v18, 0
	v_dual_mov_b32 v19, 0 :: v_dual_mov_b32 v14, 0
	;; [unrolled: 1-line block ×4, first 2 shown]
	s_mov_b32 s3, 0
	s_and_saveexec_b32 s4, s2
	s_cbranch_execz .LBB98_14
; %bb.11:
	v_mad_u64_u32 v[3:4], null, v2, 24, 20
	v_dual_mov_b32 v6, 0 :: v_dual_mov_b32 v7, v2
	v_dual_mov_b32 v13, 0 :: v_dual_mov_b32 v18, 0
	;; [unrolled: 1-line block ×5, first 2 shown]
	s_mov_b32 s5, 0
.LBB98_12:                              ; =>This Inner Loop Header: Depth=1
	v_ashrrev_i32_e32 v8, 31, v7
	s_delay_alu instid0(VALU_DEP_1) | instskip(NEXT) | instid1(VALU_DEP_1)
	v_lshlrev_b64 v[4:5], 2, v[7:8]
	v_add_co_u32 v4, vcc_lo, s6, v4
	s_delay_alu instid0(VALU_DEP_2) | instskip(SKIP_3) | instid1(VALU_DEP_2)
	v_add_co_ci_u32_e32 v5, vcc_lo, s7, v5, vcc_lo
	global_load_b32 v8, v[4:5], off
	v_subrev_nc_u32_e32 v5, 20, v3
	v_mov_b32_e32 v4, v6
	v_lshlrev_b64 v[22:23], 3, v[5:6]
	v_add_nc_u32_e32 v5, -12, v3
	s_delay_alu instid0(VALU_DEP_3) | instskip(NEXT) | instid1(VALU_DEP_2)
	v_lshlrev_b64 v[24:25], 3, v[3:4]
	v_lshlrev_b64 v[4:5], 3, v[5:6]
	s_delay_alu instid0(VALU_DEP_4) | instskip(SKIP_1) | instid1(VALU_DEP_4)
	v_add_co_u32 v34, vcc_lo, s8, v22
	v_add_co_ci_u32_e32 v35, vcc_lo, s9, v23, vcc_lo
	v_add_co_u32 v78, vcc_lo, s8, v24
	v_add_co_ci_u32_e32 v79, vcc_lo, s9, v25, vcc_lo
	;; [unrolled: 2-line block ×3, first 2 shown]
	s_clause 0x5
	global_load_b128 v[22:25], v[34:35], off offset:48
	global_load_b128 v[26:29], v[34:35], off offset:32
	;; [unrolled: 1-line block ×3, first 2 shown]
	global_load_b128 v[34:37], v[34:35], off
	global_load_b128 v[38:41], v[4:5], off offset:16
	global_load_b128 v[42:45], v[4:5], off
	v_mov_b32_e32 v51, v6
	s_waitcnt vmcnt(6)
	v_subrev_nc_u32_e32 v4, s12, v8
	s_delay_alu instid0(VALU_DEP_1) | instskip(NEXT) | instid1(VALU_DEP_1)
	v_mul_lo_u32 v50, v4, 6
	v_lshlrev_b64 v[46:47], 3, v[50:51]
	s_delay_alu instid0(VALU_DEP_1) | instskip(NEXT) | instid1(VALU_DEP_2)
	v_add_co_u32 v46, vcc_lo, s10, v46
	v_add_co_ci_u32_e32 v47, vcc_lo, s11, v47, vcc_lo
	global_load_b128 v[46:49], v[46:47], off
	v_add_nc_u32_e32 v5, 2, v50
	s_delay_alu instid0(VALU_DEP_1) | instskip(SKIP_1) | instid1(VALU_DEP_1)
	v_lshlrev_b64 v[51:52], 3, v[5:6]
	v_add_nc_u32_e32 v5, -8, v3
	v_lshlrev_b64 v[54:55], 3, v[5:6]
	s_delay_alu instid0(VALU_DEP_3) | instskip(SKIP_2) | instid1(VALU_DEP_4)
	v_add_co_u32 v51, vcc_lo, s10, v51
	v_add_nc_u32_e32 v5, -4, v3
	v_add_co_ci_u32_e32 v52, vcc_lo, s11, v52, vcc_lo
	v_add_co_u32 v58, vcc_lo, s8, v54
	s_delay_alu instid0(VALU_DEP_3)
	v_lshlrev_b64 v[62:63], 3, v[5:6]
	v_add_nc_u32_e32 v5, 4, v50
	global_load_b128 v[50:53], v[51:52], off
	v_add_co_ci_u32_e32 v59, vcc_lo, s9, v55, vcc_lo
	v_add_nc_u32_e32 v7, 64, v7
	s_clause 0x1
	global_load_b128 v[54:57], v[58:59], off
	global_load_b128 v[58:61], v[58:59], off offset:16
	v_add_co_u32 v66, vcc_lo, s8, v62
	v_add_co_ci_u32_e32 v67, vcc_lo, s9, v63, vcc_lo
	s_waitcnt vmcnt(3)
	v_fmac_f32_e32 v14, v33, v46
	v_fmac_f32_e32 v18, v34, v46
	v_fmac_f32_e32 v16, v37, v46
	v_fmac_f32_e32 v20, v30, v46
	s_delay_alu instid0(VALU_DEP_4)
	v_fmac_f32_e32 v14, v32, v47
	v_lshlrev_b64 v[4:5], 3, v[5:6]
	v_fmac_f32_e32 v19, v32, v46
	v_dual_fmac_f32 v16, v36, v47 :: v_dual_fmac_f32 v13, v35, v46
	v_fma_f32 v8, -v31, v47, v20
	v_fmac_f32_e32 v21, v36, v46
	v_add_co_u32 v4, vcc_lo, s10, v4
	v_add_co_ci_u32_e32 v5, vcc_lo, s11, v5, vcc_lo
	s_delay_alu instid0(VALU_DEP_4)
	v_fmac_f32_e32 v8, v22, v48
	s_clause 0x1
	global_load_b128 v[62:65], v[66:67], off offset:16
	global_load_b128 v[66:69], v[66:67], off
	global_load_b128 v[70:73], v[4:5], off
	s_clause 0x1
	global_load_b128 v[74:77], v[78:79], off
	global_load_b128 v[78:81], v[78:79], off offset:16
	v_fma_f32 v4, -v35, v47, v18
	v_dual_fmac_f32 v16, v29, v48 :: v_dual_add_nc_u32 v3, 0x600, v3
	v_dual_fmac_f32 v13, v34, v47 :: v_dual_fmac_f32 v14, v25, v48
	v_fma_f32 v18, -v33, v47, v19
	s_delay_alu instid0(VALU_DEP_4) | instskip(SKIP_2) | instid1(VALU_DEP_3)
	v_dual_fmac_f32 v15, v31, v46 :: v_dual_fmac_f32 v4, v26, v48
	v_fma_f32 v5, -v37, v47, v21
	v_fmac_f32_e32 v16, v28, v49
	v_dual_fmac_f32 v18, v24, v48 :: v_dual_fmac_f32 v15, v30, v47
	v_fmac_f32_e32 v14, v24, v49
	v_fma_f32 v4, -v27, v49, v4
	v_fmac_f32_e32 v13, v27, v48
	s_waitcnt vmcnt(7)
	v_dual_fmac_f32 v5, v28, v48 :: v_dual_fmac_f32 v16, v45, v50
	v_fma_f32 v8, -v23, v49, v8
	v_fmac_f32_e32 v15, v23, v48
	v_fma_f32 v18, -v25, v49, v18
	v_fmac_f32_e32 v4, v42, v50
	v_fmac_f32_e32 v13, v26, v49
	v_fma_f32 v5, -v29, v49, v5
	v_fmac_f32_e32 v8, v38, v50
	v_dual_fmac_f32 v18, v40, v50 :: v_dual_fmac_f32 v15, v22, v49
	v_fmac_f32_e32 v14, v41, v50
	v_dual_fmac_f32 v13, v43, v50 :: v_dual_fmac_f32 v16, v44, v51
	v_fma_f32 v4, -v43, v51, v4
	v_fmac_f32_e32 v5, v44, v50
	s_delay_alu instid0(VALU_DEP_4)
	v_dual_fmac_f32 v15, v39, v50 :: v_dual_fmac_f32 v14, v40, v51
	s_waitcnt vmcnt(6)
	v_dual_fmac_f32 v13, v42, v51 :: v_dual_fmac_f32 v16, v57, v52
	v_fma_f32 v8, -v39, v51, v8
	v_fma_f32 v18, -v41, v51, v18
	v_fmac_f32_e32 v15, v38, v51
	v_fmac_f32_e32 v4, v54, v52
	v_fma_f32 v5, -v45, v51, v5
	v_dual_fmac_f32 v13, v55, v52 :: v_dual_fmac_f32 v16, v56, v53
	s_waitcnt vmcnt(5)
	v_fmac_f32_e32 v18, v60, v52
	v_fmac_f32_e32 v14, v61, v52
	v_fma_f32 v4, -v55, v53, v4
	v_fmac_f32_e32 v13, v54, v53
	v_fmac_f32_e32 v5, v56, v52
	v_fmac_f32_e32 v8, v58, v52
	v_dual_fmac_f32 v15, v59, v52 :: v_dual_fmac_f32 v14, v60, v53
	v_fma_f32 v18, -v61, v53, v18
	v_cmp_ge_i32_e32 vcc_lo, v7, v17
	s_delay_alu instid0(VALU_DEP_3)
	v_fmac_f32_e32 v15, v58, v53
	s_or_b32 s5, vcc_lo, s5
	s_waitcnt vmcnt(2)
	v_fmac_f32_e32 v16, v69, v70
	v_fmac_f32_e32 v4, v66, v70
	v_fma_f32 v5, -v57, v53, v5
	v_fmac_f32_e32 v13, v67, v70
	v_fma_f32 v8, -v59, v53, v8
	v_dual_fmac_f32 v15, v63, v70 :: v_dual_fmac_f32 v16, v68, v71
	s_delay_alu instid0(VALU_DEP_3) | instskip(NEXT) | instid1(VALU_DEP_3)
	v_dual_fmac_f32 v18, v64, v70 :: v_dual_fmac_f32 v13, v66, v71
	v_fmac_f32_e32 v8, v62, v70
	s_delay_alu instid0(VALU_DEP_3)
	v_dual_fmac_f32 v14, v65, v70 :: v_dual_fmac_f32 v15, v62, v71
	v_fma_f32 v4, -v67, v71, v4
	v_fmac_f32_e32 v5, v68, v70
	v_fma_f32 v19, -v65, v71, v18
	s_waitcnt vmcnt(0)
	v_dual_fmac_f32 v14, v64, v71 :: v_dual_fmac_f32 v15, v79, v72
	v_fmac_f32_e32 v4, v74, v72
	v_fma_f32 v5, -v69, v71, v5
	v_fmac_f32_e32 v13, v75, v72
	v_fma_f32 v8, -v63, v71, v8
	v_fmac_f32_e32 v16, v77, v72
	v_fmac_f32_e32 v19, v80, v72
	;; [unrolled: 1-line block ×5, first 2 shown]
	v_dual_fmac_f32 v14, v81, v72 :: v_dual_fmac_f32 v15, v78, v73
	v_fma_f32 v18, -v75, v73, v4
	v_fma_f32 v21, -v77, v73, v5
	v_fmac_f32_e32 v16, v76, v73
	v_fma_f32 v20, -v79, v73, v8
	v_fma_f32 v19, -v81, v73, v19
	v_fmac_f32_e32 v14, v80, v73
	s_and_not1_b32 exec_lo, exec_lo, s5
	s_cbranch_execnz .LBB98_12
; %bb.13:
	s_or_b32 exec_lo, exec_lo, s5
.LBB98_14:
	s_delay_alu instid0(SALU_CYCLE_1) | instskip(NEXT) | instid1(SALU_CYCLE_1)
	s_or_b32 exec_lo, exec_lo, s4
	s_and_not1_b32 vcc_lo, exec_lo, s3
	s_cbranch_vccz .LBB98_19
	s_branch .LBB98_24
.LBB98_15:
	v_dual_mov_b32 v1, s4 :: v_dual_mov_b32 v2, s5
	flat_load_b32 v9, v[1:2]
	v_cndmask_b32_e64 v1, 0, 1, s6
	v_mov_b32_e32 v10, s5
	s_and_not1_b32 vcc_lo, exec_lo, s6
	s_cbranch_vccnz .LBB98_2
.LBB98_16:
	v_dual_mov_b32 v2, s4 :: v_dual_mov_b32 v3, s5
	flat_load_b32 v10, v[2:3] offset:4
	v_cmp_ne_u32_e32 vcc_lo, 1, v1
	v_mov_b32_e32 v11, s2
	s_cbranch_vccnz .LBB98_3
.LBB98_17:
	v_dual_mov_b32 v2, s2 :: v_dual_mov_b32 v3, s3
	flat_load_b32 v11, v[2:3]
	v_cmp_ne_u32_e32 vcc_lo, 1, v1
	v_mov_b32_e32 v12, s3
	s_cbranch_vccz .LBB98_4
	s_branch .LBB98_5
.LBB98_18:
                                        ; implicit-def: $vgpr13
                                        ; implicit-def: $vgpr18
                                        ; implicit-def: $vgpr19
                                        ; implicit-def: $vgpr14
                                        ; implicit-def: $vgpr20
                                        ; implicit-def: $vgpr15
                                        ; implicit-def: $vgpr21
                                        ; implicit-def: $vgpr16
.LBB98_19:
	v_dual_mov_b32 v13, 0 :: v_dual_mov_b32 v18, 0
	v_dual_mov_b32 v19, 0 :: v_dual_mov_b32 v14, 0
	;; [unrolled: 1-line block ×4, first 2 shown]
	s_and_saveexec_b32 s3, s2
	s_cbranch_execz .LBB98_23
; %bb.20:
	v_mad_u64_u32 v[4:5], null, v2, 24, 23
	v_dual_mov_b32 v7, 0 :: v_dual_mov_b32 v18, 0
	v_dual_mov_b32 v13, 0 :: v_dual_mov_b32 v14, 0
	;; [unrolled: 1-line block ×4, first 2 shown]
	v_mov_b32_e32 v21, 0
	s_mov_b32 s2, 0
.LBB98_21:                              ; =>This Inner Loop Header: Depth=1
	v_ashrrev_i32_e32 v3, 31, v2
	v_dual_mov_b32 v47, v7 :: v_dual_add_nc_u32 v22, -11, v4
	v_dual_mov_b32 v23, v7 :: v_dual_add_nc_u32 v24, -5, v4
	s_delay_alu instid0(VALU_DEP_3) | instskip(SKIP_1) | instid1(VALU_DEP_3)
	v_lshlrev_b64 v[5:6], 2, v[2:3]
	v_mov_b32_e32 v25, v7
	v_lshlrev_b64 v[22:23], 3, v[22:23]
	s_delay_alu instid0(VALU_DEP_3) | instskip(NEXT) | instid1(VALU_DEP_4)
	v_add_co_u32 v5, vcc_lo, s6, v5
	v_add_co_ci_u32_e32 v6, vcc_lo, s7, v6, vcc_lo
	global_load_b32 v3, v[5:6], off
	v_subrev_nc_u32_e32 v6, 23, v4
	v_mov_b32_e32 v5, v7
	s_delay_alu instid0(VALU_DEP_2) | instskip(SKIP_2) | instid1(VALU_DEP_2)
	v_lshlrev_b64 v[26:27], 3, v[6:7]
	v_add_nc_u32_e32 v6, -10, v4
	v_lshlrev_b64 v[24:25], 3, v[24:25]
	v_lshlrev_b64 v[38:39], 3, v[6:7]
	v_add_nc_u32_e32 v6, -4, v4
	v_add_co_u32 v34, vcc_lo, s8, v26
	v_add_co_ci_u32_e32 v35, vcc_lo, s9, v27, vcc_lo
	v_lshlrev_b64 v[28:29], 3, v[4:5]
	v_add_co_u32 v40, vcc_lo, s8, v22
	v_add_co_ci_u32_e32 v41, vcc_lo, s9, v23, vcc_lo
	v_add_co_u32 v42, vcc_lo, s8, v24
	v_add_co_ci_u32_e32 v43, vcc_lo, s9, v25, vcc_lo
	v_add_co_u32 v50, vcc_lo, s8, v28
	v_lshlrev_b64 v[5:6], 3, v[6:7]
	v_add_co_ci_u32_e32 v51, vcc_lo, s9, v29, vcc_lo
	v_add_co_u32 v38, vcc_lo, s8, v38
	v_add_co_ci_u32_e32 v39, vcc_lo, s9, v39, vcc_lo
	s_delay_alu instid0(VALU_DEP_4)
	v_add_co_u32 v5, vcc_lo, s8, v5
	v_add_co_ci_u32_e32 v6, vcc_lo, s9, v6, vcc_lo
	s_clause 0x7
	global_load_b128 v[22:25], v[34:35], off offset:32
	global_load_b128 v[26:29], v[34:35], off offset:48
	;; [unrolled: 1-line block ×3, first 2 shown]
	global_load_b128 v[34:37], v[34:35], off
	global_load_b64 v[52:53], v[40:41], off
	global_load_b64 v[54:55], v[42:43], off
	;; [unrolled: 1-line block ×4, first 2 shown]
	s_waitcnt vmcnt(8)
	v_subrev_nc_u32_e32 v3, s12, v3
	s_delay_alu instid0(VALU_DEP_1) | instskip(NEXT) | instid1(VALU_DEP_1)
	v_mul_lo_u32 v46, v3, 6
	v_add_nc_u32_e32 v6, 2, v46
	v_lshlrev_b64 v[38:39], 3, v[46:47]
	s_delay_alu instid0(VALU_DEP_2) | instskip(NEXT) | instid1(VALU_DEP_2)
	v_lshlrev_b64 v[40:41], 3, v[6:7]
	v_add_co_u32 v38, vcc_lo, s10, v38
	s_delay_alu instid0(VALU_DEP_3) | instskip(NEXT) | instid1(VALU_DEP_3)
	v_add_co_ci_u32_e32 v39, vcc_lo, s11, v39, vcc_lo
	v_add_co_u32 v42, vcc_lo, s10, v40
	s_delay_alu instid0(VALU_DEP_4)
	v_add_co_ci_u32_e32 v43, vcc_lo, s11, v41, vcc_lo
	s_clause 0x1
	global_load_b128 v[38:41], v[38:39], off
	global_load_b128 v[42:45], v[42:43], off
	s_waitcnt vmcnt(1)
	v_dual_fmac_f32 v13, v35, v38 :: v_dual_add_nc_u32 v6, -15, v4
	s_delay_alu instid0(VALU_DEP_1) | instskip(SKIP_2) | instid1(VALU_DEP_4)
	v_lshlrev_b64 v[47:48], 3, v[6:7]
	v_dual_fmac_f32 v21, v26, v38 :: v_dual_add_nc_u32 v6, -9, v4
	v_fmac_f32_e32 v15, v53, v38
	v_dual_fmac_f32 v13, v34, v39 :: v_dual_add_nc_u32 v2, 64, v2
	s_delay_alu instid0(VALU_DEP_3) | instskip(SKIP_3) | instid1(VALU_DEP_3)
	v_lshlrev_b64 v[60:61], 3, v[6:7]
	v_add_nc_u32_e32 v6, -3, v4
	v_add_co_u32 v47, vcc_lo, s8, v47
	v_add_co_ci_u32_e32 v48, vcc_lo, s9, v48, vcc_lo
	v_lshlrev_b64 v[62:63], 3, v[6:7]
	v_add_co_u32 v60, vcc_lo, s8, v60
	v_add_co_ci_u32_e32 v61, vcc_lo, s9, v61, vcc_lo
	global_load_b64 v[64:65], v[47:48], off
	v_add_co_u32 v62, vcc_lo, s8, v62
	global_load_b64 v[60:61], v[60:61], off
	v_add_co_ci_u32_e32 v63, vcc_lo, s9, v63, vcc_lo
	v_dual_fmac_f32 v19, v54, v38 :: v_dual_add_nc_u32 v6, -14, v4
	v_fmac_f32_e32 v15, v52, v39
	global_load_b64 v[62:63], v[62:63], off
	v_fmac_f32_e32 v13, v37, v40
	v_lshlrev_b64 v[47:48], 3, v[6:7]
	v_add_nc_u32_e32 v6, -8, v4
	v_dual_fmac_f32 v18, v34, v38 :: v_dual_fmac_f32 v15, v57, v40
	s_delay_alu instid0(VALU_DEP_4) | instskip(SKIP_1) | instid1(VALU_DEP_4)
	v_fmac_f32_e32 v13, v36, v41
	v_fma_f32 v19, -v55, v39, v19
	v_lshlrev_b64 v[66:67], 3, v[6:7]
	v_add_nc_u32_e32 v6, -2, v4
	v_add_co_u32 v47, vcc_lo, s8, v47
	v_add_co_ci_u32_e32 v48, vcc_lo, s9, v48, vcc_lo
	s_delay_alu instid0(VALU_DEP_3)
	v_lshlrev_b64 v[68:69], 3, v[6:7]
	v_fma_f32 v3, -v35, v39, v18
	v_add_nc_u32_e32 v6, 4, v46
	v_add_co_u32 v46, vcc_lo, s8, v66
	global_load_b64 v[70:71], v[47:48], off
	v_fmac_f32_e32 v3, v36, v40
	v_add_co_ci_u32_e32 v47, vcc_lo, s9, v67, vcc_lo
	v_add_co_u32 v66, vcc_lo, s8, v68
	v_lshlrev_b64 v[48:49], 3, v[6:7]
	v_dual_fmac_f32 v15, v56, v41 :: v_dual_add_nc_u32 v6, -13, v4
	v_add_co_ci_u32_e32 v67, vcc_lo, s9, v69, vcc_lo
	v_fma_f32 v3, -v37, v41, v3
	s_delay_alu instid0(VALU_DEP_4)
	v_add_co_u32 v48, vcc_lo, s10, v48
	s_clause 0x1
	global_load_b64 v[66:67], v[66:67], off
	global_load_b64 v[68:69], v[46:47], off
	v_lshlrev_b64 v[46:47], 3, v[6:7]
	s_waitcnt vmcnt(6)
	v_dual_fmac_f32 v3, v30, v42 :: v_dual_add_nc_u32 v6, -7, v4
	v_add_co_ci_u32_e32 v49, vcc_lo, s11, v49, vcc_lo
	v_fmac_f32_e32 v13, v31, v42
	s_delay_alu instid0(VALU_DEP_3) | instskip(SKIP_3) | instid1(VALU_DEP_3)
	v_lshlrev_b64 v[72:73], 3, v[6:7]
	v_add_nc_u32_e32 v6, -1, v4
	v_add_co_u32 v74, vcc_lo, s8, v46
	v_add_co_ci_u32_e32 v75, vcc_lo, s9, v47, vcc_lo
	v_lshlrev_b64 v[76:77], 3, v[6:7]
	v_add_nc_u32_e32 v6, -12, v4
	v_dual_fmac_f32 v16, v27, v38 :: v_dual_fmac_f32 v19, v58, v40
	global_load_b128 v[46:49], v[48:49], off
	v_add_co_u32 v72, vcc_lo, s8, v72
	v_add_co_ci_u32_e32 v73, vcc_lo, s9, v73, vcc_lo
	v_add_co_u32 v76, vcc_lo, s8, v76
	v_fma_f32 v19, -v59, v41, v19
	v_add_co_ci_u32_e32 v77, vcc_lo, s9, v77, vcc_lo
	global_load_b64 v[74:75], v[74:75], off
	v_fma_f32 v3, -v31, v43, v3
	v_fma_f32 v8, -v27, v39, v21
	s_clause 0x1
	global_load_b64 v[76:77], v[76:77], off
	global_load_b64 v[72:73], v[72:73], off
	v_dual_fmac_f32 v16, v26, v39 :: v_dual_fmac_f32 v3, v32, v44
	v_dual_fmac_f32 v13, v30, v43 :: v_dual_fmac_f32 v20, v52, v38
	s_delay_alu instid0(VALU_DEP_2) | instskip(NEXT) | instid1(VALU_DEP_2)
	v_fma_f32 v3, -v33, v45, v3
	v_fmac_f32_e32 v13, v33, v44
	s_delay_alu instid0(VALU_DEP_3) | instskip(SKIP_1) | instid1(VALU_DEP_3)
	v_fma_f32 v18, -v53, v39, v20
	v_fmac_f32_e32 v8, v28, v40
	v_dual_fmac_f32 v16, v29, v40 :: v_dual_fmac_f32 v13, v32, v45
	s_waitcnt vmcnt(8)
	s_delay_alu instid0(VALU_DEP_3) | instskip(SKIP_3) | instid1(VALU_DEP_4)
	v_dual_fmac_f32 v18, v56, v40 :: v_dual_fmac_f32 v15, v61, v42
	v_lshlrev_b64 v[78:79], 3, v[6:7]
	v_add_nc_u32_e32 v6, -6, v4
	v_add_nc_u32_e32 v4, 0x600, v4
	v_dual_fmac_f32 v14, v55, v38 :: v_dual_fmac_f32 v15, v60, v43
	s_waitcnt vmcnt(7)
	v_fmac_f32_e32 v19, v62, v42
	v_lshlrev_b64 v[5:6], 3, v[6:7]
	v_add_co_u32 v78, vcc_lo, s8, v78
	v_add_co_ci_u32_e32 v79, vcc_lo, s9, v79, vcc_lo
	v_fmac_f32_e32 v14, v54, v39
	s_delay_alu instid0(VALU_DEP_4)
	v_add_co_u32 v5, vcc_lo, s8, v5
	v_add_co_ci_u32_e32 v6, vcc_lo, s9, v6, vcc_lo
	s_clause 0x2
	global_load_b64 v[78:79], v[78:79], off
	global_load_b64 v[5:6], v[5:6], off
	global_load_b64 v[50:51], v[50:51], off
	v_fma_f32 v19, -v63, v43, v19
	v_fmac_f32_e32 v16, v28, v41
	v_cmp_ge_i32_e32 vcc_lo, v2, v17
	s_or_b32 s2, vcc_lo, s2
	s_waitcnt vmcnt(8)
	v_fmac_f32_e32 v19, v66, v44
	s_waitcnt vmcnt(7)
	v_fmac_f32_e32 v15, v69, v44
	v_fmac_f32_e32 v14, v59, v40
	s_delay_alu instid0(VALU_DEP_3) | instskip(NEXT) | instid1(VALU_DEP_3)
	v_fma_f32 v19, -v67, v45, v19
	v_fmac_f32_e32 v15, v68, v45
	s_delay_alu instid0(VALU_DEP_3)
	v_fmac_f32_e32 v14, v58, v41
	s_waitcnt vmcnt(6)
	v_fmac_f32_e32 v3, v22, v46
	v_fma_f32 v8, -v29, v41, v8
	v_fmac_f32_e32 v13, v23, v46
	v_fma_f32 v18, -v57, v41, v18
	s_delay_alu instid0(VALU_DEP_4) | instskip(NEXT) | instid1(VALU_DEP_3)
	v_fma_f32 v3, -v23, v47, v3
	v_dual_fmac_f32 v8, v64, v42 :: v_dual_fmac_f32 v13, v22, v47
	s_delay_alu instid0(VALU_DEP_3) | instskip(NEXT) | instid1(VALU_DEP_3)
	v_fmac_f32_e32 v18, v60, v42
	v_dual_fmac_f32 v16, v65, v42 :: v_dual_fmac_f32 v3, v24, v48
	s_delay_alu instid0(VALU_DEP_3) | instskip(NEXT) | instid1(VALU_DEP_4)
	v_fma_f32 v8, -v65, v43, v8
	v_fmac_f32_e32 v13, v25, v48
	s_delay_alu instid0(VALU_DEP_4)
	v_fma_f32 v18, -v61, v43, v18
	s_waitcnt vmcnt(3)
	v_fmac_f32_e32 v15, v73, v46
	v_fmac_f32_e32 v14, v63, v42
	v_dual_fmac_f32 v8, v70, v44 :: v_dual_fmac_f32 v13, v24, v49
	v_fmac_f32_e32 v18, v68, v44
	s_delay_alu instid0(VALU_DEP_4) | instskip(SKIP_2) | instid1(VALU_DEP_4)
	v_fmac_f32_e32 v15, v72, v47
	v_fmac_f32_e32 v16, v64, v43
	v_dual_fmac_f32 v14, v62, v43 :: v_dual_fmac_f32 v19, v76, v46
	v_fma_f32 v18, -v69, v45, v18
	v_fma_f32 v8, -v71, v45, v8
	s_delay_alu instid0(VALU_DEP_3) | instskip(NEXT) | instid1(VALU_DEP_3)
	v_fmac_f32_e32 v14, v67, v44
	v_fmac_f32_e32 v18, v72, v46
	s_delay_alu instid0(VALU_DEP_3) | instskip(NEXT) | instid1(VALU_DEP_3)
	v_fmac_f32_e32 v8, v74, v46
	v_fmac_f32_e32 v14, v66, v45
	s_delay_alu instid0(VALU_DEP_3) | instskip(SKIP_2) | instid1(VALU_DEP_4)
	v_fma_f32 v20, -v73, v47, v18
	v_fma_f32 v18, -v25, v49, v3
	;; [unrolled: 1-line block ×3, first 2 shown]
	v_fmac_f32_e32 v14, v77, v46
	v_fma_f32 v8, -v75, v47, v8
	s_delay_alu instid0(VALU_DEP_2) | instskip(SKIP_1) | instid1(VALU_DEP_2)
	v_fmac_f32_e32 v14, v76, v47
	s_waitcnt vmcnt(2)
	v_fmac_f32_e32 v8, v78, v48
	s_waitcnt vmcnt(1)
	v_fmac_f32_e32 v15, v6, v48
	v_fmac_f32_e32 v16, v71, v44
	;; [unrolled: 1-line block ×3, first 2 shown]
	s_waitcnt vmcnt(0)
	v_fmac_f32_e32 v3, v50, v48
	v_dual_fmac_f32 v14, v51, v48 :: v_dual_fmac_f32 v15, v5, v49
	v_fmac_f32_e32 v16, v70, v45
	v_fma_f32 v21, -v79, v49, v8
	v_fma_f32 v20, -v6, v49, v20
	;; [unrolled: 1-line block ×3, first 2 shown]
	v_fmac_f32_e32 v14, v50, v49
	v_fmac_f32_e32 v16, v75, v46
	s_delay_alu instid0(VALU_DEP_1) | instskip(NEXT) | instid1(VALU_DEP_1)
	v_fmac_f32_e32 v16, v74, v47
	v_fmac_f32_e32 v16, v79, v48
	s_delay_alu instid0(VALU_DEP_1)
	v_fmac_f32_e32 v16, v78, v49
	s_and_not1_b32 exec_lo, exec_lo, s2
	s_cbranch_execnz .LBB98_21
; %bb.22:
	s_or_b32 exec_lo, exec_lo, s2
.LBB98_23:
	s_delay_alu instid0(SALU_CYCLE_1)
	s_or_b32 exec_lo, exec_lo, s3
.LBB98_24:
	v_mbcnt_lo_u32_b32 v2, -1, 0
	s_delay_alu instid0(VALU_DEP_1) | instskip(SKIP_1) | instid1(VALU_DEP_2)
	v_or_b32_e32 v3, 32, v2
	v_xor_b32_e32 v23, 16, v2
	v_cmp_gt_i32_e32 vcc_lo, 32, v3
	v_cndmask_b32_e32 v3, v2, v3, vcc_lo
	s_delay_alu instid0(VALU_DEP_3) | instskip(NEXT) | instid1(VALU_DEP_2)
	v_cmp_gt_i32_e32 vcc_lo, 32, v23
	v_lshlrev_b32_e32 v3, 2, v3
	ds_bpermute_b32 v4, v3, v18
	s_waitcnt lgkmcnt(0)
	v_add_f32_e32 v4, v18, v4
	ds_bpermute_b32 v8, v3, v20
	ds_bpermute_b32 v5, v3, v13
	;; [unrolled: 1-line block ×7, first 2 shown]
	s_waitcnt lgkmcnt(6)
	v_dual_cndmask_b32 v23, v2, v23 :: v_dual_add_f32 v8, v20, v8
	s_waitcnt lgkmcnt(4)
	s_delay_alu instid0(VALU_DEP_1)
	v_dual_add_f32 v6, v21, v6 :: v_dual_lshlrev_b32 v23, 2, v23
	v_add_f32_e32 v5, v13, v5
	s_waitcnt lgkmcnt(0)
	v_add_f32_e32 v3, v14, v3
	ds_bpermute_b32 v14, v23, v4
	s_waitcnt lgkmcnt(0)
	v_dual_add_f32 v4, v4, v14 :: v_dual_add_f32 v13, v15, v17
	ds_bpermute_b32 v17, v23, v6
	v_add_f32_e32 v7, v16, v7
	ds_bpermute_b32 v20, v23, v13
	s_waitcnt lgkmcnt(1)
	v_dual_add_f32 v6, v6, v17 :: v_dual_add_f32 v15, v19, v22
	ds_bpermute_b32 v19, v23, v8
	ds_bpermute_b32 v18, v23, v7
	;; [unrolled: 1-line block ×4, first 2 shown]
	s_waitcnt lgkmcnt(3)
	v_add_f32_e32 v8, v8, v19
	ds_bpermute_b32 v16, v23, v5
	v_xor_b32_e32 v23, 8, v2
	s_delay_alu instid0(VALU_DEP_1) | instskip(SKIP_1) | instid1(VALU_DEP_1)
	v_cmp_gt_i32_e32 vcc_lo, 32, v23
	v_cndmask_b32_e32 v23, v2, v23, vcc_lo
	v_lshlrev_b32_e32 v23, 2, v23
	ds_bpermute_b32 v17, v23, v6
	s_waitcnt lgkmcnt(0)
	v_add_f32_e32 v6, v6, v17
	v_add_f32_e32 v14, v15, v21
	ds_bpermute_b32 v21, v23, v14
	s_waitcnt lgkmcnt(0)
	v_add_f32_e32 v14, v14, v21
	ds_bpermute_b32 v15, v23, v4
	ds_bpermute_b32 v19, v23, v8
	v_add_f32_e32 v5, v5, v16
	v_add_f32_e32 v3, v3, v22
	ds_bpermute_b32 v22, v23, v3
	s_waitcnt lgkmcnt(2)
	v_dual_add_f32 v4, v4, v15 :: v_dual_add_f32 v7, v7, v18
	s_waitcnt lgkmcnt(1)
	v_dual_add_f32 v8, v8, v19 :: v_dual_add_f32 v13, v13, v20
	ds_bpermute_b32 v16, v23, v5
	ds_bpermute_b32 v18, v23, v7
	;; [unrolled: 1-line block ×3, first 2 shown]
	v_xor_b32_e32 v23, 4, v2
	s_delay_alu instid0(VALU_DEP_1) | instskip(SKIP_1) | instid1(VALU_DEP_1)
	v_cmp_gt_i32_e32 vcc_lo, 32, v23
	v_cndmask_b32_e32 v23, v2, v23, vcc_lo
	v_lshlrev_b32_e32 v23, 2, v23
	s_waitcnt lgkmcnt(2)
	v_add_f32_e32 v5, v5, v16
	ds_bpermute_b32 v15, v23, v4
	ds_bpermute_b32 v16, v23, v5
	;; [unrolled: 1-line block ×5, first 2 shown]
	s_waitcnt lgkmcnt(4)
	v_dual_add_f32 v4, v4, v15 :: v_dual_add_f32 v7, v7, v18
	s_waitcnt lgkmcnt(2)
	v_dual_add_f32 v5, v5, v16 :: v_dual_add_f32 v8, v8, v19
	v_add_f32_e32 v13, v13, v20
	s_waitcnt lgkmcnt(0)
	v_add_f32_e32 v15, v6, v17
	ds_bpermute_b32 v18, v23, v7
	ds_bpermute_b32 v20, v23, v13
	s_waitcnt lgkmcnt(1)
	v_add_f32_e32 v16, v7, v18
	v_dual_add_f32 v18, v14, v21 :: v_dual_add_f32 v3, v3, v22
	s_waitcnt lgkmcnt(0)
	v_add_f32_e32 v17, v13, v20
	ds_bpermute_b32 v22, v23, v3
	v_xor_b32_e32 v23, 2, v2
	s_delay_alu instid0(VALU_DEP_1) | instskip(SKIP_1) | instid1(VALU_DEP_1)
	v_cmp_gt_i32_e32 vcc_lo, 32, v23
	v_cndmask_b32_e32 v23, v2, v23, vcc_lo
	v_lshlrev_b32_e32 v23, 2, v23
	s_waitcnt lgkmcnt(0)
	v_add_f32_e32 v19, v3, v22
	ds_bpermute_b32 v3, v23, v4
	ds_bpermute_b32 v6, v23, v5
	;; [unrolled: 1-line block ×8, first 2 shown]
	v_xor_b32_e32 v23, 1, v2
	s_delay_alu instid0(VALU_DEP_1) | instskip(SKIP_4) | instid1(VALU_DEP_3)
	v_cmp_gt_i32_e32 vcc_lo, 32, v23
	v_cndmask_b32_e32 v2, v2, v23, vcc_lo
	v_cmp_eq_u32_e32 vcc_lo, 63, v0
	s_waitcnt lgkmcnt(5)
	v_dual_add_f32 v6, v5, v6 :: v_dual_add_f32 v7, v15, v7
	v_dual_add_f32 v2, v4, v3 :: v_dual_lshlrev_b32 v23, 2, v2
	s_waitcnt lgkmcnt(4)
	v_add_f32_e32 v13, v16, v13
	s_waitcnt lgkmcnt(2)
	v_dual_add_f32 v14, v8, v14 :: v_dual_add_f32 v15, v17, v20
	s_waitcnt lgkmcnt(1)
	v_add_f32_e32 v3, v18, v21
	s_waitcnt lgkmcnt(0)
	v_add_f32_e32 v5, v19, v22
	ds_bpermute_b32 v4, v23, v2
	ds_bpermute_b32 v8, v23, v6
	;; [unrolled: 1-line block ×8, first 2 shown]
	s_and_b32 exec_lo, exec_lo, vcc_lo
	s_cbranch_execz .LBB98_29
; %bb.25:
	s_load_b64 s[2:3], s[0:1], 0x38
	v_cmp_eq_f32_e32 vcc_lo, 0, v11
	v_cmp_eq_f32_e64 s0, 0, v12
	s_waitcnt lgkmcnt(0)
	v_add_f32_e32 v4, v2, v4
	v_dual_add_f32 v8, v6, v8 :: v_dual_add_f32 v5, v5, v17
	v_dual_add_f32 v0, v7, v18 :: v_dual_add_f32 v7, v13, v19
	v_add_f32_e32 v2, v14, v20
	v_add_f32_e32 v6, v15, v21
	;; [unrolled: 1-line block ×3, first 2 shown]
	s_and_b32 s0, vcc_lo, s0
	s_delay_alu instid0(SALU_CYCLE_1) | instskip(NEXT) | instid1(SALU_CYCLE_1)
	s_and_saveexec_b32 s1, s0
	s_xor_b32 s0, exec_lo, s1
	s_cbranch_execz .LBB98_27
; %bb.26:
	v_mul_f32_e64 v11, v8, -v10
	v_mul_f32_e32 v12, v8, v9
	v_mul_f32_e64 v13, v7, -v10
	v_mul_f32_e32 v14, v7, v9
	v_mul_f32_e64 v15, v6, -v10
	v_fmac_f32_e32 v11, v9, v4
	v_dual_fmac_f32 v12, v10, v4 :: v_dual_lshlrev_b32 v17, 2, v1
	s_delay_alu instid0(VALU_DEP_3) | instskip(SKIP_1) | instid1(VALU_DEP_3)
	v_dual_mul_f32 v16, v6, v9 :: v_dual_fmac_f32 v15, v9, v2
	v_fmac_f32_e32 v13, v9, v0
	v_ashrrev_i32_e32 v18, 31, v17
                                        ; implicit-def: $vgpr1
                                        ; implicit-def: $vgpr4
                                        ; implicit-def: $vgpr8
	s_delay_alu instid0(VALU_DEP_3) | instskip(NEXT) | instid1(VALU_DEP_2)
	v_fmac_f32_e32 v16, v10, v2
                                        ; implicit-def: $vgpr2
	v_lshlrev_b64 v[6:7], 3, v[17:18]
	v_mul_f32_e64 v17, v5, -v10
	v_mul_f32_e32 v18, v5, v9
	v_fmac_f32_e32 v14, v10, v0
                                        ; implicit-def: $vgpr0
                                        ; implicit-def: $vgpr5
	s_delay_alu instid0(VALU_DEP_3)
	v_fmac_f32_e32 v17, v9, v3
	v_add_co_u32 v6, vcc_lo, s2, v6
	v_add_co_ci_u32_e32 v7, vcc_lo, s3, v7, vcc_lo
	v_fmac_f32_e32 v18, v10, v3
	s_clause 0x1
	global_store_b128 v[6:7], v[11:14], off
	global_store_b128 v[6:7], v[15:18], off offset:16
                                        ; implicit-def: $vgpr9
                                        ; implicit-def: $vgpr10
                                        ; implicit-def: $vgpr11
                                        ; implicit-def: $vgpr12
                                        ; implicit-def: $vgpr7
                                        ; implicit-def: $vgpr6
                                        ; implicit-def: $vgpr3
.LBB98_27:
	s_and_not1_saveexec_b32 s0, s0
	s_cbranch_execz .LBB98_29
; %bb.28:
	v_mul_f32_e32 v22, v8, v9
	v_lshlrev_b32_e32 v13, 2, v1
	v_mul_f32_e64 v1, v8, -v10
	v_mul_f32_e64 v23, v7, -v10
	v_mul_f32_e32 v24, v7, v9
	v_mul_f32_e64 v7, v6, -v10
	s_delay_alu instid0(VALU_DEP_4) | instskip(SKIP_2) | instid1(VALU_DEP_4)
	v_dual_mul_f32 v6, v6, v9 :: v_dual_fmac_f32 v1, v9, v4
	v_fmac_f32_e32 v22, v10, v4
	v_ashrrev_i32_e32 v14, 31, v13
	v_fmac_f32_e32 v7, v9, v2
	v_mul_f32_e64 v27, v5, -v10
	v_fmac_f32_e32 v23, v9, v0
	v_fmac_f32_e32 v24, v10, v0
	v_lshlrev_b64 v[13:14], 3, v[13:14]
	s_delay_alu instid0(VALU_DEP_4) | instskip(NEXT) | instid1(VALU_DEP_2)
	v_fmac_f32_e32 v27, v9, v3
	v_add_co_u32 v25, vcc_lo, s2, v13
	s_delay_alu instid0(VALU_DEP_3)
	v_add_co_ci_u32_e32 v26, vcc_lo, s3, v14, vcc_lo
	s_clause 0x1
	global_load_b128 v[13:16], v[25:26], off
	global_load_b128 v[17:20], v[25:26], off offset:16
	v_mul_f32_e32 v8, v5, v9
	s_waitcnt vmcnt(1)
	v_dual_fmac_f32 v6, v10, v2 :: v_dual_fmac_f32 v1, v11, v13
	v_fmac_f32_e32 v23, v11, v15
	s_waitcnt vmcnt(0)
	v_dual_fmac_f32 v8, v10, v3 :: v_dual_fmac_f32 v7, v11, v17
	v_dual_fmac_f32 v22, v12, v13 :: v_dual_fmac_f32 v27, v11, v19
	v_fmac_f32_e32 v24, v12, v15
	v_fmac_f32_e32 v6, v12, v17
	s_delay_alu instid0(VALU_DEP_4)
	v_fmac_f32_e32 v8, v12, v19
	v_fma_f32 v21, -v12, v14, v1
	v_fmac_f32_e32 v22, v11, v14
	v_fma_f32 v23, -v12, v16, v23
	;; [unrolled: 2-line block ×4, first 2 shown]
	v_fmac_f32_e32 v8, v11, v20
	s_clause 0x1
	global_store_b128 v[25:26], v[21:24], off
	global_store_b128 v[25:26], v[5:8], off offset:16
.LBB98_29:
	s_nop 0
	s_sendmsg sendmsg(MSG_DEALLOC_VGPRS)
	s_endpgm
	.section	.rodata,"a",@progbits
	.p2align	6, 0x0
	.amdhsa_kernel _ZN9rocsparseL19gebsrmvn_4xn_kernelILj128ELj6ELj64E21rocsparse_complex_numIfEEEvi20rocsparse_direction_NS_24const_host_device_scalarIT2_EEPKiS8_PKS5_SA_S6_PS5_21rocsparse_index_base_b
		.amdhsa_group_segment_fixed_size 0
		.amdhsa_private_segment_fixed_size 0
		.amdhsa_kernarg_size 72
		.amdhsa_user_sgpr_count 15
		.amdhsa_user_sgpr_dispatch_ptr 0
		.amdhsa_user_sgpr_queue_ptr 0
		.amdhsa_user_sgpr_kernarg_segment_ptr 1
		.amdhsa_user_sgpr_dispatch_id 0
		.amdhsa_user_sgpr_private_segment_size 0
		.amdhsa_wavefront_size32 1
		.amdhsa_uses_dynamic_stack 0
		.amdhsa_enable_private_segment 0
		.amdhsa_system_sgpr_workgroup_id_x 1
		.amdhsa_system_sgpr_workgroup_id_y 0
		.amdhsa_system_sgpr_workgroup_id_z 0
		.amdhsa_system_sgpr_workgroup_info 0
		.amdhsa_system_vgpr_workitem_id 0
		.amdhsa_next_free_vgpr 82
		.amdhsa_next_free_sgpr 16
		.amdhsa_reserve_vcc 1
		.amdhsa_float_round_mode_32 0
		.amdhsa_float_round_mode_16_64 0
		.amdhsa_float_denorm_mode_32 3
		.amdhsa_float_denorm_mode_16_64 3
		.amdhsa_dx10_clamp 1
		.amdhsa_ieee_mode 1
		.amdhsa_fp16_overflow 0
		.amdhsa_workgroup_processor_mode 1
		.amdhsa_memory_ordered 1
		.amdhsa_forward_progress 0
		.amdhsa_shared_vgpr_count 0
		.amdhsa_exception_fp_ieee_invalid_op 0
		.amdhsa_exception_fp_denorm_src 0
		.amdhsa_exception_fp_ieee_div_zero 0
		.amdhsa_exception_fp_ieee_overflow 0
		.amdhsa_exception_fp_ieee_underflow 0
		.amdhsa_exception_fp_ieee_inexact 0
		.amdhsa_exception_int_div_zero 0
	.end_amdhsa_kernel
	.section	.text._ZN9rocsparseL19gebsrmvn_4xn_kernelILj128ELj6ELj64E21rocsparse_complex_numIfEEEvi20rocsparse_direction_NS_24const_host_device_scalarIT2_EEPKiS8_PKS5_SA_S6_PS5_21rocsparse_index_base_b,"axG",@progbits,_ZN9rocsparseL19gebsrmvn_4xn_kernelILj128ELj6ELj64E21rocsparse_complex_numIfEEEvi20rocsparse_direction_NS_24const_host_device_scalarIT2_EEPKiS8_PKS5_SA_S6_PS5_21rocsparse_index_base_b,comdat
.Lfunc_end98:
	.size	_ZN9rocsparseL19gebsrmvn_4xn_kernelILj128ELj6ELj64E21rocsparse_complex_numIfEEEvi20rocsparse_direction_NS_24const_host_device_scalarIT2_EEPKiS8_PKS5_SA_S6_PS5_21rocsparse_index_base_b, .Lfunc_end98-_ZN9rocsparseL19gebsrmvn_4xn_kernelILj128ELj6ELj64E21rocsparse_complex_numIfEEEvi20rocsparse_direction_NS_24const_host_device_scalarIT2_EEPKiS8_PKS5_SA_S6_PS5_21rocsparse_index_base_b
                                        ; -- End function
	.section	.AMDGPU.csdata,"",@progbits
; Kernel info:
; codeLenInByte = 4296
; NumSgprs: 18
; NumVgprs: 82
; ScratchSize: 0
; MemoryBound: 0
; FloatMode: 240
; IeeeMode: 1
; LDSByteSize: 0 bytes/workgroup (compile time only)
; SGPRBlocks: 2
; VGPRBlocks: 10
; NumSGPRsForWavesPerEU: 18
; NumVGPRsForWavesPerEU: 82
; Occupancy: 16
; WaveLimiterHint : 1
; COMPUTE_PGM_RSRC2:SCRATCH_EN: 0
; COMPUTE_PGM_RSRC2:USER_SGPR: 15
; COMPUTE_PGM_RSRC2:TRAP_HANDLER: 0
; COMPUTE_PGM_RSRC2:TGID_X_EN: 1
; COMPUTE_PGM_RSRC2:TGID_Y_EN: 0
; COMPUTE_PGM_RSRC2:TGID_Z_EN: 0
; COMPUTE_PGM_RSRC2:TIDIG_COMP_CNT: 0
	.section	.text._ZN9rocsparseL19gebsrmvn_4xn_kernelILj128ELj7ELj4E21rocsparse_complex_numIfEEEvi20rocsparse_direction_NS_24const_host_device_scalarIT2_EEPKiS8_PKS5_SA_S6_PS5_21rocsparse_index_base_b,"axG",@progbits,_ZN9rocsparseL19gebsrmvn_4xn_kernelILj128ELj7ELj4E21rocsparse_complex_numIfEEEvi20rocsparse_direction_NS_24const_host_device_scalarIT2_EEPKiS8_PKS5_SA_S6_PS5_21rocsparse_index_base_b,comdat
	.globl	_ZN9rocsparseL19gebsrmvn_4xn_kernelILj128ELj7ELj4E21rocsparse_complex_numIfEEEvi20rocsparse_direction_NS_24const_host_device_scalarIT2_EEPKiS8_PKS5_SA_S6_PS5_21rocsparse_index_base_b ; -- Begin function _ZN9rocsparseL19gebsrmvn_4xn_kernelILj128ELj7ELj4E21rocsparse_complex_numIfEEEvi20rocsparse_direction_NS_24const_host_device_scalarIT2_EEPKiS8_PKS5_SA_S6_PS5_21rocsparse_index_base_b
	.p2align	8
	.type	_ZN9rocsparseL19gebsrmvn_4xn_kernelILj128ELj7ELj4E21rocsparse_complex_numIfEEEvi20rocsparse_direction_NS_24const_host_device_scalarIT2_EEPKiS8_PKS5_SA_S6_PS5_21rocsparse_index_base_b,@function
_ZN9rocsparseL19gebsrmvn_4xn_kernelILj128ELj7ELj4E21rocsparse_complex_numIfEEEvi20rocsparse_direction_NS_24const_host_device_scalarIT2_EEPKiS8_PKS5_SA_S6_PS5_21rocsparse_index_base_b: ; @_ZN9rocsparseL19gebsrmvn_4xn_kernelILj128ELj7ELj4E21rocsparse_complex_numIfEEEvi20rocsparse_direction_NS_24const_host_device_scalarIT2_EEPKiS8_PKS5_SA_S6_PS5_21rocsparse_index_base_b
; %bb.0:
	s_clause 0x2
	s_load_b64 s[12:13], s[0:1], 0x40
	s_load_b64 s[4:5], s[0:1], 0x8
	;; [unrolled: 1-line block ×3, first 2 shown]
	s_waitcnt lgkmcnt(0)
	s_bitcmp1_b32 s13, 0
	v_mov_b32_e32 v9, s4
	s_cselect_b32 s6, -1, 0
	s_delay_alu instid0(SALU_CYCLE_1)
	s_and_b32 vcc_lo, exec_lo, s6
	s_xor_b32 s6, s6, -1
	s_cbranch_vccz .LBB99_17
; %bb.1:
	v_cndmask_b32_e64 v1, 0, 1, s6
	v_mov_b32_e32 v10, s5
	s_and_not1_b32 vcc_lo, exec_lo, s6
	s_cbranch_vccz .LBB99_18
.LBB99_2:
	s_delay_alu instid0(VALU_DEP_2)
	v_cmp_ne_u32_e32 vcc_lo, 1, v1
	v_mov_b32_e32 v11, s2
	s_cbranch_vccz .LBB99_19
.LBB99_3:
	v_cmp_ne_u32_e32 vcc_lo, 1, v1
	v_mov_b32_e32 v12, s3
	s_cbranch_vccnz .LBB99_5
.LBB99_4:
	v_dual_mov_b32 v1, s2 :: v_dual_mov_b32 v2, s3
	flat_load_b32 v12, v[1:2] offset:4
.LBB99_5:
	s_waitcnt vmcnt(0) lgkmcnt(0)
	v_cmp_eq_f32_e32 vcc_lo, 0, v9
	v_cmp_eq_f32_e64 s2, 0, v10
	s_delay_alu instid0(VALU_DEP_1)
	s_and_b32 s4, vcc_lo, s2
	s_mov_b32 s2, -1
	s_and_saveexec_b32 s3, s4
; %bb.6:
	v_cmp_neq_f32_e32 vcc_lo, 1.0, v11
	v_cmp_neq_f32_e64 s2, 0, v12
	s_delay_alu instid0(VALU_DEP_1) | instskip(NEXT) | instid1(SALU_CYCLE_1)
	s_or_b32 s2, vcc_lo, s2
	s_or_not1_b32 s2, s2, exec_lo
; %bb.7:
	s_or_b32 exec_lo, exec_lo, s3
	s_and_saveexec_b32 s3, s2
	s_cbranch_execz .LBB99_37
; %bb.8:
	s_load_b64 s[2:3], s[0:1], 0x0
	v_lshrrev_b32_e32 v1, 2, v0
	s_delay_alu instid0(VALU_DEP_1) | instskip(SKIP_1) | instid1(VALU_DEP_1)
	v_lshl_or_b32 v1, s15, 5, v1
	s_waitcnt lgkmcnt(0)
	v_cmp_gt_i32_e32 vcc_lo, s2, v1
	s_and_b32 exec_lo, exec_lo, vcc_lo
	s_cbranch_execz .LBB99_37
; %bb.9:
	s_load_b256 s[4:11], s[0:1], 0x10
	v_ashrrev_i32_e32 v2, 31, v1
	v_and_b32_e32 v0, 3, v0
	s_cmp_lg_u32 s3, 0
	s_delay_alu instid0(VALU_DEP_2) | instskip(SKIP_1) | instid1(VALU_DEP_1)
	v_lshlrev_b64 v[2:3], 2, v[1:2]
	s_waitcnt lgkmcnt(0)
	v_add_co_u32 v2, vcc_lo, s4, v2
	s_delay_alu instid0(VALU_DEP_2) | instskip(SKIP_4) | instid1(VALU_DEP_2)
	v_add_co_ci_u32_e32 v3, vcc_lo, s5, v3, vcc_lo
	global_load_b64 v[3:4], v[2:3], off
	s_waitcnt vmcnt(0)
	v_subrev_nc_u32_e32 v2, s12, v3
	v_subrev_nc_u32_e32 v13, s12, v4
	v_add_nc_u32_e32 v2, v2, v0
	s_delay_alu instid0(VALU_DEP_1)
	v_cmp_lt_i32_e64 s2, v2, v13
	s_cbranch_scc0 .LBB99_20
; %bb.10:
	v_dual_mov_b32 v8, 0 :: v_dual_mov_b32 v15, 0
	v_dual_mov_b32 v14, 0 :: v_dual_mov_b32 v17, 0
	;; [unrolled: 1-line block ×3, first 2 shown]
	v_mov_b32_e32 v18, 0
	v_mov_b32_e32 v20, 0
	s_mov_b32 s3, 0
	s_and_saveexec_b32 s4, s2
	s_cbranch_execz .LBB99_22
; %bb.11:
	v_mul_lo_u32 v21, v2, 28
	v_dual_mov_b32 v5, 0 :: v_dual_mov_b32 v6, v2
	v_dual_mov_b32 v8, 0 :: v_dual_mov_b32 v15, 0
	;; [unrolled: 1-line block ×4, first 2 shown]
	v_mov_b32_e32 v18, 0
	v_mov_b32_e32 v20, 0
	s_mov_b32 s5, 0
	s_branch .LBB99_13
.LBB99_12:                              ;   in Loop: Header=BB99_13 Depth=1
	v_add_nc_u32_e32 v6, 4, v6
	v_add_nc_u32_e32 v21, 0x70, v21
	s_delay_alu instid0(VALU_DEP_2) | instskip(SKIP_1) | instid1(SALU_CYCLE_1)
	v_cmp_ge_i32_e32 vcc_lo, v6, v13
	s_or_b32 s5, vcc_lo, s5
	s_and_not1_b32 exec_lo, exec_lo, s5
	s_cbranch_execz .LBB99_21
.LBB99_13:                              ; =>This Loop Header: Depth=1
                                        ;     Child Loop BB99_15 Depth 2
	v_ashrrev_i32_e32 v7, 31, v6
	v_mov_b32_e32 v4, v21
	v_dual_mov_b32 v28, v14 :: v_dual_mov_b32 v27, v15
	v_dual_mov_b32 v26, v16 :: v_dual_mov_b32 v29, v17
	s_delay_alu instid0(VALU_DEP_4) | instskip(SKIP_3) | instid1(VALU_DEP_3)
	v_lshlrev_b64 v[22:23], 2, v[6:7]
	v_dual_mov_b32 v25, v18 :: v_dual_mov_b32 v30, v19
	v_mov_b32_e32 v24, v20
	s_mov_b32 s13, 0
	v_add_co_u32 v22, vcc_lo, s6, v22
	s_delay_alu instid0(VALU_DEP_4) | instskip(SKIP_4) | instid1(VALU_DEP_1)
	v_add_co_ci_u32_e32 v23, vcc_lo, s7, v23, vcc_lo
	global_load_b32 v7, v[22:23], off
	v_mov_b32_e32 v23, v8
	s_waitcnt vmcnt(0)
	v_subrev_nc_u32_e32 v7, s12, v7
	v_mul_lo_u32 v22, v7, 7
	s_branch .LBB99_15
.LBB99_14:                              ;   in Loop: Header=BB99_13 Depth=1
                                        ; implicit-def: $vgpr24
                                        ; implicit-def: $vgpr30
                                        ; implicit-def: $vgpr25
                                        ; implicit-def: $vgpr29
                                        ; implicit-def: $vgpr26
                                        ; implicit-def: $vgpr27
                                        ; implicit-def: $vgpr28
                                        ; implicit-def: $vgpr23
                                        ; implicit-def: $sgpr13
	s_branch .LBB99_12
.LBB99_15:                              ;   Parent Loop BB99_13 Depth=1
                                        ; =>  This Inner Loop Header: Depth=2
	s_delay_alu instid0(VALU_DEP_1) | instskip(SKIP_2) | instid1(VALU_DEP_2)
	v_dual_mov_b32 v8, v5 :: v_dual_add_nc_u32 v7, s13, v22
	v_lshlrev_b64 v[14:15], 3, v[4:5]
	s_cmp_eq_u32 s13, 6
	v_lshlrev_b64 v[16:17], 3, v[7:8]
	s_delay_alu instid0(VALU_DEP_2) | instskip(NEXT) | instid1(VALU_DEP_3)
	v_add_co_u32 v14, vcc_lo, s8, v14
	v_add_co_ci_u32_e32 v15, vcc_lo, s9, v15, vcc_lo
	s_delay_alu instid0(VALU_DEP_3) | instskip(NEXT) | instid1(VALU_DEP_4)
	v_add_co_u32 v16, vcc_lo, s10, v16
	v_add_co_ci_u32_e32 v17, vcc_lo, s11, v17, vcc_lo
	global_load_b128 v[31:34], v[14:15], off
	global_load_b64 v[39:40], v[16:17], off
	global_load_b128 v[35:38], v[14:15], off offset:16
	s_waitcnt vmcnt(1)
	v_fmac_f32_e32 v24, v34, v39
	s_waitcnt vmcnt(0)
	v_fmac_f32_e32 v25, v36, v39
	v_fmac_f32_e32 v23, v32, v39
	;; [unrolled: 1-line block ×5, first 2 shown]
	v_dual_mov_b32 v18, v25 :: v_dual_fmac_f32 v29, v35, v39
	v_dual_mov_b32 v20, v24 :: v_dual_fmac_f32 v27, v37, v39
	v_mov_b32_e32 v16, v26
	v_mov_b32_e32 v8, v23
	v_fma_f32 v14, -v32, v40, v28
	v_fma_f32 v19, -v34, v40, v30
	;; [unrolled: 1-line block ×4, first 2 shown]
	v_fmac_f32_e32 v8, v31, v40
	v_fmac_f32_e32 v20, v33, v40
	;; [unrolled: 1-line block ×4, first 2 shown]
	s_cbranch_scc1 .LBB99_14
; %bb.16:                               ;   in Loop: Header=BB99_15 Depth=2
	v_dual_mov_b32 v24, v5 :: v_dual_add_nc_u32 v23, 4, v4
	v_dual_mov_b32 v26, v5 :: v_dual_add_nc_u32 v25, 1, v7
	v_add_nc_u32_e32 v4, 8, v4
	s_delay_alu instid0(VALU_DEP_3) | instskip(SKIP_1) | instid1(VALU_DEP_3)
	v_lshlrev_b64 v[23:24], 3, v[23:24]
	s_add_i32 s13, s13, 2
	v_lshlrev_b64 v[25:26], 3, v[25:26]
	s_delay_alu instid0(VALU_DEP_2) | instskip(NEXT) | instid1(VALU_DEP_3)
	v_add_co_u32 v23, vcc_lo, s8, v23
	v_add_co_ci_u32_e32 v24, vcc_lo, s9, v24, vcc_lo
	s_delay_alu instid0(VALU_DEP_3) | instskip(NEXT) | instid1(VALU_DEP_4)
	v_add_co_u32 v25, vcc_lo, s10, v25
	v_add_co_ci_u32_e32 v26, vcc_lo, s11, v26, vcc_lo
	global_load_b128 v[27:30], v[23:24], off
	global_load_b64 v[35:36], v[25:26], off
	global_load_b128 v[31:34], v[23:24], off offset:16
	s_waitcnt vmcnt(1)
	v_fma_f32 v7, v27, v35, v14
	v_fma_f32 v23, v28, v35, v8
	;; [unrolled: 1-line block ×4, first 2 shown]
	s_waitcnt vmcnt(0)
	v_fma_f32 v38, v31, v35, v17
	v_fma_f32 v25, v32, v35, v18
	;; [unrolled: 1-line block ×4, first 2 shown]
	v_fma_f32 v28, -v28, v36, v7
	v_fmac_f32_e32 v23, v27, v36
	v_fma_f32 v30, -v30, v36, v37
	v_fmac_f32_e32 v24, v29, v36
	;; [unrolled: 2-line block ×4, first 2 shown]
	s_cbranch_execnz .LBB99_15
	s_branch .LBB99_12
.LBB99_17:
	v_dual_mov_b32 v1, s4 :: v_dual_mov_b32 v2, s5
	flat_load_b32 v9, v[1:2]
	v_cndmask_b32_e64 v1, 0, 1, s6
	v_mov_b32_e32 v10, s5
	s_and_not1_b32 vcc_lo, exec_lo, s6
	s_cbranch_vccnz .LBB99_2
.LBB99_18:
	v_dual_mov_b32 v2, s4 :: v_dual_mov_b32 v3, s5
	flat_load_b32 v10, v[2:3] offset:4
	v_cmp_ne_u32_e32 vcc_lo, 1, v1
	v_mov_b32_e32 v11, s2
	s_cbranch_vccnz .LBB99_3
.LBB99_19:
	v_dual_mov_b32 v2, s2 :: v_dual_mov_b32 v3, s3
	flat_load_b32 v11, v[2:3]
	v_cmp_ne_u32_e32 vcc_lo, 1, v1
	v_mov_b32_e32 v12, s3
	s_cbranch_vccz .LBB99_4
	s_branch .LBB99_5
.LBB99_20:
                                        ; implicit-def: $vgpr8
                                        ; implicit-def: $vgpr14
                                        ; implicit-def: $vgpr15
                                        ; implicit-def: $vgpr16
                                        ; implicit-def: $vgpr17
                                        ; implicit-def: $vgpr18
                                        ; implicit-def: $vgpr19
                                        ; implicit-def: $vgpr20
	s_branch .LBB99_23
.LBB99_21:
	s_or_b32 exec_lo, exec_lo, s5
.LBB99_22:
	s_delay_alu instid0(SALU_CYCLE_1) | instskip(NEXT) | instid1(SALU_CYCLE_1)
	s_or_b32 exec_lo, exec_lo, s4
	s_and_not1_b32 vcc_lo, exec_lo, s3
	s_cbranch_vccnz .LBB99_32
.LBB99_23:
	v_dual_mov_b32 v8, 0 :: v_dual_mov_b32 v15, 0
	v_dual_mov_b32 v14, 0 :: v_dual_mov_b32 v17, 0
	;; [unrolled: 1-line block ×3, first 2 shown]
	v_mov_b32_e32 v18, 0
	v_mov_b32_e32 v20, 0
	s_and_saveexec_b32 s3, s2
	s_cbranch_execz .LBB99_31
; %bb.24:
	v_mul_lo_u32 v3, v3, 28
	v_mul_lo_u32 v5, v2, 28
	s_mul_i32 s2, s12, 28
	v_dual_mov_b32 v4, 0 :: v_dual_mov_b32 v15, 0
	v_dual_mov_b32 v8, 0 :: v_dual_mov_b32 v17, 0
	v_dual_mov_b32 v14, 0 :: v_dual_mov_b32 v19, 0
	v_mad_u32_u24 v3, v0, 28, v3
	v_mov_b32_e32 v16, 0
	v_mov_b32_e32 v18, 0
	;; [unrolled: 1-line block ×3, first 2 shown]
	s_delay_alu instid0(VALU_DEP_4)
	v_subrev_nc_u32_e32 v6, s2, v3
	s_mov_b32 s2, 0
	s_branch .LBB99_26
.LBB99_25:                              ;   in Loop: Header=BB99_26 Depth=1
	v_add_nc_u32_e32 v2, 4, v2
	v_add_nc_u32_e32 v5, 0x70, v5
	;; [unrolled: 1-line block ×3, first 2 shown]
	s_delay_alu instid0(VALU_DEP_3) | instskip(SKIP_1) | instid1(SALU_CYCLE_1)
	v_cmp_ge_i32_e32 vcc_lo, v2, v13
	s_or_b32 s2, vcc_lo, s2
	s_and_not1_b32 exec_lo, exec_lo, s2
	s_cbranch_execz .LBB99_30
.LBB99_26:                              ; =>This Loop Header: Depth=1
                                        ;     Child Loop BB99_28 Depth 2
	v_ashrrev_i32_e32 v3, 31, v2
	v_dual_mov_b32 v27, v15 :: v_dual_mov_b32 v28, v17
	v_dual_mov_b32 v25, v16 :: v_dual_mov_b32 v24, v18
	s_delay_alu instid0(VALU_DEP_3) | instskip(SKIP_2) | instid1(VALU_DEP_2)
	v_lshlrev_b64 v[21:22], 2, v[2:3]
	v_dual_mov_b32 v26, v19 :: v_dual_mov_b32 v23, v20
	s_mov_b32 s4, 0
	v_add_co_u32 v21, vcc_lo, s6, v21
	s_delay_alu instid0(VALU_DEP_3) | instskip(SKIP_4) | instid1(VALU_DEP_1)
	v_add_co_ci_u32_e32 v22, vcc_lo, s7, v22, vcc_lo
	global_load_b32 v3, v[21:22], off
	v_dual_mov_b32 v21, v8 :: v_dual_mov_b32 v22, v14
	s_waitcnt vmcnt(0)
	v_subrev_nc_u32_e32 v3, s12, v3
	v_mul_lo_u32 v7, v3, 7
	s_branch .LBB99_28
.LBB99_27:                              ;   in Loop: Header=BB99_26 Depth=1
                                        ; implicit-def: $vgpr23
                                        ; implicit-def: $vgpr26
                                        ; implicit-def: $vgpr24
                                        ; implicit-def: $vgpr28
                                        ; implicit-def: $vgpr25
                                        ; implicit-def: $vgpr27
                                        ; implicit-def: $vgpr22
                                        ; implicit-def: $vgpr21
                                        ; implicit-def: $sgpr4
	s_branch .LBB99_25
.LBB99_28:                              ;   Parent Loop BB99_26 Depth=1
                                        ; =>  This Inner Loop Header: Depth=2
	v_add_nc_u32_e32 v3, s4, v6
	s_cmp_eq_u32 s4, 6
	v_mov_b32_e32 v33, v4
	s_delay_alu instid0(VALU_DEP_2) | instskip(NEXT) | instid1(VALU_DEP_4)
	v_lshlrev_b64 v[14:15], 3, v[3:4]
	v_add_nc_u32_e32 v3, s4, v7
	s_delay_alu instid0(VALU_DEP_1) | instskip(NEXT) | instid1(VALU_DEP_3)
	v_lshlrev_b64 v[30:31], 3, v[3:4]
	v_add_co_u32 v14, vcc_lo, s8, v14
	s_delay_alu instid0(VALU_DEP_4) | instskip(NEXT) | instid1(VALU_DEP_3)
	v_add_co_ci_u32_e32 v15, vcc_lo, s9, v15, vcc_lo
	v_add_co_u32 v30, vcc_lo, s10, v30
	s_delay_alu instid0(VALU_DEP_4) | instskip(SKIP_4) | instid1(VALU_DEP_1)
	v_add_co_ci_u32_e32 v31, vcc_lo, s11, v31, vcc_lo
	global_load_b64 v[34:35], v[14:15], off
	global_load_b64 v[30:31], v[30:31], off
	s_waitcnt vmcnt(0)
	v_dual_fmac_f32 v22, v34, v30 :: v_dual_add_nc_u32 v29, s4, v5
	v_dual_mov_b32 v17, v4 :: v_dual_add_nc_u32 v16, 7, v29
	v_dual_mov_b32 v19, v4 :: v_dual_add_nc_u32 v18, 14, v29
	v_add_nc_u32_e32 v32, 21, v29
	s_delay_alu instid0(VALU_DEP_3) | instskip(NEXT) | instid1(VALU_DEP_3)
	v_lshlrev_b64 v[16:17], 3, v[16:17]
	v_lshlrev_b64 v[18:19], 3, v[18:19]
	s_delay_alu instid0(VALU_DEP_2) | instskip(NEXT) | instid1(VALU_DEP_3)
	v_add_co_u32 v14, vcc_lo, s8, v16
	v_add_co_ci_u32_e32 v15, vcc_lo, s9, v17, vcc_lo
	v_lshlrev_b64 v[16:17], 3, v[32:33]
	s_delay_alu instid0(VALU_DEP_4) | instskip(SKIP_1) | instid1(VALU_DEP_3)
	v_add_co_u32 v18, vcc_lo, s8, v18
	v_add_co_ci_u32_e32 v19, vcc_lo, s9, v19, vcc_lo
	v_add_co_u32 v16, vcc_lo, s8, v16
	s_delay_alu instid0(VALU_DEP_4)
	v_add_co_ci_u32_e32 v17, vcc_lo, s9, v17, vcc_lo
	s_clause 0x2
	global_load_b64 v[32:33], v[14:15], off
	global_load_b64 v[36:37], v[18:19], off
	global_load_b64 v[38:39], v[16:17], off
	v_fma_f32 v14, -v35, v31, v22
	s_waitcnt vmcnt(2)
	v_fmac_f32_e32 v26, v32, v30
	s_waitcnt vmcnt(1)
	v_fmac_f32_e32 v24, v37, v30
	v_fmac_f32_e32 v21, v35, v30
	v_fmac_f32_e32 v28, v36, v30
	v_fma_f32 v19, -v33, v31, v26
	s_delay_alu instid0(VALU_DEP_4) | instskip(NEXT) | instid1(VALU_DEP_4)
	v_mov_b32_e32 v18, v24
	v_mov_b32_e32 v8, v21
	v_fmac_f32_e32 v23, v33, v30
	v_fma_f32 v17, -v37, v31, v28
	s_delay_alu instid0(VALU_DEP_4) | instskip(NEXT) | instid1(VALU_DEP_4)
	v_fmac_f32_e32 v18, v36, v31
	v_fmac_f32_e32 v8, v34, v31
	s_waitcnt vmcnt(0)
	v_dual_fmac_f32 v27, v38, v30 :: v_dual_mov_b32 v20, v23
	v_fmac_f32_e32 v25, v39, v30
	s_delay_alu instid0(VALU_DEP_2) | instskip(NEXT) | instid1(VALU_DEP_3)
	v_fma_f32 v15, -v39, v31, v27
	v_fmac_f32_e32 v20, v32, v31
	s_delay_alu instid0(VALU_DEP_3) | instskip(NEXT) | instid1(VALU_DEP_1)
	v_mov_b32_e32 v16, v25
	v_fmac_f32_e32 v16, v38, v31
	s_cbranch_scc1 .LBB99_27
; %bb.29:                               ;   in Loop: Header=BB99_28 Depth=2
	v_dual_mov_b32 v22, v4 :: v_dual_add_nc_u32 v3, 1, v3
	v_add_nc_u32_e32 v21, 1, v29
	s_add_i32 s4, s4, 2
	s_delay_alu instid0(VALU_DEP_2) | instskip(SKIP_1) | instid1(VALU_DEP_3)
	v_lshlrev_b64 v[23:24], 3, v[3:4]
	v_add_nc_u32_e32 v3, 8, v29
	v_lshlrev_b64 v[21:22], 3, v[21:22]
	s_delay_alu instid0(VALU_DEP_2) | instskip(SKIP_1) | instid1(VALU_DEP_3)
	v_lshlrev_b64 v[25:26], 3, v[3:4]
	v_add_nc_u32_e32 v3, 15, v29
	v_add_co_u32 v21, vcc_lo, s8, v21
	s_delay_alu instid0(VALU_DEP_4)
	v_add_co_ci_u32_e32 v22, vcc_lo, s9, v22, vcc_lo
	v_add_co_u32 v23, vcc_lo, s10, v23
	v_add_co_ci_u32_e32 v24, vcc_lo, s11, v24, vcc_lo
	v_add_co_u32 v25, vcc_lo, s8, v25
	v_lshlrev_b64 v[27:28], 3, v[3:4]
	v_add_nc_u32_e32 v3, 22, v29
	v_add_co_ci_u32_e32 v26, vcc_lo, s9, v26, vcc_lo
	global_load_b64 v[29:30], v[21:22], off
	global_load_b64 v[31:32], v[23:24], off
	;; [unrolled: 1-line block ×3, first 2 shown]
	v_lshlrev_b64 v[21:22], 3, v[3:4]
	v_add_co_u32 v23, vcc_lo, s8, v27
	v_add_co_ci_u32_e32 v24, vcc_lo, s9, v28, vcc_lo
	s_delay_alu instid0(VALU_DEP_3) | instskip(NEXT) | instid1(VALU_DEP_4)
	v_add_co_u32 v21, vcc_lo, s8, v21
	v_add_co_ci_u32_e32 v22, vcc_lo, s9, v22, vcc_lo
	s_clause 0x1
	global_load_b64 v[27:28], v[23:24], off
	global_load_b64 v[35:36], v[21:22], off
	s_waitcnt vmcnt(3)
	v_fma_f32 v3, v29, v31, v14
	v_fma_f32 v21, v30, v31, v8
	s_waitcnt vmcnt(2)
	v_fma_f32 v24, v33, v31, v19
	v_fma_f32 v23, v34, v31, v20
	v_fma_f32 v22, -v30, v32, v3
	v_fmac_f32_e32 v21, v29, v32
	s_delay_alu instid0(VALU_DEP_4) | instskip(NEXT) | instid1(VALU_DEP_4)
	v_fma_f32 v26, -v34, v32, v24
	v_fmac_f32_e32 v23, v33, v32
	s_waitcnt vmcnt(1)
	v_fma_f32 v3, v27, v31, v17
	v_fma_f32 v24, v28, v31, v18
	s_waitcnt vmcnt(0)
	v_fma_f32 v29, v35, v31, v15
	v_fma_f32 v25, v36, v31, v16
	v_fma_f32 v28, -v28, v32, v3
	v_fmac_f32_e32 v24, v27, v32
	s_delay_alu instid0(VALU_DEP_4) | instskip(NEXT) | instid1(VALU_DEP_4)
	v_fma_f32 v27, -v36, v32, v29
	v_fmac_f32_e32 v25, v35, v32
	s_cbranch_execnz .LBB99_28
	s_branch .LBB99_25
.LBB99_30:
	s_or_b32 exec_lo, exec_lo, s2
.LBB99_31:
	s_delay_alu instid0(SALU_CYCLE_1)
	s_or_b32 exec_lo, exec_lo, s3
.LBB99_32:
	v_mbcnt_lo_u32_b32 v2, -1, 0
	s_delay_alu instid0(VALU_DEP_1) | instskip(NEXT) | instid1(VALU_DEP_1)
	v_xor_b32_e32 v3, 2, v2
	v_cmp_gt_i32_e32 vcc_lo, 32, v3
	v_cndmask_b32_e32 v3, v2, v3, vcc_lo
	s_delay_alu instid0(VALU_DEP_1)
	v_lshlrev_b32_e32 v3, 2, v3
	ds_bpermute_b32 v4, v3, v14
	ds_bpermute_b32 v5, v3, v8
	ds_bpermute_b32 v7, v3, v19
	ds_bpermute_b32 v13, v3, v20
	ds_bpermute_b32 v21, v3, v17
	ds_bpermute_b32 v22, v3, v18
	ds_bpermute_b32 v23, v3, v15
	ds_bpermute_b32 v24, v3, v16
	v_xor_b32_e32 v3, 1, v2
	s_delay_alu instid0(VALU_DEP_1)
	v_cmp_gt_i32_e32 vcc_lo, 32, v3
	v_cndmask_b32_e32 v2, v2, v3, vcc_lo
	v_cmp_eq_u32_e32 vcc_lo, 3, v0
	s_waitcnt lgkmcnt(5)
	v_dual_add_f32 v6, v8, v5 :: v_dual_add_f32 v7, v19, v7
	s_waitcnt lgkmcnt(4)
	v_add_f32_e32 v13, v20, v13
	v_dual_add_f32 v2, v14, v4 :: v_dual_lshlrev_b32 v25, 2, v2
	s_waitcnt lgkmcnt(2)
	v_dual_add_f32 v14, v17, v21 :: v_dual_add_f32 v17, v18, v22
	s_waitcnt lgkmcnt(1)
	v_add_f32_e32 v3, v15, v23
	s_waitcnt lgkmcnt(0)
	v_add_f32_e32 v5, v16, v24
	ds_bpermute_b32 v4, v25, v2
	ds_bpermute_b32 v8, v25, v6
	;; [unrolled: 1-line block ×8, first 2 shown]
	s_and_b32 exec_lo, exec_lo, vcc_lo
	s_cbranch_execz .LBB99_37
; %bb.33:
	s_load_b64 s[2:3], s[0:1], 0x38
	v_cmp_eq_f32_e32 vcc_lo, 0, v11
	v_cmp_eq_f32_e64 s0, 0, v12
	s_waitcnt lgkmcnt(0)
	v_add_f32_e32 v4, v2, v4
	v_dual_add_f32 v8, v6, v8 :: v_dual_add_f32 v3, v3, v15
	v_dual_add_f32 v0, v7, v18 :: v_dual_add_f32 v5, v5, v16
	;; [unrolled: 1-line block ×3, first 2 shown]
	v_add_f32_e32 v6, v17, v21
	s_and_b32 s0, vcc_lo, s0
	s_delay_alu instid0(SALU_CYCLE_1) | instskip(NEXT) | instid1(SALU_CYCLE_1)
	s_and_saveexec_b32 s1, s0
	s_xor_b32 s0, exec_lo, s1
	s_cbranch_execz .LBB99_35
; %bb.34:
	v_mul_f32_e64 v11, v8, -v10
	v_mul_f32_e32 v12, v8, v9
	v_mul_f32_e64 v13, v7, -v10
	v_mul_f32_e32 v14, v7, v9
	v_mul_f32_e64 v15, v6, -v10
	v_fmac_f32_e32 v11, v9, v4
	v_dual_fmac_f32 v12, v10, v4 :: v_dual_lshlrev_b32 v17, 2, v1
	s_delay_alu instid0(VALU_DEP_3) | instskip(SKIP_1) | instid1(VALU_DEP_3)
	v_dual_mul_f32 v16, v6, v9 :: v_dual_fmac_f32 v15, v9, v2
	v_fmac_f32_e32 v13, v9, v0
	v_ashrrev_i32_e32 v18, 31, v17
                                        ; implicit-def: $vgpr1
                                        ; implicit-def: $vgpr4
                                        ; implicit-def: $vgpr8
	s_delay_alu instid0(VALU_DEP_3) | instskip(NEXT) | instid1(VALU_DEP_2)
	v_fmac_f32_e32 v16, v10, v2
                                        ; implicit-def: $vgpr2
	v_lshlrev_b64 v[6:7], 3, v[17:18]
	v_mul_f32_e64 v17, v5, -v10
	v_mul_f32_e32 v18, v5, v9
	v_fmac_f32_e32 v14, v10, v0
                                        ; implicit-def: $vgpr0
                                        ; implicit-def: $vgpr5
	s_delay_alu instid0(VALU_DEP_3)
	v_fmac_f32_e32 v17, v9, v3
	v_add_co_u32 v6, vcc_lo, s2, v6
	v_add_co_ci_u32_e32 v7, vcc_lo, s3, v7, vcc_lo
	v_fmac_f32_e32 v18, v10, v3
	s_clause 0x1
	global_store_b128 v[6:7], v[11:14], off
	global_store_b128 v[6:7], v[15:18], off offset:16
                                        ; implicit-def: $vgpr9
                                        ; implicit-def: $vgpr10
                                        ; implicit-def: $vgpr11
                                        ; implicit-def: $vgpr12
                                        ; implicit-def: $vgpr7
                                        ; implicit-def: $vgpr6
                                        ; implicit-def: $vgpr3
.LBB99_35:
	s_and_not1_saveexec_b32 s0, s0
	s_cbranch_execz .LBB99_37
; %bb.36:
	v_mul_f32_e32 v22, v8, v9
	v_lshlrev_b32_e32 v13, 2, v1
	v_mul_f32_e64 v1, v8, -v10
	v_mul_f32_e64 v23, v7, -v10
	v_mul_f32_e32 v24, v7, v9
	v_mul_f32_e64 v7, v6, -v10
	s_delay_alu instid0(VALU_DEP_4) | instskip(SKIP_2) | instid1(VALU_DEP_4)
	v_dual_mul_f32 v6, v6, v9 :: v_dual_fmac_f32 v1, v9, v4
	v_fmac_f32_e32 v22, v10, v4
	v_ashrrev_i32_e32 v14, 31, v13
	v_fmac_f32_e32 v7, v9, v2
	v_mul_f32_e64 v27, v5, -v10
	v_fmac_f32_e32 v23, v9, v0
	v_fmac_f32_e32 v24, v10, v0
	v_lshlrev_b64 v[13:14], 3, v[13:14]
	s_delay_alu instid0(VALU_DEP_4) | instskip(NEXT) | instid1(VALU_DEP_2)
	v_fmac_f32_e32 v27, v9, v3
	v_add_co_u32 v25, vcc_lo, s2, v13
	s_delay_alu instid0(VALU_DEP_3)
	v_add_co_ci_u32_e32 v26, vcc_lo, s3, v14, vcc_lo
	s_clause 0x1
	global_load_b128 v[13:16], v[25:26], off
	global_load_b128 v[17:20], v[25:26], off offset:16
	v_mul_f32_e32 v8, v5, v9
	s_waitcnt vmcnt(1)
	v_dual_fmac_f32 v6, v10, v2 :: v_dual_fmac_f32 v1, v11, v13
	v_fmac_f32_e32 v23, v11, v15
	s_waitcnt vmcnt(0)
	v_dual_fmac_f32 v8, v10, v3 :: v_dual_fmac_f32 v7, v11, v17
	v_dual_fmac_f32 v22, v12, v13 :: v_dual_fmac_f32 v27, v11, v19
	v_fmac_f32_e32 v24, v12, v15
	v_fmac_f32_e32 v6, v12, v17
	s_delay_alu instid0(VALU_DEP_4)
	v_fmac_f32_e32 v8, v12, v19
	v_fma_f32 v21, -v12, v14, v1
	v_fmac_f32_e32 v22, v11, v14
	v_fma_f32 v23, -v12, v16, v23
	;; [unrolled: 2-line block ×4, first 2 shown]
	v_fmac_f32_e32 v8, v11, v20
	s_clause 0x1
	global_store_b128 v[25:26], v[21:24], off
	global_store_b128 v[25:26], v[5:8], off offset:16
.LBB99_37:
	s_nop 0
	s_sendmsg sendmsg(MSG_DEALLOC_VGPRS)
	s_endpgm
	.section	.rodata,"a",@progbits
	.p2align	6, 0x0
	.amdhsa_kernel _ZN9rocsparseL19gebsrmvn_4xn_kernelILj128ELj7ELj4E21rocsparse_complex_numIfEEEvi20rocsparse_direction_NS_24const_host_device_scalarIT2_EEPKiS8_PKS5_SA_S6_PS5_21rocsparse_index_base_b
		.amdhsa_group_segment_fixed_size 0
		.amdhsa_private_segment_fixed_size 0
		.amdhsa_kernarg_size 72
		.amdhsa_user_sgpr_count 15
		.amdhsa_user_sgpr_dispatch_ptr 0
		.amdhsa_user_sgpr_queue_ptr 0
		.amdhsa_user_sgpr_kernarg_segment_ptr 1
		.amdhsa_user_sgpr_dispatch_id 0
		.amdhsa_user_sgpr_private_segment_size 0
		.amdhsa_wavefront_size32 1
		.amdhsa_uses_dynamic_stack 0
		.amdhsa_enable_private_segment 0
		.amdhsa_system_sgpr_workgroup_id_x 1
		.amdhsa_system_sgpr_workgroup_id_y 0
		.amdhsa_system_sgpr_workgroup_id_z 0
		.amdhsa_system_sgpr_workgroup_info 0
		.amdhsa_system_vgpr_workitem_id 0
		.amdhsa_next_free_vgpr 41
		.amdhsa_next_free_sgpr 16
		.amdhsa_reserve_vcc 1
		.amdhsa_float_round_mode_32 0
		.amdhsa_float_round_mode_16_64 0
		.amdhsa_float_denorm_mode_32 3
		.amdhsa_float_denorm_mode_16_64 3
		.amdhsa_dx10_clamp 1
		.amdhsa_ieee_mode 1
		.amdhsa_fp16_overflow 0
		.amdhsa_workgroup_processor_mode 1
		.amdhsa_memory_ordered 1
		.amdhsa_forward_progress 0
		.amdhsa_shared_vgpr_count 0
		.amdhsa_exception_fp_ieee_invalid_op 0
		.amdhsa_exception_fp_denorm_src 0
		.amdhsa_exception_fp_ieee_div_zero 0
		.amdhsa_exception_fp_ieee_overflow 0
		.amdhsa_exception_fp_ieee_underflow 0
		.amdhsa_exception_fp_ieee_inexact 0
		.amdhsa_exception_int_div_zero 0
	.end_amdhsa_kernel
	.section	.text._ZN9rocsparseL19gebsrmvn_4xn_kernelILj128ELj7ELj4E21rocsparse_complex_numIfEEEvi20rocsparse_direction_NS_24const_host_device_scalarIT2_EEPKiS8_PKS5_SA_S6_PS5_21rocsparse_index_base_b,"axG",@progbits,_ZN9rocsparseL19gebsrmvn_4xn_kernelILj128ELj7ELj4E21rocsparse_complex_numIfEEEvi20rocsparse_direction_NS_24const_host_device_scalarIT2_EEPKiS8_PKS5_SA_S6_PS5_21rocsparse_index_base_b,comdat
.Lfunc_end99:
	.size	_ZN9rocsparseL19gebsrmvn_4xn_kernelILj128ELj7ELj4E21rocsparse_complex_numIfEEEvi20rocsparse_direction_NS_24const_host_device_scalarIT2_EEPKiS8_PKS5_SA_S6_PS5_21rocsparse_index_base_b, .Lfunc_end99-_ZN9rocsparseL19gebsrmvn_4xn_kernelILj128ELj7ELj4E21rocsparse_complex_numIfEEEvi20rocsparse_direction_NS_24const_host_device_scalarIT2_EEPKiS8_PKS5_SA_S6_PS5_21rocsparse_index_base_b
                                        ; -- End function
	.section	.AMDGPU.csdata,"",@progbits
; Kernel info:
; codeLenInByte = 2788
; NumSgprs: 18
; NumVgprs: 41
; ScratchSize: 0
; MemoryBound: 0
; FloatMode: 240
; IeeeMode: 1
; LDSByteSize: 0 bytes/workgroup (compile time only)
; SGPRBlocks: 2
; VGPRBlocks: 5
; NumSGPRsForWavesPerEU: 18
; NumVGPRsForWavesPerEU: 41
; Occupancy: 16
; WaveLimiterHint : 1
; COMPUTE_PGM_RSRC2:SCRATCH_EN: 0
; COMPUTE_PGM_RSRC2:USER_SGPR: 15
; COMPUTE_PGM_RSRC2:TRAP_HANDLER: 0
; COMPUTE_PGM_RSRC2:TGID_X_EN: 1
; COMPUTE_PGM_RSRC2:TGID_Y_EN: 0
; COMPUTE_PGM_RSRC2:TGID_Z_EN: 0
; COMPUTE_PGM_RSRC2:TIDIG_COMP_CNT: 0
	.section	.text._ZN9rocsparseL19gebsrmvn_4xn_kernelILj128ELj7ELj8E21rocsparse_complex_numIfEEEvi20rocsparse_direction_NS_24const_host_device_scalarIT2_EEPKiS8_PKS5_SA_S6_PS5_21rocsparse_index_base_b,"axG",@progbits,_ZN9rocsparseL19gebsrmvn_4xn_kernelILj128ELj7ELj8E21rocsparse_complex_numIfEEEvi20rocsparse_direction_NS_24const_host_device_scalarIT2_EEPKiS8_PKS5_SA_S6_PS5_21rocsparse_index_base_b,comdat
	.globl	_ZN9rocsparseL19gebsrmvn_4xn_kernelILj128ELj7ELj8E21rocsparse_complex_numIfEEEvi20rocsparse_direction_NS_24const_host_device_scalarIT2_EEPKiS8_PKS5_SA_S6_PS5_21rocsparse_index_base_b ; -- Begin function _ZN9rocsparseL19gebsrmvn_4xn_kernelILj128ELj7ELj8E21rocsparse_complex_numIfEEEvi20rocsparse_direction_NS_24const_host_device_scalarIT2_EEPKiS8_PKS5_SA_S6_PS5_21rocsparse_index_base_b
	.p2align	8
	.type	_ZN9rocsparseL19gebsrmvn_4xn_kernelILj128ELj7ELj8E21rocsparse_complex_numIfEEEvi20rocsparse_direction_NS_24const_host_device_scalarIT2_EEPKiS8_PKS5_SA_S6_PS5_21rocsparse_index_base_b,@function
_ZN9rocsparseL19gebsrmvn_4xn_kernelILj128ELj7ELj8E21rocsparse_complex_numIfEEEvi20rocsparse_direction_NS_24const_host_device_scalarIT2_EEPKiS8_PKS5_SA_S6_PS5_21rocsparse_index_base_b: ; @_ZN9rocsparseL19gebsrmvn_4xn_kernelILj128ELj7ELj8E21rocsparse_complex_numIfEEEvi20rocsparse_direction_NS_24const_host_device_scalarIT2_EEPKiS8_PKS5_SA_S6_PS5_21rocsparse_index_base_b
; %bb.0:
	s_clause 0x2
	s_load_b64 s[12:13], s[0:1], 0x40
	s_load_b64 s[4:5], s[0:1], 0x8
	;; [unrolled: 1-line block ×3, first 2 shown]
	s_waitcnt lgkmcnt(0)
	s_bitcmp1_b32 s13, 0
	v_mov_b32_e32 v9, s4
	s_cselect_b32 s6, -1, 0
	s_delay_alu instid0(SALU_CYCLE_1)
	s_and_b32 vcc_lo, exec_lo, s6
	s_xor_b32 s6, s6, -1
	s_cbranch_vccz .LBB100_17
; %bb.1:
	v_cndmask_b32_e64 v1, 0, 1, s6
	v_mov_b32_e32 v10, s5
	s_and_not1_b32 vcc_lo, exec_lo, s6
	s_cbranch_vccz .LBB100_18
.LBB100_2:
	s_delay_alu instid0(VALU_DEP_2)
	v_cmp_ne_u32_e32 vcc_lo, 1, v1
	v_mov_b32_e32 v11, s2
	s_cbranch_vccz .LBB100_19
.LBB100_3:
	v_cmp_ne_u32_e32 vcc_lo, 1, v1
	v_mov_b32_e32 v12, s3
	s_cbranch_vccnz .LBB100_5
.LBB100_4:
	v_dual_mov_b32 v1, s2 :: v_dual_mov_b32 v2, s3
	flat_load_b32 v12, v[1:2] offset:4
.LBB100_5:
	s_waitcnt vmcnt(0) lgkmcnt(0)
	v_cmp_eq_f32_e32 vcc_lo, 0, v9
	v_cmp_eq_f32_e64 s2, 0, v10
	s_delay_alu instid0(VALU_DEP_1)
	s_and_b32 s4, vcc_lo, s2
	s_mov_b32 s2, -1
	s_and_saveexec_b32 s3, s4
; %bb.6:
	v_cmp_neq_f32_e32 vcc_lo, 1.0, v11
	v_cmp_neq_f32_e64 s2, 0, v12
	s_delay_alu instid0(VALU_DEP_1) | instskip(NEXT) | instid1(SALU_CYCLE_1)
	s_or_b32 s2, vcc_lo, s2
	s_or_not1_b32 s2, s2, exec_lo
; %bb.7:
	s_or_b32 exec_lo, exec_lo, s3
	s_and_saveexec_b32 s3, s2
	s_cbranch_execz .LBB100_37
; %bb.8:
	s_load_b64 s[2:3], s[0:1], 0x0
	v_lshrrev_b32_e32 v1, 3, v0
	s_delay_alu instid0(VALU_DEP_1) | instskip(SKIP_1) | instid1(VALU_DEP_1)
	v_lshl_or_b32 v1, s15, 4, v1
	s_waitcnt lgkmcnt(0)
	v_cmp_gt_i32_e32 vcc_lo, s2, v1
	s_and_b32 exec_lo, exec_lo, vcc_lo
	s_cbranch_execz .LBB100_37
; %bb.9:
	s_load_b256 s[4:11], s[0:1], 0x10
	v_ashrrev_i32_e32 v2, 31, v1
	v_and_b32_e32 v0, 7, v0
	s_cmp_lg_u32 s3, 0
	s_delay_alu instid0(VALU_DEP_2) | instskip(SKIP_1) | instid1(VALU_DEP_1)
	v_lshlrev_b64 v[2:3], 2, v[1:2]
	s_waitcnt lgkmcnt(0)
	v_add_co_u32 v2, vcc_lo, s4, v2
	s_delay_alu instid0(VALU_DEP_2) | instskip(SKIP_4) | instid1(VALU_DEP_2)
	v_add_co_ci_u32_e32 v3, vcc_lo, s5, v3, vcc_lo
	global_load_b64 v[3:4], v[2:3], off
	s_waitcnt vmcnt(0)
	v_subrev_nc_u32_e32 v2, s12, v3
	v_subrev_nc_u32_e32 v13, s12, v4
	v_add_nc_u32_e32 v2, v2, v0
	s_delay_alu instid0(VALU_DEP_1)
	v_cmp_lt_i32_e64 s2, v2, v13
	s_cbranch_scc0 .LBB100_20
; %bb.10:
	v_dual_mov_b32 v8, 0 :: v_dual_mov_b32 v15, 0
	v_dual_mov_b32 v14, 0 :: v_dual_mov_b32 v17, 0
	;; [unrolled: 1-line block ×3, first 2 shown]
	v_mov_b32_e32 v18, 0
	v_mov_b32_e32 v20, 0
	s_mov_b32 s3, 0
	s_and_saveexec_b32 s4, s2
	s_cbranch_execz .LBB100_22
; %bb.11:
	v_mul_lo_u32 v21, v2, 28
	v_dual_mov_b32 v5, 0 :: v_dual_mov_b32 v6, v2
	v_dual_mov_b32 v8, 0 :: v_dual_mov_b32 v15, 0
	;; [unrolled: 1-line block ×4, first 2 shown]
	v_mov_b32_e32 v18, 0
	v_mov_b32_e32 v20, 0
	s_mov_b32 s5, 0
	s_branch .LBB100_13
.LBB100_12:                             ;   in Loop: Header=BB100_13 Depth=1
	v_add_nc_u32_e32 v6, 8, v6
	v_add_nc_u32_e32 v21, 0xe0, v21
	s_delay_alu instid0(VALU_DEP_2) | instskip(SKIP_1) | instid1(SALU_CYCLE_1)
	v_cmp_ge_i32_e32 vcc_lo, v6, v13
	s_or_b32 s5, vcc_lo, s5
	s_and_not1_b32 exec_lo, exec_lo, s5
	s_cbranch_execz .LBB100_21
.LBB100_13:                             ; =>This Loop Header: Depth=1
                                        ;     Child Loop BB100_15 Depth 2
	v_ashrrev_i32_e32 v7, 31, v6
	v_mov_b32_e32 v4, v21
	v_dual_mov_b32 v28, v14 :: v_dual_mov_b32 v27, v15
	v_dual_mov_b32 v26, v16 :: v_dual_mov_b32 v29, v17
	s_delay_alu instid0(VALU_DEP_4) | instskip(SKIP_3) | instid1(VALU_DEP_3)
	v_lshlrev_b64 v[22:23], 2, v[6:7]
	v_dual_mov_b32 v25, v18 :: v_dual_mov_b32 v30, v19
	v_mov_b32_e32 v24, v20
	s_mov_b32 s13, 0
	v_add_co_u32 v22, vcc_lo, s6, v22
	s_delay_alu instid0(VALU_DEP_4) | instskip(SKIP_4) | instid1(VALU_DEP_1)
	v_add_co_ci_u32_e32 v23, vcc_lo, s7, v23, vcc_lo
	global_load_b32 v7, v[22:23], off
	v_mov_b32_e32 v23, v8
	s_waitcnt vmcnt(0)
	v_subrev_nc_u32_e32 v7, s12, v7
	v_mul_lo_u32 v22, v7, 7
	s_branch .LBB100_15
.LBB100_14:                             ;   in Loop: Header=BB100_13 Depth=1
                                        ; implicit-def: $vgpr24
                                        ; implicit-def: $vgpr30
                                        ; implicit-def: $vgpr25
                                        ; implicit-def: $vgpr29
                                        ; implicit-def: $vgpr26
                                        ; implicit-def: $vgpr27
                                        ; implicit-def: $vgpr28
                                        ; implicit-def: $vgpr23
                                        ; implicit-def: $sgpr13
	s_branch .LBB100_12
.LBB100_15:                             ;   Parent Loop BB100_13 Depth=1
                                        ; =>  This Inner Loop Header: Depth=2
	s_delay_alu instid0(VALU_DEP_1) | instskip(SKIP_2) | instid1(VALU_DEP_2)
	v_dual_mov_b32 v8, v5 :: v_dual_add_nc_u32 v7, s13, v22
	v_lshlrev_b64 v[14:15], 3, v[4:5]
	s_cmp_eq_u32 s13, 6
	v_lshlrev_b64 v[16:17], 3, v[7:8]
	s_delay_alu instid0(VALU_DEP_2) | instskip(NEXT) | instid1(VALU_DEP_3)
	v_add_co_u32 v14, vcc_lo, s8, v14
	v_add_co_ci_u32_e32 v15, vcc_lo, s9, v15, vcc_lo
	s_delay_alu instid0(VALU_DEP_3) | instskip(NEXT) | instid1(VALU_DEP_4)
	v_add_co_u32 v16, vcc_lo, s10, v16
	v_add_co_ci_u32_e32 v17, vcc_lo, s11, v17, vcc_lo
	global_load_b128 v[31:34], v[14:15], off
	global_load_b64 v[39:40], v[16:17], off
	global_load_b128 v[35:38], v[14:15], off offset:16
	s_waitcnt vmcnt(1)
	v_fmac_f32_e32 v24, v34, v39
	s_waitcnt vmcnt(0)
	v_fmac_f32_e32 v25, v36, v39
	v_fmac_f32_e32 v23, v32, v39
	v_fmac_f32_e32 v26, v38, v39
	v_fmac_f32_e32 v28, v31, v39
	v_fmac_f32_e32 v30, v33, v39
	v_dual_mov_b32 v18, v25 :: v_dual_fmac_f32 v29, v35, v39
	v_dual_mov_b32 v20, v24 :: v_dual_fmac_f32 v27, v37, v39
	v_mov_b32_e32 v16, v26
	v_mov_b32_e32 v8, v23
	v_fma_f32 v14, -v32, v40, v28
	v_fma_f32 v19, -v34, v40, v30
	;; [unrolled: 1-line block ×4, first 2 shown]
	v_fmac_f32_e32 v8, v31, v40
	v_fmac_f32_e32 v20, v33, v40
	;; [unrolled: 1-line block ×4, first 2 shown]
	s_cbranch_scc1 .LBB100_14
; %bb.16:                               ;   in Loop: Header=BB100_15 Depth=2
	v_dual_mov_b32 v24, v5 :: v_dual_add_nc_u32 v23, 4, v4
	v_dual_mov_b32 v26, v5 :: v_dual_add_nc_u32 v25, 1, v7
	v_add_nc_u32_e32 v4, 8, v4
	s_delay_alu instid0(VALU_DEP_3) | instskip(SKIP_1) | instid1(VALU_DEP_3)
	v_lshlrev_b64 v[23:24], 3, v[23:24]
	s_add_i32 s13, s13, 2
	v_lshlrev_b64 v[25:26], 3, v[25:26]
	s_delay_alu instid0(VALU_DEP_2) | instskip(NEXT) | instid1(VALU_DEP_3)
	v_add_co_u32 v23, vcc_lo, s8, v23
	v_add_co_ci_u32_e32 v24, vcc_lo, s9, v24, vcc_lo
	s_delay_alu instid0(VALU_DEP_3) | instskip(NEXT) | instid1(VALU_DEP_4)
	v_add_co_u32 v25, vcc_lo, s10, v25
	v_add_co_ci_u32_e32 v26, vcc_lo, s11, v26, vcc_lo
	global_load_b128 v[27:30], v[23:24], off
	global_load_b64 v[35:36], v[25:26], off
	global_load_b128 v[31:34], v[23:24], off offset:16
	s_waitcnt vmcnt(1)
	v_fma_f32 v7, v27, v35, v14
	v_fma_f32 v23, v28, v35, v8
	;; [unrolled: 1-line block ×4, first 2 shown]
	s_waitcnt vmcnt(0)
	v_fma_f32 v38, v31, v35, v17
	v_fma_f32 v25, v32, v35, v18
	;; [unrolled: 1-line block ×4, first 2 shown]
	v_fma_f32 v28, -v28, v36, v7
	v_fmac_f32_e32 v23, v27, v36
	v_fma_f32 v30, -v30, v36, v37
	v_fmac_f32_e32 v24, v29, v36
	;; [unrolled: 2-line block ×4, first 2 shown]
	s_cbranch_execnz .LBB100_15
	s_branch .LBB100_12
.LBB100_17:
	v_dual_mov_b32 v1, s4 :: v_dual_mov_b32 v2, s5
	flat_load_b32 v9, v[1:2]
	v_cndmask_b32_e64 v1, 0, 1, s6
	v_mov_b32_e32 v10, s5
	s_and_not1_b32 vcc_lo, exec_lo, s6
	s_cbranch_vccnz .LBB100_2
.LBB100_18:
	v_dual_mov_b32 v2, s4 :: v_dual_mov_b32 v3, s5
	flat_load_b32 v10, v[2:3] offset:4
	v_cmp_ne_u32_e32 vcc_lo, 1, v1
	v_mov_b32_e32 v11, s2
	s_cbranch_vccnz .LBB100_3
.LBB100_19:
	v_dual_mov_b32 v2, s2 :: v_dual_mov_b32 v3, s3
	flat_load_b32 v11, v[2:3]
	v_cmp_ne_u32_e32 vcc_lo, 1, v1
	v_mov_b32_e32 v12, s3
	s_cbranch_vccz .LBB100_4
	s_branch .LBB100_5
.LBB100_20:
                                        ; implicit-def: $vgpr8
                                        ; implicit-def: $vgpr14
                                        ; implicit-def: $vgpr15
                                        ; implicit-def: $vgpr16
                                        ; implicit-def: $vgpr17
                                        ; implicit-def: $vgpr18
                                        ; implicit-def: $vgpr19
                                        ; implicit-def: $vgpr20
	s_branch .LBB100_23
.LBB100_21:
	s_or_b32 exec_lo, exec_lo, s5
.LBB100_22:
	s_delay_alu instid0(SALU_CYCLE_1) | instskip(NEXT) | instid1(SALU_CYCLE_1)
	s_or_b32 exec_lo, exec_lo, s4
	s_and_not1_b32 vcc_lo, exec_lo, s3
	s_cbranch_vccnz .LBB100_32
.LBB100_23:
	v_dual_mov_b32 v8, 0 :: v_dual_mov_b32 v15, 0
	v_dual_mov_b32 v14, 0 :: v_dual_mov_b32 v17, 0
	;; [unrolled: 1-line block ×3, first 2 shown]
	v_mov_b32_e32 v18, 0
	v_mov_b32_e32 v20, 0
	s_and_saveexec_b32 s3, s2
	s_cbranch_execz .LBB100_31
; %bb.24:
	v_mul_lo_u32 v3, v3, 28
	v_mul_lo_u32 v5, v2, 28
	s_mul_i32 s2, s12, 28
	v_dual_mov_b32 v4, 0 :: v_dual_mov_b32 v15, 0
	v_dual_mov_b32 v8, 0 :: v_dual_mov_b32 v17, 0
	v_dual_mov_b32 v14, 0 :: v_dual_mov_b32 v19, 0
	v_mad_u32_u24 v3, v0, 28, v3
	v_mov_b32_e32 v16, 0
	v_mov_b32_e32 v18, 0
	;; [unrolled: 1-line block ×3, first 2 shown]
	s_delay_alu instid0(VALU_DEP_4)
	v_subrev_nc_u32_e32 v6, s2, v3
	s_mov_b32 s2, 0
	s_branch .LBB100_26
.LBB100_25:                             ;   in Loop: Header=BB100_26 Depth=1
	v_add_nc_u32_e32 v2, 8, v2
	v_add_nc_u32_e32 v5, 0xe0, v5
	;; [unrolled: 1-line block ×3, first 2 shown]
	s_delay_alu instid0(VALU_DEP_3) | instskip(SKIP_1) | instid1(SALU_CYCLE_1)
	v_cmp_ge_i32_e32 vcc_lo, v2, v13
	s_or_b32 s2, vcc_lo, s2
	s_and_not1_b32 exec_lo, exec_lo, s2
	s_cbranch_execz .LBB100_30
.LBB100_26:                             ; =>This Loop Header: Depth=1
                                        ;     Child Loop BB100_28 Depth 2
	v_ashrrev_i32_e32 v3, 31, v2
	v_dual_mov_b32 v27, v15 :: v_dual_mov_b32 v28, v17
	v_dual_mov_b32 v25, v16 :: v_dual_mov_b32 v24, v18
	s_delay_alu instid0(VALU_DEP_3) | instskip(SKIP_2) | instid1(VALU_DEP_2)
	v_lshlrev_b64 v[21:22], 2, v[2:3]
	v_dual_mov_b32 v26, v19 :: v_dual_mov_b32 v23, v20
	s_mov_b32 s4, 0
	v_add_co_u32 v21, vcc_lo, s6, v21
	s_delay_alu instid0(VALU_DEP_3) | instskip(SKIP_4) | instid1(VALU_DEP_1)
	v_add_co_ci_u32_e32 v22, vcc_lo, s7, v22, vcc_lo
	global_load_b32 v3, v[21:22], off
	v_dual_mov_b32 v21, v8 :: v_dual_mov_b32 v22, v14
	s_waitcnt vmcnt(0)
	v_subrev_nc_u32_e32 v3, s12, v3
	v_mul_lo_u32 v7, v3, 7
	s_branch .LBB100_28
.LBB100_27:                             ;   in Loop: Header=BB100_26 Depth=1
                                        ; implicit-def: $vgpr23
                                        ; implicit-def: $vgpr26
                                        ; implicit-def: $vgpr24
                                        ; implicit-def: $vgpr28
                                        ; implicit-def: $vgpr25
                                        ; implicit-def: $vgpr27
                                        ; implicit-def: $vgpr22
                                        ; implicit-def: $vgpr21
                                        ; implicit-def: $sgpr4
	s_branch .LBB100_25
.LBB100_28:                             ;   Parent Loop BB100_26 Depth=1
                                        ; =>  This Inner Loop Header: Depth=2
	v_add_nc_u32_e32 v3, s4, v6
	s_cmp_eq_u32 s4, 6
	v_mov_b32_e32 v33, v4
	s_delay_alu instid0(VALU_DEP_2) | instskip(NEXT) | instid1(VALU_DEP_4)
	v_lshlrev_b64 v[14:15], 3, v[3:4]
	v_add_nc_u32_e32 v3, s4, v7
	s_delay_alu instid0(VALU_DEP_1) | instskip(NEXT) | instid1(VALU_DEP_3)
	v_lshlrev_b64 v[30:31], 3, v[3:4]
	v_add_co_u32 v14, vcc_lo, s8, v14
	s_delay_alu instid0(VALU_DEP_4) | instskip(NEXT) | instid1(VALU_DEP_3)
	v_add_co_ci_u32_e32 v15, vcc_lo, s9, v15, vcc_lo
	v_add_co_u32 v30, vcc_lo, s10, v30
	s_delay_alu instid0(VALU_DEP_4) | instskip(SKIP_4) | instid1(VALU_DEP_1)
	v_add_co_ci_u32_e32 v31, vcc_lo, s11, v31, vcc_lo
	global_load_b64 v[34:35], v[14:15], off
	global_load_b64 v[30:31], v[30:31], off
	s_waitcnt vmcnt(0)
	v_dual_fmac_f32 v22, v34, v30 :: v_dual_add_nc_u32 v29, s4, v5
	v_dual_mov_b32 v17, v4 :: v_dual_add_nc_u32 v16, 7, v29
	v_dual_mov_b32 v19, v4 :: v_dual_add_nc_u32 v18, 14, v29
	v_add_nc_u32_e32 v32, 21, v29
	s_delay_alu instid0(VALU_DEP_3) | instskip(NEXT) | instid1(VALU_DEP_3)
	v_lshlrev_b64 v[16:17], 3, v[16:17]
	v_lshlrev_b64 v[18:19], 3, v[18:19]
	s_delay_alu instid0(VALU_DEP_2) | instskip(NEXT) | instid1(VALU_DEP_3)
	v_add_co_u32 v14, vcc_lo, s8, v16
	v_add_co_ci_u32_e32 v15, vcc_lo, s9, v17, vcc_lo
	v_lshlrev_b64 v[16:17], 3, v[32:33]
	s_delay_alu instid0(VALU_DEP_4) | instskip(SKIP_1) | instid1(VALU_DEP_3)
	v_add_co_u32 v18, vcc_lo, s8, v18
	v_add_co_ci_u32_e32 v19, vcc_lo, s9, v19, vcc_lo
	v_add_co_u32 v16, vcc_lo, s8, v16
	s_delay_alu instid0(VALU_DEP_4)
	v_add_co_ci_u32_e32 v17, vcc_lo, s9, v17, vcc_lo
	s_clause 0x2
	global_load_b64 v[32:33], v[14:15], off
	global_load_b64 v[36:37], v[18:19], off
	;; [unrolled: 1-line block ×3, first 2 shown]
	v_fma_f32 v14, -v35, v31, v22
	s_waitcnt vmcnt(2)
	v_fmac_f32_e32 v26, v32, v30
	s_waitcnt vmcnt(1)
	v_fmac_f32_e32 v24, v37, v30
	v_fmac_f32_e32 v21, v35, v30
	;; [unrolled: 1-line block ×3, first 2 shown]
	v_fma_f32 v19, -v33, v31, v26
	s_delay_alu instid0(VALU_DEP_4) | instskip(NEXT) | instid1(VALU_DEP_4)
	v_mov_b32_e32 v18, v24
	v_mov_b32_e32 v8, v21
	v_fmac_f32_e32 v23, v33, v30
	v_fma_f32 v17, -v37, v31, v28
	s_delay_alu instid0(VALU_DEP_4) | instskip(NEXT) | instid1(VALU_DEP_4)
	v_fmac_f32_e32 v18, v36, v31
	v_fmac_f32_e32 v8, v34, v31
	s_waitcnt vmcnt(0)
	v_dual_fmac_f32 v27, v38, v30 :: v_dual_mov_b32 v20, v23
	v_fmac_f32_e32 v25, v39, v30
	s_delay_alu instid0(VALU_DEP_2) | instskip(NEXT) | instid1(VALU_DEP_3)
	v_fma_f32 v15, -v39, v31, v27
	v_fmac_f32_e32 v20, v32, v31
	s_delay_alu instid0(VALU_DEP_3) | instskip(NEXT) | instid1(VALU_DEP_1)
	v_mov_b32_e32 v16, v25
	v_fmac_f32_e32 v16, v38, v31
	s_cbranch_scc1 .LBB100_27
; %bb.29:                               ;   in Loop: Header=BB100_28 Depth=2
	v_dual_mov_b32 v22, v4 :: v_dual_add_nc_u32 v3, 1, v3
	v_add_nc_u32_e32 v21, 1, v29
	s_add_i32 s4, s4, 2
	s_delay_alu instid0(VALU_DEP_2) | instskip(SKIP_1) | instid1(VALU_DEP_3)
	v_lshlrev_b64 v[23:24], 3, v[3:4]
	v_add_nc_u32_e32 v3, 8, v29
	v_lshlrev_b64 v[21:22], 3, v[21:22]
	s_delay_alu instid0(VALU_DEP_2) | instskip(SKIP_1) | instid1(VALU_DEP_3)
	v_lshlrev_b64 v[25:26], 3, v[3:4]
	v_add_nc_u32_e32 v3, 15, v29
	v_add_co_u32 v21, vcc_lo, s8, v21
	s_delay_alu instid0(VALU_DEP_4)
	v_add_co_ci_u32_e32 v22, vcc_lo, s9, v22, vcc_lo
	v_add_co_u32 v23, vcc_lo, s10, v23
	v_add_co_ci_u32_e32 v24, vcc_lo, s11, v24, vcc_lo
	v_add_co_u32 v25, vcc_lo, s8, v25
	v_lshlrev_b64 v[27:28], 3, v[3:4]
	v_add_nc_u32_e32 v3, 22, v29
	v_add_co_ci_u32_e32 v26, vcc_lo, s9, v26, vcc_lo
	global_load_b64 v[29:30], v[21:22], off
	global_load_b64 v[31:32], v[23:24], off
	;; [unrolled: 1-line block ×3, first 2 shown]
	v_lshlrev_b64 v[21:22], 3, v[3:4]
	v_add_co_u32 v23, vcc_lo, s8, v27
	v_add_co_ci_u32_e32 v24, vcc_lo, s9, v28, vcc_lo
	s_delay_alu instid0(VALU_DEP_3) | instskip(NEXT) | instid1(VALU_DEP_4)
	v_add_co_u32 v21, vcc_lo, s8, v21
	v_add_co_ci_u32_e32 v22, vcc_lo, s9, v22, vcc_lo
	s_clause 0x1
	global_load_b64 v[27:28], v[23:24], off
	global_load_b64 v[35:36], v[21:22], off
	s_waitcnt vmcnt(3)
	v_fma_f32 v3, v29, v31, v14
	v_fma_f32 v21, v30, v31, v8
	s_waitcnt vmcnt(2)
	v_fma_f32 v24, v33, v31, v19
	v_fma_f32 v23, v34, v31, v20
	v_fma_f32 v22, -v30, v32, v3
	v_fmac_f32_e32 v21, v29, v32
	s_delay_alu instid0(VALU_DEP_4) | instskip(NEXT) | instid1(VALU_DEP_4)
	v_fma_f32 v26, -v34, v32, v24
	v_fmac_f32_e32 v23, v33, v32
	s_waitcnt vmcnt(1)
	v_fma_f32 v3, v27, v31, v17
	v_fma_f32 v24, v28, v31, v18
	s_waitcnt vmcnt(0)
	v_fma_f32 v29, v35, v31, v15
	v_fma_f32 v25, v36, v31, v16
	v_fma_f32 v28, -v28, v32, v3
	v_fmac_f32_e32 v24, v27, v32
	s_delay_alu instid0(VALU_DEP_4) | instskip(NEXT) | instid1(VALU_DEP_4)
	v_fma_f32 v27, -v36, v32, v29
	v_fmac_f32_e32 v25, v35, v32
	s_cbranch_execnz .LBB100_28
	s_branch .LBB100_25
.LBB100_30:
	s_or_b32 exec_lo, exec_lo, s2
.LBB100_31:
	s_delay_alu instid0(SALU_CYCLE_1)
	s_or_b32 exec_lo, exec_lo, s3
.LBB100_32:
	v_mbcnt_lo_u32_b32 v2, -1, 0
	s_delay_alu instid0(VALU_DEP_1) | instskip(SKIP_1) | instid1(VALU_DEP_2)
	v_xor_b32_e32 v3, 4, v2
	v_xor_b32_e32 v23, 2, v2
	v_cmp_gt_i32_e32 vcc_lo, 32, v3
	v_cndmask_b32_e32 v3, v2, v3, vcc_lo
	s_delay_alu instid0(VALU_DEP_3) | instskip(NEXT) | instid1(VALU_DEP_2)
	v_cmp_gt_i32_e32 vcc_lo, 32, v23
	v_lshlrev_b32_e32 v3, 2, v3
	ds_bpermute_b32 v4, v3, v14
	s_waitcnt lgkmcnt(0)
	v_add_f32_e32 v4, v14, v4
	ds_bpermute_b32 v5, v3, v8
	ds_bpermute_b32 v6, v3, v19
	;; [unrolled: 1-line block ×7, first 2 shown]
	s_waitcnt lgkmcnt(6)
	v_add_f32_e32 v5, v8, v5
	s_waitcnt lgkmcnt(5)
	v_dual_cndmask_b32 v23, v2, v23 :: v_dual_add_f32 v8, v19, v6
	s_waitcnt lgkmcnt(3)
	v_dual_add_f32 v14, v20, v7 :: v_dual_add_f32 v17, v17, v13
	s_waitcnt lgkmcnt(2)
	s_delay_alu instid0(VALU_DEP_2)
	v_dual_add_f32 v18, v18, v21 :: v_dual_lshlrev_b32 v23, 2, v23
	s_waitcnt lgkmcnt(0)
	v_dual_add_f32 v19, v15, v22 :: v_dual_add_f32 v16, v16, v3
	ds_bpermute_b32 v3, v23, v4
	ds_bpermute_b32 v6, v23, v5
	;; [unrolled: 1-line block ×8, first 2 shown]
	v_xor_b32_e32 v23, 1, v2
	s_delay_alu instid0(VALU_DEP_1) | instskip(SKIP_4) | instid1(VALU_DEP_3)
	v_cmp_gt_i32_e32 vcc_lo, 32, v23
	v_cndmask_b32_e32 v2, v2, v23, vcc_lo
	v_cmp_eq_u32_e32 vcc_lo, 7, v0
	s_waitcnt lgkmcnt(5)
	v_dual_add_f32 v6, v5, v6 :: v_dual_add_f32 v7, v8, v7
	v_dual_add_f32 v2, v4, v3 :: v_dual_lshlrev_b32 v23, 2, v2
	s_waitcnt lgkmcnt(3)
	v_dual_add_f32 v13, v14, v13 :: v_dual_add_f32 v14, v17, v15
	s_waitcnt lgkmcnt(2)
	v_add_f32_e32 v15, v18, v20
	s_waitcnt lgkmcnt(1)
	v_add_f32_e32 v3, v19, v21
	;; [unrolled: 2-line block ×3, first 2 shown]
	ds_bpermute_b32 v4, v23, v2
	ds_bpermute_b32 v8, v23, v6
	;; [unrolled: 1-line block ×8, first 2 shown]
	s_and_b32 exec_lo, exec_lo, vcc_lo
	s_cbranch_execz .LBB100_37
; %bb.33:
	s_load_b64 s[2:3], s[0:1], 0x38
	v_cmp_eq_f32_e32 vcc_lo, 0, v11
	v_cmp_eq_f32_e64 s0, 0, v12
	s_waitcnt lgkmcnt(0)
	v_add_f32_e32 v4, v2, v4
	v_dual_add_f32 v8, v6, v8 :: v_dual_add_f32 v5, v5, v17
	v_dual_add_f32 v0, v7, v18 :: v_dual_add_f32 v7, v13, v19
	v_add_f32_e32 v2, v14, v20
	v_add_f32_e32 v6, v15, v21
	;; [unrolled: 1-line block ×3, first 2 shown]
	s_and_b32 s0, vcc_lo, s0
	s_delay_alu instid0(SALU_CYCLE_1) | instskip(NEXT) | instid1(SALU_CYCLE_1)
	s_and_saveexec_b32 s1, s0
	s_xor_b32 s0, exec_lo, s1
	s_cbranch_execz .LBB100_35
; %bb.34:
	v_mul_f32_e64 v11, v8, -v10
	v_mul_f32_e32 v12, v8, v9
	v_mul_f32_e64 v13, v7, -v10
	v_mul_f32_e32 v14, v7, v9
	v_mul_f32_e64 v15, v6, -v10
	v_fmac_f32_e32 v11, v9, v4
	v_dual_fmac_f32 v12, v10, v4 :: v_dual_lshlrev_b32 v17, 2, v1
	s_delay_alu instid0(VALU_DEP_3) | instskip(SKIP_1) | instid1(VALU_DEP_3)
	v_dual_mul_f32 v16, v6, v9 :: v_dual_fmac_f32 v15, v9, v2
	v_fmac_f32_e32 v13, v9, v0
	v_ashrrev_i32_e32 v18, 31, v17
                                        ; implicit-def: $vgpr1
                                        ; implicit-def: $vgpr4
                                        ; implicit-def: $vgpr8
	s_delay_alu instid0(VALU_DEP_3) | instskip(NEXT) | instid1(VALU_DEP_2)
	v_fmac_f32_e32 v16, v10, v2
                                        ; implicit-def: $vgpr2
	v_lshlrev_b64 v[6:7], 3, v[17:18]
	v_mul_f32_e64 v17, v5, -v10
	v_mul_f32_e32 v18, v5, v9
	v_fmac_f32_e32 v14, v10, v0
                                        ; implicit-def: $vgpr0
                                        ; implicit-def: $vgpr5
	s_delay_alu instid0(VALU_DEP_3)
	v_fmac_f32_e32 v17, v9, v3
	v_add_co_u32 v6, vcc_lo, s2, v6
	v_add_co_ci_u32_e32 v7, vcc_lo, s3, v7, vcc_lo
	v_fmac_f32_e32 v18, v10, v3
	s_clause 0x1
	global_store_b128 v[6:7], v[11:14], off
	global_store_b128 v[6:7], v[15:18], off offset:16
                                        ; implicit-def: $vgpr9
                                        ; implicit-def: $vgpr10
                                        ; implicit-def: $vgpr11
                                        ; implicit-def: $vgpr12
                                        ; implicit-def: $vgpr7
                                        ; implicit-def: $vgpr6
                                        ; implicit-def: $vgpr3
.LBB100_35:
	s_and_not1_saveexec_b32 s0, s0
	s_cbranch_execz .LBB100_37
; %bb.36:
	v_mul_f32_e32 v22, v8, v9
	v_lshlrev_b32_e32 v13, 2, v1
	v_mul_f32_e64 v1, v8, -v10
	v_mul_f32_e64 v23, v7, -v10
	v_mul_f32_e32 v24, v7, v9
	v_mul_f32_e64 v7, v6, -v10
	s_delay_alu instid0(VALU_DEP_4) | instskip(SKIP_2) | instid1(VALU_DEP_4)
	v_dual_mul_f32 v6, v6, v9 :: v_dual_fmac_f32 v1, v9, v4
	v_fmac_f32_e32 v22, v10, v4
	v_ashrrev_i32_e32 v14, 31, v13
	v_fmac_f32_e32 v7, v9, v2
	v_mul_f32_e64 v27, v5, -v10
	v_fmac_f32_e32 v23, v9, v0
	v_fmac_f32_e32 v24, v10, v0
	v_lshlrev_b64 v[13:14], 3, v[13:14]
	s_delay_alu instid0(VALU_DEP_4) | instskip(NEXT) | instid1(VALU_DEP_2)
	v_fmac_f32_e32 v27, v9, v3
	v_add_co_u32 v25, vcc_lo, s2, v13
	s_delay_alu instid0(VALU_DEP_3)
	v_add_co_ci_u32_e32 v26, vcc_lo, s3, v14, vcc_lo
	s_clause 0x1
	global_load_b128 v[13:16], v[25:26], off
	global_load_b128 v[17:20], v[25:26], off offset:16
	v_mul_f32_e32 v8, v5, v9
	s_waitcnt vmcnt(1)
	v_dual_fmac_f32 v6, v10, v2 :: v_dual_fmac_f32 v1, v11, v13
	v_fmac_f32_e32 v23, v11, v15
	s_waitcnt vmcnt(0)
	v_dual_fmac_f32 v8, v10, v3 :: v_dual_fmac_f32 v7, v11, v17
	v_dual_fmac_f32 v22, v12, v13 :: v_dual_fmac_f32 v27, v11, v19
	v_fmac_f32_e32 v24, v12, v15
	v_fmac_f32_e32 v6, v12, v17
	s_delay_alu instid0(VALU_DEP_4)
	v_fmac_f32_e32 v8, v12, v19
	v_fma_f32 v21, -v12, v14, v1
	v_fmac_f32_e32 v22, v11, v14
	v_fma_f32 v23, -v12, v16, v23
	;; [unrolled: 2-line block ×4, first 2 shown]
	v_fmac_f32_e32 v8, v11, v20
	s_clause 0x1
	global_store_b128 v[25:26], v[21:24], off
	global_store_b128 v[25:26], v[5:8], off offset:16
.LBB100_37:
	s_nop 0
	s_sendmsg sendmsg(MSG_DEALLOC_VGPRS)
	s_endpgm
	.section	.rodata,"a",@progbits
	.p2align	6, 0x0
	.amdhsa_kernel _ZN9rocsparseL19gebsrmvn_4xn_kernelILj128ELj7ELj8E21rocsparse_complex_numIfEEEvi20rocsparse_direction_NS_24const_host_device_scalarIT2_EEPKiS8_PKS5_SA_S6_PS5_21rocsparse_index_base_b
		.amdhsa_group_segment_fixed_size 0
		.amdhsa_private_segment_fixed_size 0
		.amdhsa_kernarg_size 72
		.amdhsa_user_sgpr_count 15
		.amdhsa_user_sgpr_dispatch_ptr 0
		.amdhsa_user_sgpr_queue_ptr 0
		.amdhsa_user_sgpr_kernarg_segment_ptr 1
		.amdhsa_user_sgpr_dispatch_id 0
		.amdhsa_user_sgpr_private_segment_size 0
		.amdhsa_wavefront_size32 1
		.amdhsa_uses_dynamic_stack 0
		.amdhsa_enable_private_segment 0
		.amdhsa_system_sgpr_workgroup_id_x 1
		.amdhsa_system_sgpr_workgroup_id_y 0
		.amdhsa_system_sgpr_workgroup_id_z 0
		.amdhsa_system_sgpr_workgroup_info 0
		.amdhsa_system_vgpr_workitem_id 0
		.amdhsa_next_free_vgpr 41
		.amdhsa_next_free_sgpr 16
		.amdhsa_reserve_vcc 1
		.amdhsa_float_round_mode_32 0
		.amdhsa_float_round_mode_16_64 0
		.amdhsa_float_denorm_mode_32 3
		.amdhsa_float_denorm_mode_16_64 3
		.amdhsa_dx10_clamp 1
		.amdhsa_ieee_mode 1
		.amdhsa_fp16_overflow 0
		.amdhsa_workgroup_processor_mode 1
		.amdhsa_memory_ordered 1
		.amdhsa_forward_progress 0
		.amdhsa_shared_vgpr_count 0
		.amdhsa_exception_fp_ieee_invalid_op 0
		.amdhsa_exception_fp_denorm_src 0
		.amdhsa_exception_fp_ieee_div_zero 0
		.amdhsa_exception_fp_ieee_overflow 0
		.amdhsa_exception_fp_ieee_underflow 0
		.amdhsa_exception_fp_ieee_inexact 0
		.amdhsa_exception_int_div_zero 0
	.end_amdhsa_kernel
	.section	.text._ZN9rocsparseL19gebsrmvn_4xn_kernelILj128ELj7ELj8E21rocsparse_complex_numIfEEEvi20rocsparse_direction_NS_24const_host_device_scalarIT2_EEPKiS8_PKS5_SA_S6_PS5_21rocsparse_index_base_b,"axG",@progbits,_ZN9rocsparseL19gebsrmvn_4xn_kernelILj128ELj7ELj8E21rocsparse_complex_numIfEEEvi20rocsparse_direction_NS_24const_host_device_scalarIT2_EEPKiS8_PKS5_SA_S6_PS5_21rocsparse_index_base_b,comdat
.Lfunc_end100:
	.size	_ZN9rocsparseL19gebsrmvn_4xn_kernelILj128ELj7ELj8E21rocsparse_complex_numIfEEEvi20rocsparse_direction_NS_24const_host_device_scalarIT2_EEPKiS8_PKS5_SA_S6_PS5_21rocsparse_index_base_b, .Lfunc_end100-_ZN9rocsparseL19gebsrmvn_4xn_kernelILj128ELj7ELj8E21rocsparse_complex_numIfEEEvi20rocsparse_direction_NS_24const_host_device_scalarIT2_EEPKiS8_PKS5_SA_S6_PS5_21rocsparse_index_base_b
                                        ; -- End function
	.section	.AMDGPU.csdata,"",@progbits
; Kernel info:
; codeLenInByte = 2928
; NumSgprs: 18
; NumVgprs: 41
; ScratchSize: 0
; MemoryBound: 0
; FloatMode: 240
; IeeeMode: 1
; LDSByteSize: 0 bytes/workgroup (compile time only)
; SGPRBlocks: 2
; VGPRBlocks: 5
; NumSGPRsForWavesPerEU: 18
; NumVGPRsForWavesPerEU: 41
; Occupancy: 16
; WaveLimiterHint : 1
; COMPUTE_PGM_RSRC2:SCRATCH_EN: 0
; COMPUTE_PGM_RSRC2:USER_SGPR: 15
; COMPUTE_PGM_RSRC2:TRAP_HANDLER: 0
; COMPUTE_PGM_RSRC2:TGID_X_EN: 1
; COMPUTE_PGM_RSRC2:TGID_Y_EN: 0
; COMPUTE_PGM_RSRC2:TGID_Z_EN: 0
; COMPUTE_PGM_RSRC2:TIDIG_COMP_CNT: 0
	.section	.text._ZN9rocsparseL19gebsrmvn_4xn_kernelILj128ELj7ELj16E21rocsparse_complex_numIfEEEvi20rocsparse_direction_NS_24const_host_device_scalarIT2_EEPKiS8_PKS5_SA_S6_PS5_21rocsparse_index_base_b,"axG",@progbits,_ZN9rocsparseL19gebsrmvn_4xn_kernelILj128ELj7ELj16E21rocsparse_complex_numIfEEEvi20rocsparse_direction_NS_24const_host_device_scalarIT2_EEPKiS8_PKS5_SA_S6_PS5_21rocsparse_index_base_b,comdat
	.globl	_ZN9rocsparseL19gebsrmvn_4xn_kernelILj128ELj7ELj16E21rocsparse_complex_numIfEEEvi20rocsparse_direction_NS_24const_host_device_scalarIT2_EEPKiS8_PKS5_SA_S6_PS5_21rocsparse_index_base_b ; -- Begin function _ZN9rocsparseL19gebsrmvn_4xn_kernelILj128ELj7ELj16E21rocsparse_complex_numIfEEEvi20rocsparse_direction_NS_24const_host_device_scalarIT2_EEPKiS8_PKS5_SA_S6_PS5_21rocsparse_index_base_b
	.p2align	8
	.type	_ZN9rocsparseL19gebsrmvn_4xn_kernelILj128ELj7ELj16E21rocsparse_complex_numIfEEEvi20rocsparse_direction_NS_24const_host_device_scalarIT2_EEPKiS8_PKS5_SA_S6_PS5_21rocsparse_index_base_b,@function
_ZN9rocsparseL19gebsrmvn_4xn_kernelILj128ELj7ELj16E21rocsparse_complex_numIfEEEvi20rocsparse_direction_NS_24const_host_device_scalarIT2_EEPKiS8_PKS5_SA_S6_PS5_21rocsparse_index_base_b: ; @_ZN9rocsparseL19gebsrmvn_4xn_kernelILj128ELj7ELj16E21rocsparse_complex_numIfEEEvi20rocsparse_direction_NS_24const_host_device_scalarIT2_EEPKiS8_PKS5_SA_S6_PS5_21rocsparse_index_base_b
; %bb.0:
	s_clause 0x2
	s_load_b64 s[12:13], s[0:1], 0x40
	s_load_b64 s[4:5], s[0:1], 0x8
	;; [unrolled: 1-line block ×3, first 2 shown]
	s_waitcnt lgkmcnt(0)
	s_bitcmp1_b32 s13, 0
	v_mov_b32_e32 v9, s4
	s_cselect_b32 s6, -1, 0
	s_delay_alu instid0(SALU_CYCLE_1)
	s_and_b32 vcc_lo, exec_lo, s6
	s_xor_b32 s6, s6, -1
	s_cbranch_vccz .LBB101_17
; %bb.1:
	v_cndmask_b32_e64 v1, 0, 1, s6
	v_mov_b32_e32 v10, s5
	s_and_not1_b32 vcc_lo, exec_lo, s6
	s_cbranch_vccz .LBB101_18
.LBB101_2:
	s_delay_alu instid0(VALU_DEP_2)
	v_cmp_ne_u32_e32 vcc_lo, 1, v1
	v_mov_b32_e32 v11, s2
	s_cbranch_vccz .LBB101_19
.LBB101_3:
	v_cmp_ne_u32_e32 vcc_lo, 1, v1
	v_mov_b32_e32 v12, s3
	s_cbranch_vccnz .LBB101_5
.LBB101_4:
	v_dual_mov_b32 v1, s2 :: v_dual_mov_b32 v2, s3
	flat_load_b32 v12, v[1:2] offset:4
.LBB101_5:
	s_waitcnt vmcnt(0) lgkmcnt(0)
	v_cmp_eq_f32_e32 vcc_lo, 0, v9
	v_cmp_eq_f32_e64 s2, 0, v10
	s_delay_alu instid0(VALU_DEP_1)
	s_and_b32 s4, vcc_lo, s2
	s_mov_b32 s2, -1
	s_and_saveexec_b32 s3, s4
; %bb.6:
	v_cmp_neq_f32_e32 vcc_lo, 1.0, v11
	v_cmp_neq_f32_e64 s2, 0, v12
	s_delay_alu instid0(VALU_DEP_1) | instskip(NEXT) | instid1(SALU_CYCLE_1)
	s_or_b32 s2, vcc_lo, s2
	s_or_not1_b32 s2, s2, exec_lo
; %bb.7:
	s_or_b32 exec_lo, exec_lo, s3
	s_and_saveexec_b32 s3, s2
	s_cbranch_execz .LBB101_37
; %bb.8:
	s_load_b64 s[2:3], s[0:1], 0x0
	v_lshrrev_b32_e32 v1, 4, v0
	s_delay_alu instid0(VALU_DEP_1) | instskip(SKIP_1) | instid1(VALU_DEP_1)
	v_lshl_or_b32 v1, s15, 3, v1
	s_waitcnt lgkmcnt(0)
	v_cmp_gt_i32_e32 vcc_lo, s2, v1
	s_and_b32 exec_lo, exec_lo, vcc_lo
	s_cbranch_execz .LBB101_37
; %bb.9:
	s_load_b256 s[4:11], s[0:1], 0x10
	v_ashrrev_i32_e32 v2, 31, v1
	v_and_b32_e32 v0, 15, v0
	s_cmp_lg_u32 s3, 0
	s_delay_alu instid0(VALU_DEP_2) | instskip(SKIP_1) | instid1(VALU_DEP_1)
	v_lshlrev_b64 v[2:3], 2, v[1:2]
	s_waitcnt lgkmcnt(0)
	v_add_co_u32 v2, vcc_lo, s4, v2
	s_delay_alu instid0(VALU_DEP_2) | instskip(SKIP_4) | instid1(VALU_DEP_2)
	v_add_co_ci_u32_e32 v3, vcc_lo, s5, v3, vcc_lo
	global_load_b64 v[3:4], v[2:3], off
	s_waitcnt vmcnt(0)
	v_subrev_nc_u32_e32 v2, s12, v3
	v_subrev_nc_u32_e32 v13, s12, v4
	v_add_nc_u32_e32 v2, v2, v0
	s_delay_alu instid0(VALU_DEP_1)
	v_cmp_lt_i32_e64 s2, v2, v13
	s_cbranch_scc0 .LBB101_20
; %bb.10:
	v_dual_mov_b32 v8, 0 :: v_dual_mov_b32 v15, 0
	v_dual_mov_b32 v14, 0 :: v_dual_mov_b32 v17, 0
	;; [unrolled: 1-line block ×3, first 2 shown]
	v_mov_b32_e32 v18, 0
	v_mov_b32_e32 v20, 0
	s_mov_b32 s3, 0
	s_and_saveexec_b32 s4, s2
	s_cbranch_execz .LBB101_22
; %bb.11:
	v_mul_lo_u32 v21, v2, 28
	v_dual_mov_b32 v5, 0 :: v_dual_mov_b32 v6, v2
	v_dual_mov_b32 v8, 0 :: v_dual_mov_b32 v15, 0
	v_dual_mov_b32 v14, 0 :: v_dual_mov_b32 v17, 0
	v_dual_mov_b32 v16, 0 :: v_dual_mov_b32 v19, 0
	v_mov_b32_e32 v18, 0
	v_mov_b32_e32 v20, 0
	s_mov_b32 s5, 0
	s_branch .LBB101_13
.LBB101_12:                             ;   in Loop: Header=BB101_13 Depth=1
	v_add_nc_u32_e32 v6, 16, v6
	v_add_nc_u32_e32 v21, 0x1c0, v21
	s_delay_alu instid0(VALU_DEP_2) | instskip(SKIP_1) | instid1(SALU_CYCLE_1)
	v_cmp_ge_i32_e32 vcc_lo, v6, v13
	s_or_b32 s5, vcc_lo, s5
	s_and_not1_b32 exec_lo, exec_lo, s5
	s_cbranch_execz .LBB101_21
.LBB101_13:                             ; =>This Loop Header: Depth=1
                                        ;     Child Loop BB101_15 Depth 2
	v_ashrrev_i32_e32 v7, 31, v6
	v_mov_b32_e32 v4, v21
	v_dual_mov_b32 v28, v14 :: v_dual_mov_b32 v27, v15
	v_dual_mov_b32 v26, v16 :: v_dual_mov_b32 v29, v17
	s_delay_alu instid0(VALU_DEP_4) | instskip(SKIP_3) | instid1(VALU_DEP_3)
	v_lshlrev_b64 v[22:23], 2, v[6:7]
	v_dual_mov_b32 v25, v18 :: v_dual_mov_b32 v30, v19
	v_mov_b32_e32 v24, v20
	s_mov_b32 s13, 0
	v_add_co_u32 v22, vcc_lo, s6, v22
	s_delay_alu instid0(VALU_DEP_4) | instskip(SKIP_4) | instid1(VALU_DEP_1)
	v_add_co_ci_u32_e32 v23, vcc_lo, s7, v23, vcc_lo
	global_load_b32 v7, v[22:23], off
	v_mov_b32_e32 v23, v8
	s_waitcnt vmcnt(0)
	v_subrev_nc_u32_e32 v7, s12, v7
	v_mul_lo_u32 v22, v7, 7
	s_branch .LBB101_15
.LBB101_14:                             ;   in Loop: Header=BB101_13 Depth=1
                                        ; implicit-def: $vgpr24
                                        ; implicit-def: $vgpr30
                                        ; implicit-def: $vgpr25
                                        ; implicit-def: $vgpr29
                                        ; implicit-def: $vgpr26
                                        ; implicit-def: $vgpr27
                                        ; implicit-def: $vgpr28
                                        ; implicit-def: $vgpr23
                                        ; implicit-def: $sgpr13
	s_branch .LBB101_12
.LBB101_15:                             ;   Parent Loop BB101_13 Depth=1
                                        ; =>  This Inner Loop Header: Depth=2
	s_delay_alu instid0(VALU_DEP_1) | instskip(SKIP_2) | instid1(VALU_DEP_2)
	v_dual_mov_b32 v8, v5 :: v_dual_add_nc_u32 v7, s13, v22
	v_lshlrev_b64 v[14:15], 3, v[4:5]
	s_cmp_eq_u32 s13, 6
	v_lshlrev_b64 v[16:17], 3, v[7:8]
	s_delay_alu instid0(VALU_DEP_2) | instskip(NEXT) | instid1(VALU_DEP_3)
	v_add_co_u32 v14, vcc_lo, s8, v14
	v_add_co_ci_u32_e32 v15, vcc_lo, s9, v15, vcc_lo
	s_delay_alu instid0(VALU_DEP_3) | instskip(NEXT) | instid1(VALU_DEP_4)
	v_add_co_u32 v16, vcc_lo, s10, v16
	v_add_co_ci_u32_e32 v17, vcc_lo, s11, v17, vcc_lo
	global_load_b128 v[31:34], v[14:15], off
	global_load_b64 v[39:40], v[16:17], off
	global_load_b128 v[35:38], v[14:15], off offset:16
	s_waitcnt vmcnt(1)
	v_fmac_f32_e32 v24, v34, v39
	s_waitcnt vmcnt(0)
	v_fmac_f32_e32 v25, v36, v39
	v_fmac_f32_e32 v23, v32, v39
	v_fmac_f32_e32 v26, v38, v39
	v_fmac_f32_e32 v28, v31, v39
	v_fmac_f32_e32 v30, v33, v39
	v_dual_mov_b32 v18, v25 :: v_dual_fmac_f32 v29, v35, v39
	v_dual_mov_b32 v20, v24 :: v_dual_fmac_f32 v27, v37, v39
	v_mov_b32_e32 v16, v26
	v_mov_b32_e32 v8, v23
	v_fma_f32 v14, -v32, v40, v28
	v_fma_f32 v19, -v34, v40, v30
	;; [unrolled: 1-line block ×4, first 2 shown]
	v_fmac_f32_e32 v8, v31, v40
	v_fmac_f32_e32 v20, v33, v40
	v_fmac_f32_e32 v18, v35, v40
	v_fmac_f32_e32 v16, v37, v40
	s_cbranch_scc1 .LBB101_14
; %bb.16:                               ;   in Loop: Header=BB101_15 Depth=2
	v_dual_mov_b32 v24, v5 :: v_dual_add_nc_u32 v23, 4, v4
	v_dual_mov_b32 v26, v5 :: v_dual_add_nc_u32 v25, 1, v7
	v_add_nc_u32_e32 v4, 8, v4
	s_delay_alu instid0(VALU_DEP_3) | instskip(SKIP_1) | instid1(VALU_DEP_3)
	v_lshlrev_b64 v[23:24], 3, v[23:24]
	s_add_i32 s13, s13, 2
	v_lshlrev_b64 v[25:26], 3, v[25:26]
	s_delay_alu instid0(VALU_DEP_2) | instskip(NEXT) | instid1(VALU_DEP_3)
	v_add_co_u32 v23, vcc_lo, s8, v23
	v_add_co_ci_u32_e32 v24, vcc_lo, s9, v24, vcc_lo
	s_delay_alu instid0(VALU_DEP_3) | instskip(NEXT) | instid1(VALU_DEP_4)
	v_add_co_u32 v25, vcc_lo, s10, v25
	v_add_co_ci_u32_e32 v26, vcc_lo, s11, v26, vcc_lo
	global_load_b128 v[27:30], v[23:24], off
	global_load_b64 v[35:36], v[25:26], off
	global_load_b128 v[31:34], v[23:24], off offset:16
	s_waitcnt vmcnt(1)
	v_fma_f32 v7, v27, v35, v14
	v_fma_f32 v23, v28, v35, v8
	;; [unrolled: 1-line block ×4, first 2 shown]
	s_waitcnt vmcnt(0)
	v_fma_f32 v38, v31, v35, v17
	v_fma_f32 v25, v32, v35, v18
	;; [unrolled: 1-line block ×4, first 2 shown]
	v_fma_f32 v28, -v28, v36, v7
	v_fmac_f32_e32 v23, v27, v36
	v_fma_f32 v30, -v30, v36, v37
	v_fmac_f32_e32 v24, v29, v36
	;; [unrolled: 2-line block ×4, first 2 shown]
	s_cbranch_execnz .LBB101_15
	s_branch .LBB101_12
.LBB101_17:
	v_dual_mov_b32 v1, s4 :: v_dual_mov_b32 v2, s5
	flat_load_b32 v9, v[1:2]
	v_cndmask_b32_e64 v1, 0, 1, s6
	v_mov_b32_e32 v10, s5
	s_and_not1_b32 vcc_lo, exec_lo, s6
	s_cbranch_vccnz .LBB101_2
.LBB101_18:
	v_dual_mov_b32 v2, s4 :: v_dual_mov_b32 v3, s5
	flat_load_b32 v10, v[2:3] offset:4
	v_cmp_ne_u32_e32 vcc_lo, 1, v1
	v_mov_b32_e32 v11, s2
	s_cbranch_vccnz .LBB101_3
.LBB101_19:
	v_dual_mov_b32 v2, s2 :: v_dual_mov_b32 v3, s3
	flat_load_b32 v11, v[2:3]
	v_cmp_ne_u32_e32 vcc_lo, 1, v1
	v_mov_b32_e32 v12, s3
	s_cbranch_vccz .LBB101_4
	s_branch .LBB101_5
.LBB101_20:
                                        ; implicit-def: $vgpr8
                                        ; implicit-def: $vgpr14
                                        ; implicit-def: $vgpr15
                                        ; implicit-def: $vgpr16
                                        ; implicit-def: $vgpr17
                                        ; implicit-def: $vgpr18
                                        ; implicit-def: $vgpr19
                                        ; implicit-def: $vgpr20
	s_branch .LBB101_23
.LBB101_21:
	s_or_b32 exec_lo, exec_lo, s5
.LBB101_22:
	s_delay_alu instid0(SALU_CYCLE_1) | instskip(NEXT) | instid1(SALU_CYCLE_1)
	s_or_b32 exec_lo, exec_lo, s4
	s_and_not1_b32 vcc_lo, exec_lo, s3
	s_cbranch_vccnz .LBB101_32
.LBB101_23:
	v_dual_mov_b32 v8, 0 :: v_dual_mov_b32 v15, 0
	v_dual_mov_b32 v14, 0 :: v_dual_mov_b32 v17, 0
	;; [unrolled: 1-line block ×3, first 2 shown]
	v_mov_b32_e32 v18, 0
	v_mov_b32_e32 v20, 0
	s_and_saveexec_b32 s3, s2
	s_cbranch_execz .LBB101_31
; %bb.24:
	v_mul_lo_u32 v3, v3, 28
	v_mul_lo_u32 v5, v2, 28
	s_mul_i32 s2, s12, 28
	v_dual_mov_b32 v4, 0 :: v_dual_mov_b32 v15, 0
	v_dual_mov_b32 v8, 0 :: v_dual_mov_b32 v17, 0
	;; [unrolled: 1-line block ×3, first 2 shown]
	v_mad_u32_u24 v3, v0, 28, v3
	v_mov_b32_e32 v16, 0
	v_mov_b32_e32 v18, 0
	;; [unrolled: 1-line block ×3, first 2 shown]
	s_delay_alu instid0(VALU_DEP_4)
	v_subrev_nc_u32_e32 v6, s2, v3
	s_mov_b32 s2, 0
	s_branch .LBB101_26
.LBB101_25:                             ;   in Loop: Header=BB101_26 Depth=1
	v_add_nc_u32_e32 v2, 16, v2
	v_add_nc_u32_e32 v5, 0x1c0, v5
	v_add_nc_u32_e32 v6, 0x1c0, v6
	s_delay_alu instid0(VALU_DEP_3) | instskip(SKIP_1) | instid1(SALU_CYCLE_1)
	v_cmp_ge_i32_e32 vcc_lo, v2, v13
	s_or_b32 s2, vcc_lo, s2
	s_and_not1_b32 exec_lo, exec_lo, s2
	s_cbranch_execz .LBB101_30
.LBB101_26:                             ; =>This Loop Header: Depth=1
                                        ;     Child Loop BB101_28 Depth 2
	v_ashrrev_i32_e32 v3, 31, v2
	v_dual_mov_b32 v27, v15 :: v_dual_mov_b32 v28, v17
	v_dual_mov_b32 v25, v16 :: v_dual_mov_b32 v24, v18
	s_delay_alu instid0(VALU_DEP_3) | instskip(SKIP_2) | instid1(VALU_DEP_2)
	v_lshlrev_b64 v[21:22], 2, v[2:3]
	v_dual_mov_b32 v26, v19 :: v_dual_mov_b32 v23, v20
	s_mov_b32 s4, 0
	v_add_co_u32 v21, vcc_lo, s6, v21
	s_delay_alu instid0(VALU_DEP_3) | instskip(SKIP_4) | instid1(VALU_DEP_1)
	v_add_co_ci_u32_e32 v22, vcc_lo, s7, v22, vcc_lo
	global_load_b32 v3, v[21:22], off
	v_dual_mov_b32 v21, v8 :: v_dual_mov_b32 v22, v14
	s_waitcnt vmcnt(0)
	v_subrev_nc_u32_e32 v3, s12, v3
	v_mul_lo_u32 v7, v3, 7
	s_branch .LBB101_28
.LBB101_27:                             ;   in Loop: Header=BB101_26 Depth=1
                                        ; implicit-def: $vgpr23
                                        ; implicit-def: $vgpr26
                                        ; implicit-def: $vgpr24
                                        ; implicit-def: $vgpr28
                                        ; implicit-def: $vgpr25
                                        ; implicit-def: $vgpr27
                                        ; implicit-def: $vgpr22
                                        ; implicit-def: $vgpr21
                                        ; implicit-def: $sgpr4
	s_branch .LBB101_25
.LBB101_28:                             ;   Parent Loop BB101_26 Depth=1
                                        ; =>  This Inner Loop Header: Depth=2
	v_add_nc_u32_e32 v3, s4, v6
	s_cmp_eq_u32 s4, 6
	v_mov_b32_e32 v33, v4
	s_delay_alu instid0(VALU_DEP_2) | instskip(NEXT) | instid1(VALU_DEP_4)
	v_lshlrev_b64 v[14:15], 3, v[3:4]
	v_add_nc_u32_e32 v3, s4, v7
	s_delay_alu instid0(VALU_DEP_1) | instskip(NEXT) | instid1(VALU_DEP_3)
	v_lshlrev_b64 v[30:31], 3, v[3:4]
	v_add_co_u32 v14, vcc_lo, s8, v14
	s_delay_alu instid0(VALU_DEP_4) | instskip(NEXT) | instid1(VALU_DEP_3)
	v_add_co_ci_u32_e32 v15, vcc_lo, s9, v15, vcc_lo
	v_add_co_u32 v30, vcc_lo, s10, v30
	s_delay_alu instid0(VALU_DEP_4) | instskip(SKIP_4) | instid1(VALU_DEP_1)
	v_add_co_ci_u32_e32 v31, vcc_lo, s11, v31, vcc_lo
	global_load_b64 v[34:35], v[14:15], off
	global_load_b64 v[30:31], v[30:31], off
	s_waitcnt vmcnt(0)
	v_dual_fmac_f32 v22, v34, v30 :: v_dual_add_nc_u32 v29, s4, v5
	v_dual_mov_b32 v17, v4 :: v_dual_add_nc_u32 v16, 7, v29
	v_dual_mov_b32 v19, v4 :: v_dual_add_nc_u32 v18, 14, v29
	v_add_nc_u32_e32 v32, 21, v29
	s_delay_alu instid0(VALU_DEP_3) | instskip(NEXT) | instid1(VALU_DEP_3)
	v_lshlrev_b64 v[16:17], 3, v[16:17]
	v_lshlrev_b64 v[18:19], 3, v[18:19]
	s_delay_alu instid0(VALU_DEP_2) | instskip(NEXT) | instid1(VALU_DEP_3)
	v_add_co_u32 v14, vcc_lo, s8, v16
	v_add_co_ci_u32_e32 v15, vcc_lo, s9, v17, vcc_lo
	v_lshlrev_b64 v[16:17], 3, v[32:33]
	s_delay_alu instid0(VALU_DEP_4) | instskip(SKIP_1) | instid1(VALU_DEP_3)
	v_add_co_u32 v18, vcc_lo, s8, v18
	v_add_co_ci_u32_e32 v19, vcc_lo, s9, v19, vcc_lo
	v_add_co_u32 v16, vcc_lo, s8, v16
	s_delay_alu instid0(VALU_DEP_4)
	v_add_co_ci_u32_e32 v17, vcc_lo, s9, v17, vcc_lo
	s_clause 0x2
	global_load_b64 v[32:33], v[14:15], off
	global_load_b64 v[36:37], v[18:19], off
	;; [unrolled: 1-line block ×3, first 2 shown]
	v_fma_f32 v14, -v35, v31, v22
	s_waitcnt vmcnt(2)
	v_fmac_f32_e32 v26, v32, v30
	s_waitcnt vmcnt(1)
	v_fmac_f32_e32 v24, v37, v30
	v_fmac_f32_e32 v21, v35, v30
	;; [unrolled: 1-line block ×3, first 2 shown]
	v_fma_f32 v19, -v33, v31, v26
	s_delay_alu instid0(VALU_DEP_4) | instskip(NEXT) | instid1(VALU_DEP_4)
	v_mov_b32_e32 v18, v24
	v_mov_b32_e32 v8, v21
	v_fmac_f32_e32 v23, v33, v30
	v_fma_f32 v17, -v37, v31, v28
	s_delay_alu instid0(VALU_DEP_4) | instskip(NEXT) | instid1(VALU_DEP_4)
	v_fmac_f32_e32 v18, v36, v31
	v_fmac_f32_e32 v8, v34, v31
	s_waitcnt vmcnt(0)
	v_dual_fmac_f32 v27, v38, v30 :: v_dual_mov_b32 v20, v23
	v_fmac_f32_e32 v25, v39, v30
	s_delay_alu instid0(VALU_DEP_2) | instskip(NEXT) | instid1(VALU_DEP_3)
	v_fma_f32 v15, -v39, v31, v27
	v_fmac_f32_e32 v20, v32, v31
	s_delay_alu instid0(VALU_DEP_3) | instskip(NEXT) | instid1(VALU_DEP_1)
	v_mov_b32_e32 v16, v25
	v_fmac_f32_e32 v16, v38, v31
	s_cbranch_scc1 .LBB101_27
; %bb.29:                               ;   in Loop: Header=BB101_28 Depth=2
	v_dual_mov_b32 v22, v4 :: v_dual_add_nc_u32 v3, 1, v3
	v_add_nc_u32_e32 v21, 1, v29
	s_add_i32 s4, s4, 2
	s_delay_alu instid0(VALU_DEP_2) | instskip(SKIP_1) | instid1(VALU_DEP_3)
	v_lshlrev_b64 v[23:24], 3, v[3:4]
	v_add_nc_u32_e32 v3, 8, v29
	v_lshlrev_b64 v[21:22], 3, v[21:22]
	s_delay_alu instid0(VALU_DEP_2) | instskip(SKIP_1) | instid1(VALU_DEP_3)
	v_lshlrev_b64 v[25:26], 3, v[3:4]
	v_add_nc_u32_e32 v3, 15, v29
	v_add_co_u32 v21, vcc_lo, s8, v21
	s_delay_alu instid0(VALU_DEP_4)
	v_add_co_ci_u32_e32 v22, vcc_lo, s9, v22, vcc_lo
	v_add_co_u32 v23, vcc_lo, s10, v23
	v_add_co_ci_u32_e32 v24, vcc_lo, s11, v24, vcc_lo
	v_add_co_u32 v25, vcc_lo, s8, v25
	v_lshlrev_b64 v[27:28], 3, v[3:4]
	v_add_nc_u32_e32 v3, 22, v29
	v_add_co_ci_u32_e32 v26, vcc_lo, s9, v26, vcc_lo
	global_load_b64 v[29:30], v[21:22], off
	global_load_b64 v[31:32], v[23:24], off
	;; [unrolled: 1-line block ×3, first 2 shown]
	v_lshlrev_b64 v[21:22], 3, v[3:4]
	v_add_co_u32 v23, vcc_lo, s8, v27
	v_add_co_ci_u32_e32 v24, vcc_lo, s9, v28, vcc_lo
	s_delay_alu instid0(VALU_DEP_3) | instskip(NEXT) | instid1(VALU_DEP_4)
	v_add_co_u32 v21, vcc_lo, s8, v21
	v_add_co_ci_u32_e32 v22, vcc_lo, s9, v22, vcc_lo
	s_clause 0x1
	global_load_b64 v[27:28], v[23:24], off
	global_load_b64 v[35:36], v[21:22], off
	s_waitcnt vmcnt(3)
	v_fma_f32 v3, v29, v31, v14
	v_fma_f32 v21, v30, v31, v8
	s_waitcnt vmcnt(2)
	v_fma_f32 v24, v33, v31, v19
	v_fma_f32 v23, v34, v31, v20
	v_fma_f32 v22, -v30, v32, v3
	v_fmac_f32_e32 v21, v29, v32
	s_delay_alu instid0(VALU_DEP_4) | instskip(NEXT) | instid1(VALU_DEP_4)
	v_fma_f32 v26, -v34, v32, v24
	v_fmac_f32_e32 v23, v33, v32
	s_waitcnt vmcnt(1)
	v_fma_f32 v3, v27, v31, v17
	v_fma_f32 v24, v28, v31, v18
	s_waitcnt vmcnt(0)
	v_fma_f32 v29, v35, v31, v15
	v_fma_f32 v25, v36, v31, v16
	v_fma_f32 v28, -v28, v32, v3
	v_fmac_f32_e32 v24, v27, v32
	s_delay_alu instid0(VALU_DEP_4) | instskip(NEXT) | instid1(VALU_DEP_4)
	v_fma_f32 v27, -v36, v32, v29
	v_fmac_f32_e32 v25, v35, v32
	s_cbranch_execnz .LBB101_28
	s_branch .LBB101_25
.LBB101_30:
	s_or_b32 exec_lo, exec_lo, s2
.LBB101_31:
	s_delay_alu instid0(SALU_CYCLE_1)
	s_or_b32 exec_lo, exec_lo, s3
.LBB101_32:
	v_mbcnt_lo_u32_b32 v2, -1, 0
	s_delay_alu instid0(VALU_DEP_1) | instskip(SKIP_1) | instid1(VALU_DEP_2)
	v_xor_b32_e32 v3, 8, v2
	v_xor_b32_e32 v23, 4, v2
	v_cmp_gt_i32_e32 vcc_lo, 32, v3
	v_cndmask_b32_e32 v3, v2, v3, vcc_lo
	s_delay_alu instid0(VALU_DEP_3) | instskip(NEXT) | instid1(VALU_DEP_2)
	v_cmp_gt_i32_e32 vcc_lo, 32, v23
	v_lshlrev_b32_e32 v3, 2, v3
	ds_bpermute_b32 v4, v3, v14
	s_waitcnt lgkmcnt(0)
	v_add_f32_e32 v4, v14, v4
	ds_bpermute_b32 v5, v3, v8
	ds_bpermute_b32 v7, v3, v20
	;; [unrolled: 1-line block ×7, first 2 shown]
	v_cndmask_b32_e32 v23, v2, v23, vcc_lo
	s_waitcnt lgkmcnt(5)
	v_add_f32_e32 v7, v20, v7
	v_add_f32_e32 v5, v8, v5
	s_waitcnt lgkmcnt(4)
	v_dual_add_f32 v8, v17, v13 :: v_dual_lshlrev_b32 v23, 2, v23
	s_waitcnt lgkmcnt(3)
	v_add_f32_e32 v14, v15, v22
	s_waitcnt lgkmcnt(0)
	v_dual_add_f32 v6, v19, v6 :: v_dual_add_f32 v3, v16, v3
	ds_bpermute_b32 v15, v23, v4
	ds_bpermute_b32 v16, v23, v5
	;; [unrolled: 1-line block ×3, first 2 shown]
	v_add_f32_e32 v13, v18, v21
	ds_bpermute_b32 v17, v23, v6
	ds_bpermute_b32 v18, v23, v7
	;; [unrolled: 1-line block ×4, first 2 shown]
	s_waitcnt lgkmcnt(6)
	v_add_f32_e32 v4, v4, v15
	ds_bpermute_b32 v20, v23, v13
	v_xor_b32_e32 v23, 2, v2
	s_waitcnt lgkmcnt(5)
	v_dual_add_f32 v5, v5, v16 :: v_dual_add_f32 v8, v8, v19
	s_waitcnt lgkmcnt(3)
	v_dual_add_f32 v15, v6, v17 :: v_dual_add_f32 v16, v7, v18
	v_cmp_gt_i32_e32 vcc_lo, 32, v23
	s_waitcnt lgkmcnt(2)
	v_add_f32_e32 v18, v14, v21
	v_cndmask_b32_e32 v23, v2, v23, vcc_lo
	s_delay_alu instid0(VALU_DEP_1)
	v_lshlrev_b32_e32 v23, 2, v23
	s_waitcnt lgkmcnt(0)
	v_add_f32_e32 v17, v13, v20
	ds_bpermute_b32 v6, v23, v5
	ds_bpermute_b32 v7, v23, v15
	;; [unrolled: 1-line block ×6, first 2 shown]
	s_waitcnt lgkmcnt(5)
	v_add_f32_e32 v6, v5, v6
	v_add_f32_e32 v19, v3, v22
	ds_bpermute_b32 v3, v23, v4
	s_waitcnt lgkmcnt(4)
	v_add_f32_e32 v13, v16, v13
	s_waitcnt lgkmcnt(3)
	v_add_f32_e32 v14, v8, v14
	ds_bpermute_b32 v22, v23, v19
	v_xor_b32_e32 v23, 1, v2
	s_delay_alu instid0(VALU_DEP_1) | instskip(SKIP_3) | instid1(VALU_DEP_2)
	v_cmp_gt_i32_e32 vcc_lo, 32, v23
	v_cndmask_b32_e32 v2, v2, v23, vcc_lo
	v_cmp_eq_u32_e32 vcc_lo, 15, v0
	s_waitcnt lgkmcnt(1)
	v_dual_add_f32 v2, v4, v3 :: v_dual_lshlrev_b32 v23, 2, v2
	v_add_f32_e32 v7, v15, v7
	v_add_f32_e32 v15, v17, v20
	;; [unrolled: 1-line block ×3, first 2 shown]
	s_waitcnt lgkmcnt(0)
	v_add_f32_e32 v5, v19, v22
	ds_bpermute_b32 v4, v23, v2
	ds_bpermute_b32 v8, v23, v6
	;; [unrolled: 1-line block ×8, first 2 shown]
	s_and_b32 exec_lo, exec_lo, vcc_lo
	s_cbranch_execz .LBB101_37
; %bb.33:
	s_load_b64 s[2:3], s[0:1], 0x38
	v_cmp_eq_f32_e32 vcc_lo, 0, v11
	v_cmp_eq_f32_e64 s0, 0, v12
	s_waitcnt lgkmcnt(0)
	v_add_f32_e32 v4, v2, v4
	v_dual_add_f32 v8, v6, v8 :: v_dual_add_f32 v5, v5, v17
	v_dual_add_f32 v0, v7, v18 :: v_dual_add_f32 v7, v13, v19
	v_add_f32_e32 v2, v14, v20
	v_add_f32_e32 v6, v15, v21
	;; [unrolled: 1-line block ×3, first 2 shown]
	s_and_b32 s0, vcc_lo, s0
	s_delay_alu instid0(SALU_CYCLE_1) | instskip(NEXT) | instid1(SALU_CYCLE_1)
	s_and_saveexec_b32 s1, s0
	s_xor_b32 s0, exec_lo, s1
	s_cbranch_execz .LBB101_35
; %bb.34:
	v_mul_f32_e64 v11, v8, -v10
	v_mul_f32_e32 v12, v8, v9
	v_mul_f32_e64 v13, v7, -v10
	v_mul_f32_e32 v14, v7, v9
	v_mul_f32_e64 v15, v6, -v10
	v_fmac_f32_e32 v11, v9, v4
	v_dual_fmac_f32 v12, v10, v4 :: v_dual_lshlrev_b32 v17, 2, v1
	s_delay_alu instid0(VALU_DEP_3) | instskip(SKIP_1) | instid1(VALU_DEP_3)
	v_dual_mul_f32 v16, v6, v9 :: v_dual_fmac_f32 v15, v9, v2
	v_fmac_f32_e32 v13, v9, v0
	v_ashrrev_i32_e32 v18, 31, v17
                                        ; implicit-def: $vgpr1
                                        ; implicit-def: $vgpr4
                                        ; implicit-def: $vgpr8
	s_delay_alu instid0(VALU_DEP_3) | instskip(NEXT) | instid1(VALU_DEP_2)
	v_fmac_f32_e32 v16, v10, v2
                                        ; implicit-def: $vgpr2
	v_lshlrev_b64 v[6:7], 3, v[17:18]
	v_mul_f32_e64 v17, v5, -v10
	v_mul_f32_e32 v18, v5, v9
	v_fmac_f32_e32 v14, v10, v0
                                        ; implicit-def: $vgpr0
                                        ; implicit-def: $vgpr5
	s_delay_alu instid0(VALU_DEP_3)
	v_fmac_f32_e32 v17, v9, v3
	v_add_co_u32 v6, vcc_lo, s2, v6
	v_add_co_ci_u32_e32 v7, vcc_lo, s3, v7, vcc_lo
	v_fmac_f32_e32 v18, v10, v3
	s_clause 0x1
	global_store_b128 v[6:7], v[11:14], off
	global_store_b128 v[6:7], v[15:18], off offset:16
                                        ; implicit-def: $vgpr9
                                        ; implicit-def: $vgpr10
                                        ; implicit-def: $vgpr11
                                        ; implicit-def: $vgpr12
                                        ; implicit-def: $vgpr7
                                        ; implicit-def: $vgpr6
                                        ; implicit-def: $vgpr3
.LBB101_35:
	s_and_not1_saveexec_b32 s0, s0
	s_cbranch_execz .LBB101_37
; %bb.36:
	v_mul_f32_e32 v22, v8, v9
	v_lshlrev_b32_e32 v13, 2, v1
	v_mul_f32_e64 v1, v8, -v10
	v_mul_f32_e64 v23, v7, -v10
	v_mul_f32_e32 v24, v7, v9
	v_mul_f32_e64 v7, v6, -v10
	s_delay_alu instid0(VALU_DEP_4) | instskip(SKIP_2) | instid1(VALU_DEP_4)
	v_dual_mul_f32 v6, v6, v9 :: v_dual_fmac_f32 v1, v9, v4
	v_fmac_f32_e32 v22, v10, v4
	v_ashrrev_i32_e32 v14, 31, v13
	v_fmac_f32_e32 v7, v9, v2
	v_mul_f32_e64 v27, v5, -v10
	v_fmac_f32_e32 v23, v9, v0
	v_fmac_f32_e32 v24, v10, v0
	v_lshlrev_b64 v[13:14], 3, v[13:14]
	s_delay_alu instid0(VALU_DEP_4) | instskip(NEXT) | instid1(VALU_DEP_2)
	v_fmac_f32_e32 v27, v9, v3
	v_add_co_u32 v25, vcc_lo, s2, v13
	s_delay_alu instid0(VALU_DEP_3)
	v_add_co_ci_u32_e32 v26, vcc_lo, s3, v14, vcc_lo
	s_clause 0x1
	global_load_b128 v[13:16], v[25:26], off
	global_load_b128 v[17:20], v[25:26], off offset:16
	v_mul_f32_e32 v8, v5, v9
	s_waitcnt vmcnt(1)
	v_dual_fmac_f32 v6, v10, v2 :: v_dual_fmac_f32 v1, v11, v13
	v_fmac_f32_e32 v23, v11, v15
	s_waitcnt vmcnt(0)
	v_dual_fmac_f32 v8, v10, v3 :: v_dual_fmac_f32 v7, v11, v17
	v_dual_fmac_f32 v22, v12, v13 :: v_dual_fmac_f32 v27, v11, v19
	v_fmac_f32_e32 v24, v12, v15
	v_fmac_f32_e32 v6, v12, v17
	s_delay_alu instid0(VALU_DEP_4)
	v_fmac_f32_e32 v8, v12, v19
	v_fma_f32 v21, -v12, v14, v1
	v_fmac_f32_e32 v22, v11, v14
	v_fma_f32 v23, -v12, v16, v23
	;; [unrolled: 2-line block ×4, first 2 shown]
	v_fmac_f32_e32 v8, v11, v20
	s_clause 0x1
	global_store_b128 v[25:26], v[21:24], off
	global_store_b128 v[25:26], v[5:8], off offset:16
.LBB101_37:
	s_nop 0
	s_sendmsg sendmsg(MSG_DEALLOC_VGPRS)
	s_endpgm
	.section	.rodata,"a",@progbits
	.p2align	6, 0x0
	.amdhsa_kernel _ZN9rocsparseL19gebsrmvn_4xn_kernelILj128ELj7ELj16E21rocsparse_complex_numIfEEEvi20rocsparse_direction_NS_24const_host_device_scalarIT2_EEPKiS8_PKS5_SA_S6_PS5_21rocsparse_index_base_b
		.amdhsa_group_segment_fixed_size 0
		.amdhsa_private_segment_fixed_size 0
		.amdhsa_kernarg_size 72
		.amdhsa_user_sgpr_count 15
		.amdhsa_user_sgpr_dispatch_ptr 0
		.amdhsa_user_sgpr_queue_ptr 0
		.amdhsa_user_sgpr_kernarg_segment_ptr 1
		.amdhsa_user_sgpr_dispatch_id 0
		.amdhsa_user_sgpr_private_segment_size 0
		.amdhsa_wavefront_size32 1
		.amdhsa_uses_dynamic_stack 0
		.amdhsa_enable_private_segment 0
		.amdhsa_system_sgpr_workgroup_id_x 1
		.amdhsa_system_sgpr_workgroup_id_y 0
		.amdhsa_system_sgpr_workgroup_id_z 0
		.amdhsa_system_sgpr_workgroup_info 0
		.amdhsa_system_vgpr_workitem_id 0
		.amdhsa_next_free_vgpr 41
		.amdhsa_next_free_sgpr 16
		.amdhsa_reserve_vcc 1
		.amdhsa_float_round_mode_32 0
		.amdhsa_float_round_mode_16_64 0
		.amdhsa_float_denorm_mode_32 3
		.amdhsa_float_denorm_mode_16_64 3
		.amdhsa_dx10_clamp 1
		.amdhsa_ieee_mode 1
		.amdhsa_fp16_overflow 0
		.amdhsa_workgroup_processor_mode 1
		.amdhsa_memory_ordered 1
		.amdhsa_forward_progress 0
		.amdhsa_shared_vgpr_count 0
		.amdhsa_exception_fp_ieee_invalid_op 0
		.amdhsa_exception_fp_denorm_src 0
		.amdhsa_exception_fp_ieee_div_zero 0
		.amdhsa_exception_fp_ieee_overflow 0
		.amdhsa_exception_fp_ieee_underflow 0
		.amdhsa_exception_fp_ieee_inexact 0
		.amdhsa_exception_int_div_zero 0
	.end_amdhsa_kernel
	.section	.text._ZN9rocsparseL19gebsrmvn_4xn_kernelILj128ELj7ELj16E21rocsparse_complex_numIfEEEvi20rocsparse_direction_NS_24const_host_device_scalarIT2_EEPKiS8_PKS5_SA_S6_PS5_21rocsparse_index_base_b,"axG",@progbits,_ZN9rocsparseL19gebsrmvn_4xn_kernelILj128ELj7ELj16E21rocsparse_complex_numIfEEEvi20rocsparse_direction_NS_24const_host_device_scalarIT2_EEPKiS8_PKS5_SA_S6_PS5_21rocsparse_index_base_b,comdat
.Lfunc_end101:
	.size	_ZN9rocsparseL19gebsrmvn_4xn_kernelILj128ELj7ELj16E21rocsparse_complex_numIfEEEvi20rocsparse_direction_NS_24const_host_device_scalarIT2_EEPKiS8_PKS5_SA_S6_PS5_21rocsparse_index_base_b, .Lfunc_end101-_ZN9rocsparseL19gebsrmvn_4xn_kernelILj128ELj7ELj16E21rocsparse_complex_numIfEEEvi20rocsparse_direction_NS_24const_host_device_scalarIT2_EEPKiS8_PKS5_SA_S6_PS5_21rocsparse_index_base_b
                                        ; -- End function
	.section	.AMDGPU.csdata,"",@progbits
; Kernel info:
; codeLenInByte = 3056
; NumSgprs: 18
; NumVgprs: 41
; ScratchSize: 0
; MemoryBound: 0
; FloatMode: 240
; IeeeMode: 1
; LDSByteSize: 0 bytes/workgroup (compile time only)
; SGPRBlocks: 2
; VGPRBlocks: 5
; NumSGPRsForWavesPerEU: 18
; NumVGPRsForWavesPerEU: 41
; Occupancy: 16
; WaveLimiterHint : 1
; COMPUTE_PGM_RSRC2:SCRATCH_EN: 0
; COMPUTE_PGM_RSRC2:USER_SGPR: 15
; COMPUTE_PGM_RSRC2:TRAP_HANDLER: 0
; COMPUTE_PGM_RSRC2:TGID_X_EN: 1
; COMPUTE_PGM_RSRC2:TGID_Y_EN: 0
; COMPUTE_PGM_RSRC2:TGID_Z_EN: 0
; COMPUTE_PGM_RSRC2:TIDIG_COMP_CNT: 0
	.section	.text._ZN9rocsparseL19gebsrmvn_4xn_kernelILj128ELj7ELj32E21rocsparse_complex_numIfEEEvi20rocsparse_direction_NS_24const_host_device_scalarIT2_EEPKiS8_PKS5_SA_S6_PS5_21rocsparse_index_base_b,"axG",@progbits,_ZN9rocsparseL19gebsrmvn_4xn_kernelILj128ELj7ELj32E21rocsparse_complex_numIfEEEvi20rocsparse_direction_NS_24const_host_device_scalarIT2_EEPKiS8_PKS5_SA_S6_PS5_21rocsparse_index_base_b,comdat
	.globl	_ZN9rocsparseL19gebsrmvn_4xn_kernelILj128ELj7ELj32E21rocsparse_complex_numIfEEEvi20rocsparse_direction_NS_24const_host_device_scalarIT2_EEPKiS8_PKS5_SA_S6_PS5_21rocsparse_index_base_b ; -- Begin function _ZN9rocsparseL19gebsrmvn_4xn_kernelILj128ELj7ELj32E21rocsparse_complex_numIfEEEvi20rocsparse_direction_NS_24const_host_device_scalarIT2_EEPKiS8_PKS5_SA_S6_PS5_21rocsparse_index_base_b
	.p2align	8
	.type	_ZN9rocsparseL19gebsrmvn_4xn_kernelILj128ELj7ELj32E21rocsparse_complex_numIfEEEvi20rocsparse_direction_NS_24const_host_device_scalarIT2_EEPKiS8_PKS5_SA_S6_PS5_21rocsparse_index_base_b,@function
_ZN9rocsparseL19gebsrmvn_4xn_kernelILj128ELj7ELj32E21rocsparse_complex_numIfEEEvi20rocsparse_direction_NS_24const_host_device_scalarIT2_EEPKiS8_PKS5_SA_S6_PS5_21rocsparse_index_base_b: ; @_ZN9rocsparseL19gebsrmvn_4xn_kernelILj128ELj7ELj32E21rocsparse_complex_numIfEEEvi20rocsparse_direction_NS_24const_host_device_scalarIT2_EEPKiS8_PKS5_SA_S6_PS5_21rocsparse_index_base_b
; %bb.0:
	s_clause 0x2
	s_load_b64 s[12:13], s[0:1], 0x40
	s_load_b64 s[4:5], s[0:1], 0x8
	;; [unrolled: 1-line block ×3, first 2 shown]
	s_waitcnt lgkmcnt(0)
	s_bitcmp1_b32 s13, 0
	v_mov_b32_e32 v9, s4
	s_cselect_b32 s6, -1, 0
	s_delay_alu instid0(SALU_CYCLE_1)
	s_and_b32 vcc_lo, exec_lo, s6
	s_xor_b32 s6, s6, -1
	s_cbranch_vccz .LBB102_17
; %bb.1:
	v_cndmask_b32_e64 v1, 0, 1, s6
	v_mov_b32_e32 v10, s5
	s_and_not1_b32 vcc_lo, exec_lo, s6
	s_cbranch_vccz .LBB102_18
.LBB102_2:
	s_delay_alu instid0(VALU_DEP_2)
	v_cmp_ne_u32_e32 vcc_lo, 1, v1
	v_mov_b32_e32 v11, s2
	s_cbranch_vccz .LBB102_19
.LBB102_3:
	v_cmp_ne_u32_e32 vcc_lo, 1, v1
	v_mov_b32_e32 v12, s3
	s_cbranch_vccnz .LBB102_5
.LBB102_4:
	v_dual_mov_b32 v1, s2 :: v_dual_mov_b32 v2, s3
	flat_load_b32 v12, v[1:2] offset:4
.LBB102_5:
	s_waitcnt vmcnt(0) lgkmcnt(0)
	v_cmp_eq_f32_e32 vcc_lo, 0, v9
	v_cmp_eq_f32_e64 s2, 0, v10
	s_delay_alu instid0(VALU_DEP_1)
	s_and_b32 s4, vcc_lo, s2
	s_mov_b32 s2, -1
	s_and_saveexec_b32 s3, s4
; %bb.6:
	v_cmp_neq_f32_e32 vcc_lo, 1.0, v11
	v_cmp_neq_f32_e64 s2, 0, v12
	s_delay_alu instid0(VALU_DEP_1) | instskip(NEXT) | instid1(SALU_CYCLE_1)
	s_or_b32 s2, vcc_lo, s2
	s_or_not1_b32 s2, s2, exec_lo
; %bb.7:
	s_or_b32 exec_lo, exec_lo, s3
	s_and_saveexec_b32 s3, s2
	s_cbranch_execz .LBB102_37
; %bb.8:
	s_load_b64 s[2:3], s[0:1], 0x0
	v_lshrrev_b32_e32 v1, 5, v0
	s_delay_alu instid0(VALU_DEP_1) | instskip(SKIP_1) | instid1(VALU_DEP_1)
	v_lshl_or_b32 v1, s15, 2, v1
	s_waitcnt lgkmcnt(0)
	v_cmp_gt_i32_e32 vcc_lo, s2, v1
	s_and_b32 exec_lo, exec_lo, vcc_lo
	s_cbranch_execz .LBB102_37
; %bb.9:
	s_load_b256 s[4:11], s[0:1], 0x10
	v_ashrrev_i32_e32 v2, 31, v1
	v_and_b32_e32 v0, 31, v0
	s_cmp_lg_u32 s3, 0
	s_delay_alu instid0(VALU_DEP_2) | instskip(SKIP_1) | instid1(VALU_DEP_1)
	v_lshlrev_b64 v[2:3], 2, v[1:2]
	s_waitcnt lgkmcnt(0)
	v_add_co_u32 v2, vcc_lo, s4, v2
	s_delay_alu instid0(VALU_DEP_2) | instskip(SKIP_4) | instid1(VALU_DEP_2)
	v_add_co_ci_u32_e32 v3, vcc_lo, s5, v3, vcc_lo
	global_load_b64 v[3:4], v[2:3], off
	s_waitcnt vmcnt(0)
	v_subrev_nc_u32_e32 v2, s12, v3
	v_subrev_nc_u32_e32 v13, s12, v4
	v_add_nc_u32_e32 v2, v2, v0
	s_delay_alu instid0(VALU_DEP_1)
	v_cmp_lt_i32_e64 s2, v2, v13
	s_cbranch_scc0 .LBB102_20
; %bb.10:
	v_dual_mov_b32 v8, 0 :: v_dual_mov_b32 v15, 0
	v_dual_mov_b32 v14, 0 :: v_dual_mov_b32 v17, 0
	;; [unrolled: 1-line block ×3, first 2 shown]
	v_mov_b32_e32 v18, 0
	v_mov_b32_e32 v20, 0
	s_mov_b32 s3, 0
	s_and_saveexec_b32 s4, s2
	s_cbranch_execz .LBB102_22
; %bb.11:
	v_mul_lo_u32 v21, v2, 28
	v_dual_mov_b32 v5, 0 :: v_dual_mov_b32 v6, v2
	v_dual_mov_b32 v8, 0 :: v_dual_mov_b32 v15, 0
	;; [unrolled: 1-line block ×4, first 2 shown]
	v_mov_b32_e32 v18, 0
	v_mov_b32_e32 v20, 0
	s_mov_b32 s5, 0
	s_branch .LBB102_13
.LBB102_12:                             ;   in Loop: Header=BB102_13 Depth=1
	v_add_nc_u32_e32 v6, 32, v6
	v_add_nc_u32_e32 v21, 0x380, v21
	s_delay_alu instid0(VALU_DEP_2) | instskip(SKIP_1) | instid1(SALU_CYCLE_1)
	v_cmp_ge_i32_e32 vcc_lo, v6, v13
	s_or_b32 s5, vcc_lo, s5
	s_and_not1_b32 exec_lo, exec_lo, s5
	s_cbranch_execz .LBB102_21
.LBB102_13:                             ; =>This Loop Header: Depth=1
                                        ;     Child Loop BB102_15 Depth 2
	v_ashrrev_i32_e32 v7, 31, v6
	v_mov_b32_e32 v4, v21
	v_dual_mov_b32 v28, v14 :: v_dual_mov_b32 v27, v15
	v_dual_mov_b32 v26, v16 :: v_dual_mov_b32 v29, v17
	s_delay_alu instid0(VALU_DEP_4) | instskip(SKIP_3) | instid1(VALU_DEP_3)
	v_lshlrev_b64 v[22:23], 2, v[6:7]
	v_dual_mov_b32 v25, v18 :: v_dual_mov_b32 v30, v19
	v_mov_b32_e32 v24, v20
	s_mov_b32 s13, 0
	v_add_co_u32 v22, vcc_lo, s6, v22
	s_delay_alu instid0(VALU_DEP_4) | instskip(SKIP_4) | instid1(VALU_DEP_1)
	v_add_co_ci_u32_e32 v23, vcc_lo, s7, v23, vcc_lo
	global_load_b32 v7, v[22:23], off
	v_mov_b32_e32 v23, v8
	s_waitcnt vmcnt(0)
	v_subrev_nc_u32_e32 v7, s12, v7
	v_mul_lo_u32 v22, v7, 7
	s_branch .LBB102_15
.LBB102_14:                             ;   in Loop: Header=BB102_13 Depth=1
                                        ; implicit-def: $vgpr24
                                        ; implicit-def: $vgpr30
                                        ; implicit-def: $vgpr25
                                        ; implicit-def: $vgpr29
                                        ; implicit-def: $vgpr26
                                        ; implicit-def: $vgpr27
                                        ; implicit-def: $vgpr28
                                        ; implicit-def: $vgpr23
                                        ; implicit-def: $sgpr13
	s_branch .LBB102_12
.LBB102_15:                             ;   Parent Loop BB102_13 Depth=1
                                        ; =>  This Inner Loop Header: Depth=2
	s_delay_alu instid0(VALU_DEP_1) | instskip(SKIP_2) | instid1(VALU_DEP_2)
	v_dual_mov_b32 v8, v5 :: v_dual_add_nc_u32 v7, s13, v22
	v_lshlrev_b64 v[14:15], 3, v[4:5]
	s_cmp_eq_u32 s13, 6
	v_lshlrev_b64 v[16:17], 3, v[7:8]
	s_delay_alu instid0(VALU_DEP_2) | instskip(NEXT) | instid1(VALU_DEP_3)
	v_add_co_u32 v14, vcc_lo, s8, v14
	v_add_co_ci_u32_e32 v15, vcc_lo, s9, v15, vcc_lo
	s_delay_alu instid0(VALU_DEP_3) | instskip(NEXT) | instid1(VALU_DEP_4)
	v_add_co_u32 v16, vcc_lo, s10, v16
	v_add_co_ci_u32_e32 v17, vcc_lo, s11, v17, vcc_lo
	global_load_b128 v[31:34], v[14:15], off
	global_load_b64 v[39:40], v[16:17], off
	global_load_b128 v[35:38], v[14:15], off offset:16
	s_waitcnt vmcnt(1)
	v_fmac_f32_e32 v24, v34, v39
	s_waitcnt vmcnt(0)
	v_fmac_f32_e32 v25, v36, v39
	v_fmac_f32_e32 v23, v32, v39
	;; [unrolled: 1-line block ×5, first 2 shown]
	v_dual_mov_b32 v18, v25 :: v_dual_fmac_f32 v29, v35, v39
	v_dual_mov_b32 v20, v24 :: v_dual_fmac_f32 v27, v37, v39
	v_mov_b32_e32 v16, v26
	v_mov_b32_e32 v8, v23
	v_fma_f32 v14, -v32, v40, v28
	v_fma_f32 v19, -v34, v40, v30
	;; [unrolled: 1-line block ×4, first 2 shown]
	v_fmac_f32_e32 v8, v31, v40
	v_fmac_f32_e32 v20, v33, v40
	;; [unrolled: 1-line block ×4, first 2 shown]
	s_cbranch_scc1 .LBB102_14
; %bb.16:                               ;   in Loop: Header=BB102_15 Depth=2
	v_dual_mov_b32 v24, v5 :: v_dual_add_nc_u32 v23, 4, v4
	v_dual_mov_b32 v26, v5 :: v_dual_add_nc_u32 v25, 1, v7
	v_add_nc_u32_e32 v4, 8, v4
	s_delay_alu instid0(VALU_DEP_3) | instskip(SKIP_1) | instid1(VALU_DEP_3)
	v_lshlrev_b64 v[23:24], 3, v[23:24]
	s_add_i32 s13, s13, 2
	v_lshlrev_b64 v[25:26], 3, v[25:26]
	s_delay_alu instid0(VALU_DEP_2) | instskip(NEXT) | instid1(VALU_DEP_3)
	v_add_co_u32 v23, vcc_lo, s8, v23
	v_add_co_ci_u32_e32 v24, vcc_lo, s9, v24, vcc_lo
	s_delay_alu instid0(VALU_DEP_3) | instskip(NEXT) | instid1(VALU_DEP_4)
	v_add_co_u32 v25, vcc_lo, s10, v25
	v_add_co_ci_u32_e32 v26, vcc_lo, s11, v26, vcc_lo
	global_load_b128 v[27:30], v[23:24], off
	global_load_b64 v[35:36], v[25:26], off
	global_load_b128 v[31:34], v[23:24], off offset:16
	s_waitcnt vmcnt(1)
	v_fma_f32 v7, v27, v35, v14
	v_fma_f32 v23, v28, v35, v8
	;; [unrolled: 1-line block ×4, first 2 shown]
	s_waitcnt vmcnt(0)
	v_fma_f32 v38, v31, v35, v17
	v_fma_f32 v25, v32, v35, v18
	;; [unrolled: 1-line block ×4, first 2 shown]
	v_fma_f32 v28, -v28, v36, v7
	v_fmac_f32_e32 v23, v27, v36
	v_fma_f32 v30, -v30, v36, v37
	v_fmac_f32_e32 v24, v29, v36
	;; [unrolled: 2-line block ×4, first 2 shown]
	s_cbranch_execnz .LBB102_15
	s_branch .LBB102_12
.LBB102_17:
	v_dual_mov_b32 v1, s4 :: v_dual_mov_b32 v2, s5
	flat_load_b32 v9, v[1:2]
	v_cndmask_b32_e64 v1, 0, 1, s6
	v_mov_b32_e32 v10, s5
	s_and_not1_b32 vcc_lo, exec_lo, s6
	s_cbranch_vccnz .LBB102_2
.LBB102_18:
	v_dual_mov_b32 v2, s4 :: v_dual_mov_b32 v3, s5
	flat_load_b32 v10, v[2:3] offset:4
	v_cmp_ne_u32_e32 vcc_lo, 1, v1
	v_mov_b32_e32 v11, s2
	s_cbranch_vccnz .LBB102_3
.LBB102_19:
	v_dual_mov_b32 v2, s2 :: v_dual_mov_b32 v3, s3
	flat_load_b32 v11, v[2:3]
	v_cmp_ne_u32_e32 vcc_lo, 1, v1
	v_mov_b32_e32 v12, s3
	s_cbranch_vccz .LBB102_4
	s_branch .LBB102_5
.LBB102_20:
                                        ; implicit-def: $vgpr8
                                        ; implicit-def: $vgpr14
                                        ; implicit-def: $vgpr15
                                        ; implicit-def: $vgpr16
                                        ; implicit-def: $vgpr17
                                        ; implicit-def: $vgpr18
                                        ; implicit-def: $vgpr19
                                        ; implicit-def: $vgpr20
	s_branch .LBB102_23
.LBB102_21:
	s_or_b32 exec_lo, exec_lo, s5
.LBB102_22:
	s_delay_alu instid0(SALU_CYCLE_1) | instskip(NEXT) | instid1(SALU_CYCLE_1)
	s_or_b32 exec_lo, exec_lo, s4
	s_and_not1_b32 vcc_lo, exec_lo, s3
	s_cbranch_vccnz .LBB102_32
.LBB102_23:
	v_dual_mov_b32 v8, 0 :: v_dual_mov_b32 v15, 0
	v_dual_mov_b32 v14, 0 :: v_dual_mov_b32 v17, 0
	;; [unrolled: 1-line block ×3, first 2 shown]
	v_mov_b32_e32 v18, 0
	v_mov_b32_e32 v20, 0
	s_and_saveexec_b32 s3, s2
	s_cbranch_execz .LBB102_31
; %bb.24:
	v_mul_lo_u32 v3, v3, 28
	v_mul_lo_u32 v5, v2, 28
	s_mul_i32 s2, s12, 28
	v_dual_mov_b32 v4, 0 :: v_dual_mov_b32 v15, 0
	v_dual_mov_b32 v8, 0 :: v_dual_mov_b32 v17, 0
	;; [unrolled: 1-line block ×3, first 2 shown]
	v_mad_u32_u24 v3, v0, 28, v3
	v_mov_b32_e32 v16, 0
	v_mov_b32_e32 v18, 0
	v_mov_b32_e32 v20, 0
	s_delay_alu instid0(VALU_DEP_4)
	v_subrev_nc_u32_e32 v6, s2, v3
	s_mov_b32 s2, 0
	s_branch .LBB102_26
.LBB102_25:                             ;   in Loop: Header=BB102_26 Depth=1
	v_add_nc_u32_e32 v2, 32, v2
	v_add_nc_u32_e32 v5, 0x380, v5
	;; [unrolled: 1-line block ×3, first 2 shown]
	s_delay_alu instid0(VALU_DEP_3) | instskip(SKIP_1) | instid1(SALU_CYCLE_1)
	v_cmp_ge_i32_e32 vcc_lo, v2, v13
	s_or_b32 s2, vcc_lo, s2
	s_and_not1_b32 exec_lo, exec_lo, s2
	s_cbranch_execz .LBB102_30
.LBB102_26:                             ; =>This Loop Header: Depth=1
                                        ;     Child Loop BB102_28 Depth 2
	v_ashrrev_i32_e32 v3, 31, v2
	v_dual_mov_b32 v27, v15 :: v_dual_mov_b32 v28, v17
	v_dual_mov_b32 v25, v16 :: v_dual_mov_b32 v24, v18
	s_delay_alu instid0(VALU_DEP_3) | instskip(SKIP_2) | instid1(VALU_DEP_2)
	v_lshlrev_b64 v[21:22], 2, v[2:3]
	v_dual_mov_b32 v26, v19 :: v_dual_mov_b32 v23, v20
	s_mov_b32 s4, 0
	v_add_co_u32 v21, vcc_lo, s6, v21
	s_delay_alu instid0(VALU_DEP_3) | instskip(SKIP_4) | instid1(VALU_DEP_1)
	v_add_co_ci_u32_e32 v22, vcc_lo, s7, v22, vcc_lo
	global_load_b32 v3, v[21:22], off
	v_dual_mov_b32 v21, v8 :: v_dual_mov_b32 v22, v14
	s_waitcnt vmcnt(0)
	v_subrev_nc_u32_e32 v3, s12, v3
	v_mul_lo_u32 v7, v3, 7
	s_branch .LBB102_28
.LBB102_27:                             ;   in Loop: Header=BB102_26 Depth=1
                                        ; implicit-def: $vgpr23
                                        ; implicit-def: $vgpr26
                                        ; implicit-def: $vgpr24
                                        ; implicit-def: $vgpr28
                                        ; implicit-def: $vgpr25
                                        ; implicit-def: $vgpr27
                                        ; implicit-def: $vgpr22
                                        ; implicit-def: $vgpr21
                                        ; implicit-def: $sgpr4
	s_branch .LBB102_25
.LBB102_28:                             ;   Parent Loop BB102_26 Depth=1
                                        ; =>  This Inner Loop Header: Depth=2
	v_add_nc_u32_e32 v3, s4, v6
	s_cmp_eq_u32 s4, 6
	v_mov_b32_e32 v33, v4
	s_delay_alu instid0(VALU_DEP_2) | instskip(NEXT) | instid1(VALU_DEP_4)
	v_lshlrev_b64 v[14:15], 3, v[3:4]
	v_add_nc_u32_e32 v3, s4, v7
	s_delay_alu instid0(VALU_DEP_1) | instskip(NEXT) | instid1(VALU_DEP_3)
	v_lshlrev_b64 v[30:31], 3, v[3:4]
	v_add_co_u32 v14, vcc_lo, s8, v14
	s_delay_alu instid0(VALU_DEP_4) | instskip(NEXT) | instid1(VALU_DEP_3)
	v_add_co_ci_u32_e32 v15, vcc_lo, s9, v15, vcc_lo
	v_add_co_u32 v30, vcc_lo, s10, v30
	s_delay_alu instid0(VALU_DEP_4) | instskip(SKIP_4) | instid1(VALU_DEP_1)
	v_add_co_ci_u32_e32 v31, vcc_lo, s11, v31, vcc_lo
	global_load_b64 v[34:35], v[14:15], off
	global_load_b64 v[30:31], v[30:31], off
	s_waitcnt vmcnt(0)
	v_dual_fmac_f32 v22, v34, v30 :: v_dual_add_nc_u32 v29, s4, v5
	v_dual_mov_b32 v17, v4 :: v_dual_add_nc_u32 v16, 7, v29
	v_dual_mov_b32 v19, v4 :: v_dual_add_nc_u32 v18, 14, v29
	v_add_nc_u32_e32 v32, 21, v29
	s_delay_alu instid0(VALU_DEP_3) | instskip(NEXT) | instid1(VALU_DEP_3)
	v_lshlrev_b64 v[16:17], 3, v[16:17]
	v_lshlrev_b64 v[18:19], 3, v[18:19]
	s_delay_alu instid0(VALU_DEP_2) | instskip(NEXT) | instid1(VALU_DEP_3)
	v_add_co_u32 v14, vcc_lo, s8, v16
	v_add_co_ci_u32_e32 v15, vcc_lo, s9, v17, vcc_lo
	v_lshlrev_b64 v[16:17], 3, v[32:33]
	s_delay_alu instid0(VALU_DEP_4) | instskip(SKIP_1) | instid1(VALU_DEP_3)
	v_add_co_u32 v18, vcc_lo, s8, v18
	v_add_co_ci_u32_e32 v19, vcc_lo, s9, v19, vcc_lo
	v_add_co_u32 v16, vcc_lo, s8, v16
	s_delay_alu instid0(VALU_DEP_4)
	v_add_co_ci_u32_e32 v17, vcc_lo, s9, v17, vcc_lo
	s_clause 0x2
	global_load_b64 v[32:33], v[14:15], off
	global_load_b64 v[36:37], v[18:19], off
	;; [unrolled: 1-line block ×3, first 2 shown]
	v_fma_f32 v14, -v35, v31, v22
	s_waitcnt vmcnt(2)
	v_fmac_f32_e32 v26, v32, v30
	s_waitcnt vmcnt(1)
	v_fmac_f32_e32 v24, v37, v30
	v_fmac_f32_e32 v21, v35, v30
	;; [unrolled: 1-line block ×3, first 2 shown]
	v_fma_f32 v19, -v33, v31, v26
	s_delay_alu instid0(VALU_DEP_4) | instskip(NEXT) | instid1(VALU_DEP_4)
	v_mov_b32_e32 v18, v24
	v_mov_b32_e32 v8, v21
	v_fmac_f32_e32 v23, v33, v30
	v_fma_f32 v17, -v37, v31, v28
	s_delay_alu instid0(VALU_DEP_4) | instskip(NEXT) | instid1(VALU_DEP_4)
	v_fmac_f32_e32 v18, v36, v31
	v_fmac_f32_e32 v8, v34, v31
	s_waitcnt vmcnt(0)
	v_dual_fmac_f32 v27, v38, v30 :: v_dual_mov_b32 v20, v23
	v_fmac_f32_e32 v25, v39, v30
	s_delay_alu instid0(VALU_DEP_2) | instskip(NEXT) | instid1(VALU_DEP_3)
	v_fma_f32 v15, -v39, v31, v27
	v_fmac_f32_e32 v20, v32, v31
	s_delay_alu instid0(VALU_DEP_3) | instskip(NEXT) | instid1(VALU_DEP_1)
	v_mov_b32_e32 v16, v25
	v_fmac_f32_e32 v16, v38, v31
	s_cbranch_scc1 .LBB102_27
; %bb.29:                               ;   in Loop: Header=BB102_28 Depth=2
	v_dual_mov_b32 v22, v4 :: v_dual_add_nc_u32 v3, 1, v3
	v_add_nc_u32_e32 v21, 1, v29
	s_add_i32 s4, s4, 2
	s_delay_alu instid0(VALU_DEP_2) | instskip(SKIP_1) | instid1(VALU_DEP_3)
	v_lshlrev_b64 v[23:24], 3, v[3:4]
	v_add_nc_u32_e32 v3, 8, v29
	v_lshlrev_b64 v[21:22], 3, v[21:22]
	s_delay_alu instid0(VALU_DEP_2) | instskip(SKIP_1) | instid1(VALU_DEP_3)
	v_lshlrev_b64 v[25:26], 3, v[3:4]
	v_add_nc_u32_e32 v3, 15, v29
	v_add_co_u32 v21, vcc_lo, s8, v21
	s_delay_alu instid0(VALU_DEP_4)
	v_add_co_ci_u32_e32 v22, vcc_lo, s9, v22, vcc_lo
	v_add_co_u32 v23, vcc_lo, s10, v23
	v_add_co_ci_u32_e32 v24, vcc_lo, s11, v24, vcc_lo
	v_add_co_u32 v25, vcc_lo, s8, v25
	v_lshlrev_b64 v[27:28], 3, v[3:4]
	v_add_nc_u32_e32 v3, 22, v29
	v_add_co_ci_u32_e32 v26, vcc_lo, s9, v26, vcc_lo
	global_load_b64 v[29:30], v[21:22], off
	global_load_b64 v[31:32], v[23:24], off
	;; [unrolled: 1-line block ×3, first 2 shown]
	v_lshlrev_b64 v[21:22], 3, v[3:4]
	v_add_co_u32 v23, vcc_lo, s8, v27
	v_add_co_ci_u32_e32 v24, vcc_lo, s9, v28, vcc_lo
	s_delay_alu instid0(VALU_DEP_3) | instskip(NEXT) | instid1(VALU_DEP_4)
	v_add_co_u32 v21, vcc_lo, s8, v21
	v_add_co_ci_u32_e32 v22, vcc_lo, s9, v22, vcc_lo
	s_clause 0x1
	global_load_b64 v[27:28], v[23:24], off
	global_load_b64 v[35:36], v[21:22], off
	s_waitcnt vmcnt(3)
	v_fma_f32 v3, v29, v31, v14
	v_fma_f32 v21, v30, v31, v8
	s_waitcnt vmcnt(2)
	v_fma_f32 v24, v33, v31, v19
	v_fma_f32 v23, v34, v31, v20
	v_fma_f32 v22, -v30, v32, v3
	v_fmac_f32_e32 v21, v29, v32
	s_delay_alu instid0(VALU_DEP_4) | instskip(NEXT) | instid1(VALU_DEP_4)
	v_fma_f32 v26, -v34, v32, v24
	v_fmac_f32_e32 v23, v33, v32
	s_waitcnt vmcnt(1)
	v_fma_f32 v3, v27, v31, v17
	v_fma_f32 v24, v28, v31, v18
	s_waitcnt vmcnt(0)
	v_fma_f32 v29, v35, v31, v15
	v_fma_f32 v25, v36, v31, v16
	v_fma_f32 v28, -v28, v32, v3
	v_fmac_f32_e32 v24, v27, v32
	s_delay_alu instid0(VALU_DEP_4) | instskip(NEXT) | instid1(VALU_DEP_4)
	v_fma_f32 v27, -v36, v32, v29
	v_fmac_f32_e32 v25, v35, v32
	s_cbranch_execnz .LBB102_28
	s_branch .LBB102_25
.LBB102_30:
	s_or_b32 exec_lo, exec_lo, s2
.LBB102_31:
	s_delay_alu instid0(SALU_CYCLE_1)
	s_or_b32 exec_lo, exec_lo, s3
.LBB102_32:
	v_mbcnt_lo_u32_b32 v2, -1, 0
	s_delay_alu instid0(VALU_DEP_1) | instskip(SKIP_1) | instid1(VALU_DEP_2)
	v_xor_b32_e32 v3, 16, v2
	v_xor_b32_e32 v23, 8, v2
	v_cmp_gt_i32_e32 vcc_lo, 32, v3
	v_cndmask_b32_e32 v3, v2, v3, vcc_lo
	s_delay_alu instid0(VALU_DEP_3) | instskip(NEXT) | instid1(VALU_DEP_2)
	v_cmp_gt_i32_e32 vcc_lo, 32, v23
	v_lshlrev_b32_e32 v3, 2, v3
	ds_bpermute_b32 v4, v3, v14
	s_waitcnt lgkmcnt(0)
	v_add_f32_e32 v4, v14, v4
	ds_bpermute_b32 v5, v3, v8
	ds_bpermute_b32 v6, v3, v19
	;; [unrolled: 1-line block ×5, first 2 shown]
	v_cndmask_b32_e32 v23, v2, v23, vcc_lo
	ds_bpermute_b32 v7, v3, v20
	ds_bpermute_b32 v3, v3, v16
	s_waitcnt lgkmcnt(5)
	v_dual_add_f32 v5, v8, v5 :: v_dual_add_f32 v6, v19, v6
	s_waitcnt lgkmcnt(4)
	v_dual_add_f32 v8, v17, v13 :: v_dual_lshlrev_b32 v23, 2, v23
	s_waitcnt lgkmcnt(3)
	v_add_f32_e32 v14, v15, v22
	ds_bpermute_b32 v17, v23, v6
	ds_bpermute_b32 v15, v23, v4
	s_waitcnt lgkmcnt(4)
	v_add_f32_e32 v13, v18, v21
	ds_bpermute_b32 v21, v23, v14
	s_waitcnt lgkmcnt(4)
	v_add_f32_e32 v7, v20, v7
	s_waitcnt lgkmcnt(3)
	v_add_f32_e32 v3, v16, v3
	ds_bpermute_b32 v16, v23, v5
	ds_bpermute_b32 v19, v23, v8
	s_waitcnt lgkmcnt(4)
	v_add_f32_e32 v6, v6, v17
	ds_bpermute_b32 v18, v23, v7
	s_waitcnt lgkmcnt(4)
	v_add_f32_e32 v4, v4, v15
	s_waitcnt lgkmcnt(3)
	v_add_f32_e32 v14, v14, v21
	ds_bpermute_b32 v20, v23, v13
	ds_bpermute_b32 v22, v23, v3
	v_xor_b32_e32 v23, 4, v2
	s_waitcnt lgkmcnt(3)
	v_dual_add_f32 v5, v5, v16 :: v_dual_add_f32 v8, v8, v19
	s_delay_alu instid0(VALU_DEP_2) | instskip(SKIP_1) | instid1(VALU_DEP_1)
	v_cmp_gt_i32_e32 vcc_lo, 32, v23
	v_cndmask_b32_e32 v23, v2, v23, vcc_lo
	v_lshlrev_b32_e32 v23, 2, v23
	s_waitcnt lgkmcnt(2)
	v_add_f32_e32 v7, v7, v18
	s_waitcnt lgkmcnt(0)
	v_add_f32_e32 v3, v3, v22
	ds_bpermute_b32 v16, v23, v5
	ds_bpermute_b32 v18, v23, v7
	;; [unrolled: 1-line block ×3, first 2 shown]
	s_waitcnt lgkmcnt(1)
	v_dual_add_f32 v5, v5, v16 :: v_dual_add_f32 v16, v7, v18
	s_waitcnt lgkmcnt(0)
	v_add_f32_e32 v18, v14, v21
	ds_bpermute_b32 v19, v23, v8
	v_add_f32_e32 v13, v13, v20
	ds_bpermute_b32 v15, v23, v4
	ds_bpermute_b32 v17, v23, v6
	;; [unrolled: 1-line block ×3, first 2 shown]
	s_waitcnt lgkmcnt(3)
	v_add_f32_e32 v8, v8, v19
	ds_bpermute_b32 v20, v23, v13
	v_xor_b32_e32 v23, 2, v2
	s_waitcnt lgkmcnt(2)
	v_dual_add_f32 v4, v4, v15 :: v_dual_add_f32 v15, v6, v17
	s_waitcnt lgkmcnt(1)
	v_add_f32_e32 v19, v3, v22
	v_cmp_gt_i32_e32 vcc_lo, 32, v23
	v_cndmask_b32_e32 v23, v2, v23, vcc_lo
	s_delay_alu instid0(VALU_DEP_1)
	v_lshlrev_b32_e32 v23, 2, v23
	s_waitcnt lgkmcnt(0)
	v_add_f32_e32 v17, v13, v20
	ds_bpermute_b32 v3, v23, v4
	ds_bpermute_b32 v6, v23, v5
	;; [unrolled: 1-line block ×8, first 2 shown]
	v_xor_b32_e32 v23, 1, v2
	s_delay_alu instid0(VALU_DEP_1) | instskip(SKIP_4) | instid1(VALU_DEP_3)
	v_cmp_gt_i32_e32 vcc_lo, 32, v23
	v_cndmask_b32_e32 v2, v2, v23, vcc_lo
	v_cmp_eq_u32_e32 vcc_lo, 31, v0
	s_waitcnt lgkmcnt(5)
	v_add_f32_e32 v7, v15, v7
	v_lshlrev_b32_e32 v23, 2, v2
	s_waitcnt lgkmcnt(3)
	v_add_f32_e32 v14, v8, v14
	v_add_f32_e32 v2, v4, v3
	v_dual_add_f32 v6, v5, v6 :: v_dual_add_f32 v13, v16, v13
	s_waitcnt lgkmcnt(2)
	v_add_f32_e32 v15, v17, v20
	s_waitcnt lgkmcnt(1)
	v_add_f32_e32 v3, v18, v21
	;; [unrolled: 2-line block ×3, first 2 shown]
	ds_bpermute_b32 v4, v23, v2
	ds_bpermute_b32 v8, v23, v6
	;; [unrolled: 1-line block ×8, first 2 shown]
	s_and_b32 exec_lo, exec_lo, vcc_lo
	s_cbranch_execz .LBB102_37
; %bb.33:
	s_load_b64 s[2:3], s[0:1], 0x38
	v_cmp_eq_f32_e32 vcc_lo, 0, v11
	v_cmp_eq_f32_e64 s0, 0, v12
	s_waitcnt lgkmcnt(0)
	v_add_f32_e32 v4, v2, v4
	v_dual_add_f32 v8, v6, v8 :: v_dual_add_f32 v5, v5, v17
	v_dual_add_f32 v0, v7, v18 :: v_dual_add_f32 v7, v13, v19
	v_add_f32_e32 v2, v14, v20
	v_add_f32_e32 v6, v15, v21
	;; [unrolled: 1-line block ×3, first 2 shown]
	s_and_b32 s0, vcc_lo, s0
	s_delay_alu instid0(SALU_CYCLE_1) | instskip(NEXT) | instid1(SALU_CYCLE_1)
	s_and_saveexec_b32 s1, s0
	s_xor_b32 s0, exec_lo, s1
	s_cbranch_execz .LBB102_35
; %bb.34:
	v_mul_f32_e64 v11, v8, -v10
	v_mul_f32_e32 v12, v8, v9
	v_mul_f32_e64 v13, v7, -v10
	v_mul_f32_e32 v14, v7, v9
	v_mul_f32_e64 v15, v6, -v10
	v_fmac_f32_e32 v11, v9, v4
	v_dual_fmac_f32 v12, v10, v4 :: v_dual_lshlrev_b32 v17, 2, v1
	s_delay_alu instid0(VALU_DEP_3) | instskip(SKIP_1) | instid1(VALU_DEP_3)
	v_dual_mul_f32 v16, v6, v9 :: v_dual_fmac_f32 v15, v9, v2
	v_fmac_f32_e32 v13, v9, v0
	v_ashrrev_i32_e32 v18, 31, v17
                                        ; implicit-def: $vgpr1
                                        ; implicit-def: $vgpr4
                                        ; implicit-def: $vgpr8
	s_delay_alu instid0(VALU_DEP_3) | instskip(NEXT) | instid1(VALU_DEP_2)
	v_fmac_f32_e32 v16, v10, v2
                                        ; implicit-def: $vgpr2
	v_lshlrev_b64 v[6:7], 3, v[17:18]
	v_mul_f32_e64 v17, v5, -v10
	v_mul_f32_e32 v18, v5, v9
	v_fmac_f32_e32 v14, v10, v0
                                        ; implicit-def: $vgpr0
                                        ; implicit-def: $vgpr5
	s_delay_alu instid0(VALU_DEP_3)
	v_fmac_f32_e32 v17, v9, v3
	v_add_co_u32 v6, vcc_lo, s2, v6
	v_add_co_ci_u32_e32 v7, vcc_lo, s3, v7, vcc_lo
	v_fmac_f32_e32 v18, v10, v3
	s_clause 0x1
	global_store_b128 v[6:7], v[11:14], off
	global_store_b128 v[6:7], v[15:18], off offset:16
                                        ; implicit-def: $vgpr9
                                        ; implicit-def: $vgpr10
                                        ; implicit-def: $vgpr11
                                        ; implicit-def: $vgpr12
                                        ; implicit-def: $vgpr7
                                        ; implicit-def: $vgpr6
                                        ; implicit-def: $vgpr3
.LBB102_35:
	s_and_not1_saveexec_b32 s0, s0
	s_cbranch_execz .LBB102_37
; %bb.36:
	v_mul_f32_e32 v22, v8, v9
	v_lshlrev_b32_e32 v13, 2, v1
	v_mul_f32_e64 v1, v8, -v10
	v_mul_f32_e64 v23, v7, -v10
	v_mul_f32_e32 v24, v7, v9
	v_mul_f32_e64 v7, v6, -v10
	s_delay_alu instid0(VALU_DEP_4) | instskip(SKIP_2) | instid1(VALU_DEP_4)
	v_dual_mul_f32 v6, v6, v9 :: v_dual_fmac_f32 v1, v9, v4
	v_fmac_f32_e32 v22, v10, v4
	v_ashrrev_i32_e32 v14, 31, v13
	v_fmac_f32_e32 v7, v9, v2
	v_mul_f32_e64 v27, v5, -v10
	v_fmac_f32_e32 v23, v9, v0
	v_fmac_f32_e32 v24, v10, v0
	v_lshlrev_b64 v[13:14], 3, v[13:14]
	s_delay_alu instid0(VALU_DEP_4) | instskip(NEXT) | instid1(VALU_DEP_2)
	v_fmac_f32_e32 v27, v9, v3
	v_add_co_u32 v25, vcc_lo, s2, v13
	s_delay_alu instid0(VALU_DEP_3)
	v_add_co_ci_u32_e32 v26, vcc_lo, s3, v14, vcc_lo
	s_clause 0x1
	global_load_b128 v[13:16], v[25:26], off
	global_load_b128 v[17:20], v[25:26], off offset:16
	v_mul_f32_e32 v8, v5, v9
	s_waitcnt vmcnt(1)
	v_dual_fmac_f32 v6, v10, v2 :: v_dual_fmac_f32 v1, v11, v13
	v_fmac_f32_e32 v23, v11, v15
	s_waitcnt vmcnt(0)
	v_dual_fmac_f32 v8, v10, v3 :: v_dual_fmac_f32 v7, v11, v17
	v_dual_fmac_f32 v22, v12, v13 :: v_dual_fmac_f32 v27, v11, v19
	v_fmac_f32_e32 v24, v12, v15
	v_fmac_f32_e32 v6, v12, v17
	s_delay_alu instid0(VALU_DEP_4)
	v_fmac_f32_e32 v8, v12, v19
	v_fma_f32 v21, -v12, v14, v1
	v_fmac_f32_e32 v22, v11, v14
	v_fma_f32 v23, -v12, v16, v23
	;; [unrolled: 2-line block ×4, first 2 shown]
	v_fmac_f32_e32 v8, v11, v20
	s_clause 0x1
	global_store_b128 v[25:26], v[21:24], off
	global_store_b128 v[25:26], v[5:8], off offset:16
.LBB102_37:
	s_nop 0
	s_sendmsg sendmsg(MSG_DEALLOC_VGPRS)
	s_endpgm
	.section	.rodata,"a",@progbits
	.p2align	6, 0x0
	.amdhsa_kernel _ZN9rocsparseL19gebsrmvn_4xn_kernelILj128ELj7ELj32E21rocsparse_complex_numIfEEEvi20rocsparse_direction_NS_24const_host_device_scalarIT2_EEPKiS8_PKS5_SA_S6_PS5_21rocsparse_index_base_b
		.amdhsa_group_segment_fixed_size 0
		.amdhsa_private_segment_fixed_size 0
		.amdhsa_kernarg_size 72
		.amdhsa_user_sgpr_count 15
		.amdhsa_user_sgpr_dispatch_ptr 0
		.amdhsa_user_sgpr_queue_ptr 0
		.amdhsa_user_sgpr_kernarg_segment_ptr 1
		.amdhsa_user_sgpr_dispatch_id 0
		.amdhsa_user_sgpr_private_segment_size 0
		.amdhsa_wavefront_size32 1
		.amdhsa_uses_dynamic_stack 0
		.amdhsa_enable_private_segment 0
		.amdhsa_system_sgpr_workgroup_id_x 1
		.amdhsa_system_sgpr_workgroup_id_y 0
		.amdhsa_system_sgpr_workgroup_id_z 0
		.amdhsa_system_sgpr_workgroup_info 0
		.amdhsa_system_vgpr_workitem_id 0
		.amdhsa_next_free_vgpr 41
		.amdhsa_next_free_sgpr 16
		.amdhsa_reserve_vcc 1
		.amdhsa_float_round_mode_32 0
		.amdhsa_float_round_mode_16_64 0
		.amdhsa_float_denorm_mode_32 3
		.amdhsa_float_denorm_mode_16_64 3
		.amdhsa_dx10_clamp 1
		.amdhsa_ieee_mode 1
		.amdhsa_fp16_overflow 0
		.amdhsa_workgroup_processor_mode 1
		.amdhsa_memory_ordered 1
		.amdhsa_forward_progress 0
		.amdhsa_shared_vgpr_count 0
		.amdhsa_exception_fp_ieee_invalid_op 0
		.amdhsa_exception_fp_denorm_src 0
		.amdhsa_exception_fp_ieee_div_zero 0
		.amdhsa_exception_fp_ieee_overflow 0
		.amdhsa_exception_fp_ieee_underflow 0
		.amdhsa_exception_fp_ieee_inexact 0
		.amdhsa_exception_int_div_zero 0
	.end_amdhsa_kernel
	.section	.text._ZN9rocsparseL19gebsrmvn_4xn_kernelILj128ELj7ELj32E21rocsparse_complex_numIfEEEvi20rocsparse_direction_NS_24const_host_device_scalarIT2_EEPKiS8_PKS5_SA_S6_PS5_21rocsparse_index_base_b,"axG",@progbits,_ZN9rocsparseL19gebsrmvn_4xn_kernelILj128ELj7ELj32E21rocsparse_complex_numIfEEEvi20rocsparse_direction_NS_24const_host_device_scalarIT2_EEPKiS8_PKS5_SA_S6_PS5_21rocsparse_index_base_b,comdat
.Lfunc_end102:
	.size	_ZN9rocsparseL19gebsrmvn_4xn_kernelILj128ELj7ELj32E21rocsparse_complex_numIfEEEvi20rocsparse_direction_NS_24const_host_device_scalarIT2_EEPKiS8_PKS5_SA_S6_PS5_21rocsparse_index_base_b, .Lfunc_end102-_ZN9rocsparseL19gebsrmvn_4xn_kernelILj128ELj7ELj32E21rocsparse_complex_numIfEEEvi20rocsparse_direction_NS_24const_host_device_scalarIT2_EEPKiS8_PKS5_SA_S6_PS5_21rocsparse_index_base_b
                                        ; -- End function
	.section	.AMDGPU.csdata,"",@progbits
; Kernel info:
; codeLenInByte = 3208
; NumSgprs: 18
; NumVgprs: 41
; ScratchSize: 0
; MemoryBound: 0
; FloatMode: 240
; IeeeMode: 1
; LDSByteSize: 0 bytes/workgroup (compile time only)
; SGPRBlocks: 2
; VGPRBlocks: 5
; NumSGPRsForWavesPerEU: 18
; NumVGPRsForWavesPerEU: 41
; Occupancy: 16
; WaveLimiterHint : 1
; COMPUTE_PGM_RSRC2:SCRATCH_EN: 0
; COMPUTE_PGM_RSRC2:USER_SGPR: 15
; COMPUTE_PGM_RSRC2:TRAP_HANDLER: 0
; COMPUTE_PGM_RSRC2:TGID_X_EN: 1
; COMPUTE_PGM_RSRC2:TGID_Y_EN: 0
; COMPUTE_PGM_RSRC2:TGID_Z_EN: 0
; COMPUTE_PGM_RSRC2:TIDIG_COMP_CNT: 0
	.section	.text._ZN9rocsparseL19gebsrmvn_4xn_kernelILj128ELj7ELj64E21rocsparse_complex_numIfEEEvi20rocsparse_direction_NS_24const_host_device_scalarIT2_EEPKiS8_PKS5_SA_S6_PS5_21rocsparse_index_base_b,"axG",@progbits,_ZN9rocsparseL19gebsrmvn_4xn_kernelILj128ELj7ELj64E21rocsparse_complex_numIfEEEvi20rocsparse_direction_NS_24const_host_device_scalarIT2_EEPKiS8_PKS5_SA_S6_PS5_21rocsparse_index_base_b,comdat
	.globl	_ZN9rocsparseL19gebsrmvn_4xn_kernelILj128ELj7ELj64E21rocsparse_complex_numIfEEEvi20rocsparse_direction_NS_24const_host_device_scalarIT2_EEPKiS8_PKS5_SA_S6_PS5_21rocsparse_index_base_b ; -- Begin function _ZN9rocsparseL19gebsrmvn_4xn_kernelILj128ELj7ELj64E21rocsparse_complex_numIfEEEvi20rocsparse_direction_NS_24const_host_device_scalarIT2_EEPKiS8_PKS5_SA_S6_PS5_21rocsparse_index_base_b
	.p2align	8
	.type	_ZN9rocsparseL19gebsrmvn_4xn_kernelILj128ELj7ELj64E21rocsparse_complex_numIfEEEvi20rocsparse_direction_NS_24const_host_device_scalarIT2_EEPKiS8_PKS5_SA_S6_PS5_21rocsparse_index_base_b,@function
_ZN9rocsparseL19gebsrmvn_4xn_kernelILj128ELj7ELj64E21rocsparse_complex_numIfEEEvi20rocsparse_direction_NS_24const_host_device_scalarIT2_EEPKiS8_PKS5_SA_S6_PS5_21rocsparse_index_base_b: ; @_ZN9rocsparseL19gebsrmvn_4xn_kernelILj128ELj7ELj64E21rocsparse_complex_numIfEEEvi20rocsparse_direction_NS_24const_host_device_scalarIT2_EEPKiS8_PKS5_SA_S6_PS5_21rocsparse_index_base_b
; %bb.0:
	s_clause 0x2
	s_load_b64 s[12:13], s[0:1], 0x40
	s_load_b64 s[4:5], s[0:1], 0x8
	;; [unrolled: 1-line block ×3, first 2 shown]
	s_waitcnt lgkmcnt(0)
	s_bitcmp1_b32 s13, 0
	v_mov_b32_e32 v9, s4
	s_cselect_b32 s6, -1, 0
	s_delay_alu instid0(SALU_CYCLE_1)
	s_and_b32 vcc_lo, exec_lo, s6
	s_xor_b32 s6, s6, -1
	s_cbranch_vccz .LBB103_17
; %bb.1:
	v_cndmask_b32_e64 v1, 0, 1, s6
	v_mov_b32_e32 v10, s5
	s_and_not1_b32 vcc_lo, exec_lo, s6
	s_cbranch_vccz .LBB103_18
.LBB103_2:
	s_delay_alu instid0(VALU_DEP_2)
	v_cmp_ne_u32_e32 vcc_lo, 1, v1
	v_mov_b32_e32 v11, s2
	s_cbranch_vccz .LBB103_19
.LBB103_3:
	v_cmp_ne_u32_e32 vcc_lo, 1, v1
	v_mov_b32_e32 v12, s3
	s_cbranch_vccnz .LBB103_5
.LBB103_4:
	v_dual_mov_b32 v1, s2 :: v_dual_mov_b32 v2, s3
	flat_load_b32 v12, v[1:2] offset:4
.LBB103_5:
	s_waitcnt vmcnt(0) lgkmcnt(0)
	v_cmp_eq_f32_e32 vcc_lo, 0, v9
	v_cmp_eq_f32_e64 s2, 0, v10
	s_delay_alu instid0(VALU_DEP_1)
	s_and_b32 s4, vcc_lo, s2
	s_mov_b32 s2, -1
	s_and_saveexec_b32 s3, s4
; %bb.6:
	v_cmp_neq_f32_e32 vcc_lo, 1.0, v11
	v_cmp_neq_f32_e64 s2, 0, v12
	s_delay_alu instid0(VALU_DEP_1) | instskip(NEXT) | instid1(SALU_CYCLE_1)
	s_or_b32 s2, vcc_lo, s2
	s_or_not1_b32 s2, s2, exec_lo
; %bb.7:
	s_or_b32 exec_lo, exec_lo, s3
	s_and_saveexec_b32 s3, s2
	s_cbranch_execz .LBB103_37
; %bb.8:
	s_load_b64 s[2:3], s[0:1], 0x0
	v_lshrrev_b32_e32 v1, 6, v0
	s_delay_alu instid0(VALU_DEP_1) | instskip(SKIP_1) | instid1(VALU_DEP_1)
	v_lshl_or_b32 v1, s15, 1, v1
	s_waitcnt lgkmcnt(0)
	v_cmp_gt_i32_e32 vcc_lo, s2, v1
	s_and_b32 exec_lo, exec_lo, vcc_lo
	s_cbranch_execz .LBB103_37
; %bb.9:
	s_load_b256 s[4:11], s[0:1], 0x10
	v_ashrrev_i32_e32 v2, 31, v1
	v_and_b32_e32 v0, 63, v0
	s_cmp_lg_u32 s3, 0
	s_delay_alu instid0(VALU_DEP_2) | instskip(SKIP_1) | instid1(VALU_DEP_1)
	v_lshlrev_b64 v[2:3], 2, v[1:2]
	s_waitcnt lgkmcnt(0)
	v_add_co_u32 v2, vcc_lo, s4, v2
	s_delay_alu instid0(VALU_DEP_2) | instskip(SKIP_4) | instid1(VALU_DEP_2)
	v_add_co_ci_u32_e32 v3, vcc_lo, s5, v3, vcc_lo
	global_load_b64 v[3:4], v[2:3], off
	s_waitcnt vmcnt(0)
	v_subrev_nc_u32_e32 v2, s12, v3
	v_subrev_nc_u32_e32 v13, s12, v4
	v_add_nc_u32_e32 v2, v2, v0
	s_delay_alu instid0(VALU_DEP_1)
	v_cmp_lt_i32_e64 s2, v2, v13
	s_cbranch_scc0 .LBB103_20
; %bb.10:
	v_dual_mov_b32 v8, 0 :: v_dual_mov_b32 v15, 0
	v_dual_mov_b32 v14, 0 :: v_dual_mov_b32 v17, 0
	;; [unrolled: 1-line block ×3, first 2 shown]
	v_mov_b32_e32 v18, 0
	v_mov_b32_e32 v20, 0
	s_mov_b32 s3, 0
	s_and_saveexec_b32 s4, s2
	s_cbranch_execz .LBB103_22
; %bb.11:
	v_mul_lo_u32 v21, v2, 28
	v_dual_mov_b32 v5, 0 :: v_dual_mov_b32 v6, v2
	v_dual_mov_b32 v8, 0 :: v_dual_mov_b32 v15, 0
	;; [unrolled: 1-line block ×4, first 2 shown]
	v_mov_b32_e32 v18, 0
	v_mov_b32_e32 v20, 0
	s_mov_b32 s5, 0
	s_branch .LBB103_13
.LBB103_12:                             ;   in Loop: Header=BB103_13 Depth=1
	v_add_nc_u32_e32 v6, 64, v6
	v_add_nc_u32_e32 v21, 0x700, v21
	s_delay_alu instid0(VALU_DEP_2) | instskip(SKIP_1) | instid1(SALU_CYCLE_1)
	v_cmp_ge_i32_e32 vcc_lo, v6, v13
	s_or_b32 s5, vcc_lo, s5
	s_and_not1_b32 exec_lo, exec_lo, s5
	s_cbranch_execz .LBB103_21
.LBB103_13:                             ; =>This Loop Header: Depth=1
                                        ;     Child Loop BB103_15 Depth 2
	v_ashrrev_i32_e32 v7, 31, v6
	v_mov_b32_e32 v4, v21
	v_dual_mov_b32 v28, v14 :: v_dual_mov_b32 v27, v15
	v_dual_mov_b32 v26, v16 :: v_dual_mov_b32 v29, v17
	s_delay_alu instid0(VALU_DEP_4) | instskip(SKIP_3) | instid1(VALU_DEP_3)
	v_lshlrev_b64 v[22:23], 2, v[6:7]
	v_dual_mov_b32 v25, v18 :: v_dual_mov_b32 v30, v19
	v_mov_b32_e32 v24, v20
	s_mov_b32 s13, 0
	v_add_co_u32 v22, vcc_lo, s6, v22
	s_delay_alu instid0(VALU_DEP_4) | instskip(SKIP_4) | instid1(VALU_DEP_1)
	v_add_co_ci_u32_e32 v23, vcc_lo, s7, v23, vcc_lo
	global_load_b32 v7, v[22:23], off
	v_mov_b32_e32 v23, v8
	s_waitcnt vmcnt(0)
	v_subrev_nc_u32_e32 v7, s12, v7
	v_mul_lo_u32 v22, v7, 7
	s_branch .LBB103_15
.LBB103_14:                             ;   in Loop: Header=BB103_13 Depth=1
                                        ; implicit-def: $vgpr24
                                        ; implicit-def: $vgpr30
                                        ; implicit-def: $vgpr25
                                        ; implicit-def: $vgpr29
                                        ; implicit-def: $vgpr26
                                        ; implicit-def: $vgpr27
                                        ; implicit-def: $vgpr28
                                        ; implicit-def: $vgpr23
                                        ; implicit-def: $sgpr13
	s_branch .LBB103_12
.LBB103_15:                             ;   Parent Loop BB103_13 Depth=1
                                        ; =>  This Inner Loop Header: Depth=2
	s_delay_alu instid0(VALU_DEP_1) | instskip(SKIP_2) | instid1(VALU_DEP_2)
	v_dual_mov_b32 v8, v5 :: v_dual_add_nc_u32 v7, s13, v22
	v_lshlrev_b64 v[14:15], 3, v[4:5]
	s_cmp_eq_u32 s13, 6
	v_lshlrev_b64 v[16:17], 3, v[7:8]
	s_delay_alu instid0(VALU_DEP_2) | instskip(NEXT) | instid1(VALU_DEP_3)
	v_add_co_u32 v14, vcc_lo, s8, v14
	v_add_co_ci_u32_e32 v15, vcc_lo, s9, v15, vcc_lo
	s_delay_alu instid0(VALU_DEP_3) | instskip(NEXT) | instid1(VALU_DEP_4)
	v_add_co_u32 v16, vcc_lo, s10, v16
	v_add_co_ci_u32_e32 v17, vcc_lo, s11, v17, vcc_lo
	global_load_b128 v[31:34], v[14:15], off
	global_load_b64 v[39:40], v[16:17], off
	global_load_b128 v[35:38], v[14:15], off offset:16
	s_waitcnt vmcnt(1)
	v_fmac_f32_e32 v24, v34, v39
	s_waitcnt vmcnt(0)
	v_fmac_f32_e32 v25, v36, v39
	v_fmac_f32_e32 v23, v32, v39
	;; [unrolled: 1-line block ×5, first 2 shown]
	v_dual_mov_b32 v18, v25 :: v_dual_fmac_f32 v29, v35, v39
	v_dual_mov_b32 v20, v24 :: v_dual_fmac_f32 v27, v37, v39
	v_mov_b32_e32 v16, v26
	v_mov_b32_e32 v8, v23
	v_fma_f32 v14, -v32, v40, v28
	v_fma_f32 v19, -v34, v40, v30
	;; [unrolled: 1-line block ×4, first 2 shown]
	v_fmac_f32_e32 v8, v31, v40
	v_fmac_f32_e32 v20, v33, v40
	;; [unrolled: 1-line block ×4, first 2 shown]
	s_cbranch_scc1 .LBB103_14
; %bb.16:                               ;   in Loop: Header=BB103_15 Depth=2
	v_dual_mov_b32 v24, v5 :: v_dual_add_nc_u32 v23, 4, v4
	v_dual_mov_b32 v26, v5 :: v_dual_add_nc_u32 v25, 1, v7
	v_add_nc_u32_e32 v4, 8, v4
	s_delay_alu instid0(VALU_DEP_3) | instskip(SKIP_1) | instid1(VALU_DEP_3)
	v_lshlrev_b64 v[23:24], 3, v[23:24]
	s_add_i32 s13, s13, 2
	v_lshlrev_b64 v[25:26], 3, v[25:26]
	s_delay_alu instid0(VALU_DEP_2) | instskip(NEXT) | instid1(VALU_DEP_3)
	v_add_co_u32 v23, vcc_lo, s8, v23
	v_add_co_ci_u32_e32 v24, vcc_lo, s9, v24, vcc_lo
	s_delay_alu instid0(VALU_DEP_3) | instskip(NEXT) | instid1(VALU_DEP_4)
	v_add_co_u32 v25, vcc_lo, s10, v25
	v_add_co_ci_u32_e32 v26, vcc_lo, s11, v26, vcc_lo
	global_load_b128 v[27:30], v[23:24], off
	global_load_b64 v[35:36], v[25:26], off
	global_load_b128 v[31:34], v[23:24], off offset:16
	s_waitcnt vmcnt(1)
	v_fma_f32 v7, v27, v35, v14
	v_fma_f32 v23, v28, v35, v8
	v_fma_f32 v37, v29, v35, v19
	v_fma_f32 v24, v30, v35, v20
	s_waitcnt vmcnt(0)
	v_fma_f32 v38, v31, v35, v17
	v_fma_f32 v25, v32, v35, v18
	;; [unrolled: 1-line block ×4, first 2 shown]
	v_fma_f32 v28, -v28, v36, v7
	v_fmac_f32_e32 v23, v27, v36
	v_fma_f32 v30, -v30, v36, v37
	v_fmac_f32_e32 v24, v29, v36
	;; [unrolled: 2-line block ×4, first 2 shown]
	s_cbranch_execnz .LBB103_15
	s_branch .LBB103_12
.LBB103_17:
	v_dual_mov_b32 v1, s4 :: v_dual_mov_b32 v2, s5
	flat_load_b32 v9, v[1:2]
	v_cndmask_b32_e64 v1, 0, 1, s6
	v_mov_b32_e32 v10, s5
	s_and_not1_b32 vcc_lo, exec_lo, s6
	s_cbranch_vccnz .LBB103_2
.LBB103_18:
	v_dual_mov_b32 v2, s4 :: v_dual_mov_b32 v3, s5
	flat_load_b32 v10, v[2:3] offset:4
	v_cmp_ne_u32_e32 vcc_lo, 1, v1
	v_mov_b32_e32 v11, s2
	s_cbranch_vccnz .LBB103_3
.LBB103_19:
	v_dual_mov_b32 v2, s2 :: v_dual_mov_b32 v3, s3
	flat_load_b32 v11, v[2:3]
	v_cmp_ne_u32_e32 vcc_lo, 1, v1
	v_mov_b32_e32 v12, s3
	s_cbranch_vccz .LBB103_4
	s_branch .LBB103_5
.LBB103_20:
                                        ; implicit-def: $vgpr8
                                        ; implicit-def: $vgpr14
                                        ; implicit-def: $vgpr15
                                        ; implicit-def: $vgpr16
                                        ; implicit-def: $vgpr17
                                        ; implicit-def: $vgpr18
                                        ; implicit-def: $vgpr19
                                        ; implicit-def: $vgpr20
	s_branch .LBB103_23
.LBB103_21:
	s_or_b32 exec_lo, exec_lo, s5
.LBB103_22:
	s_delay_alu instid0(SALU_CYCLE_1) | instskip(NEXT) | instid1(SALU_CYCLE_1)
	s_or_b32 exec_lo, exec_lo, s4
	s_and_not1_b32 vcc_lo, exec_lo, s3
	s_cbranch_vccnz .LBB103_32
.LBB103_23:
	v_dual_mov_b32 v8, 0 :: v_dual_mov_b32 v15, 0
	v_dual_mov_b32 v14, 0 :: v_dual_mov_b32 v17, 0
	;; [unrolled: 1-line block ×3, first 2 shown]
	v_mov_b32_e32 v18, 0
	v_mov_b32_e32 v20, 0
	s_and_saveexec_b32 s3, s2
	s_cbranch_execz .LBB103_31
; %bb.24:
	v_mul_lo_u32 v3, v3, 28
	v_mul_lo_u32 v5, v2, 28
	s_mul_i32 s2, s12, 28
	v_dual_mov_b32 v4, 0 :: v_dual_mov_b32 v15, 0
	v_dual_mov_b32 v8, 0 :: v_dual_mov_b32 v17, 0
	;; [unrolled: 1-line block ×3, first 2 shown]
	v_mad_u32_u24 v3, v0, 28, v3
	v_mov_b32_e32 v16, 0
	v_mov_b32_e32 v18, 0
	;; [unrolled: 1-line block ×3, first 2 shown]
	s_delay_alu instid0(VALU_DEP_4)
	v_subrev_nc_u32_e32 v6, s2, v3
	s_mov_b32 s2, 0
	s_branch .LBB103_26
.LBB103_25:                             ;   in Loop: Header=BB103_26 Depth=1
	v_add_nc_u32_e32 v2, 64, v2
	v_add_nc_u32_e32 v5, 0x700, v5
	;; [unrolled: 1-line block ×3, first 2 shown]
	s_delay_alu instid0(VALU_DEP_3) | instskip(SKIP_1) | instid1(SALU_CYCLE_1)
	v_cmp_ge_i32_e32 vcc_lo, v2, v13
	s_or_b32 s2, vcc_lo, s2
	s_and_not1_b32 exec_lo, exec_lo, s2
	s_cbranch_execz .LBB103_30
.LBB103_26:                             ; =>This Loop Header: Depth=1
                                        ;     Child Loop BB103_28 Depth 2
	v_ashrrev_i32_e32 v3, 31, v2
	v_dual_mov_b32 v27, v15 :: v_dual_mov_b32 v28, v17
	v_dual_mov_b32 v25, v16 :: v_dual_mov_b32 v24, v18
	s_delay_alu instid0(VALU_DEP_3) | instskip(SKIP_2) | instid1(VALU_DEP_2)
	v_lshlrev_b64 v[21:22], 2, v[2:3]
	v_dual_mov_b32 v26, v19 :: v_dual_mov_b32 v23, v20
	s_mov_b32 s4, 0
	v_add_co_u32 v21, vcc_lo, s6, v21
	s_delay_alu instid0(VALU_DEP_3) | instskip(SKIP_4) | instid1(VALU_DEP_1)
	v_add_co_ci_u32_e32 v22, vcc_lo, s7, v22, vcc_lo
	global_load_b32 v3, v[21:22], off
	v_dual_mov_b32 v21, v8 :: v_dual_mov_b32 v22, v14
	s_waitcnt vmcnt(0)
	v_subrev_nc_u32_e32 v3, s12, v3
	v_mul_lo_u32 v7, v3, 7
	s_branch .LBB103_28
.LBB103_27:                             ;   in Loop: Header=BB103_26 Depth=1
                                        ; implicit-def: $vgpr23
                                        ; implicit-def: $vgpr26
                                        ; implicit-def: $vgpr24
                                        ; implicit-def: $vgpr28
                                        ; implicit-def: $vgpr25
                                        ; implicit-def: $vgpr27
                                        ; implicit-def: $vgpr22
                                        ; implicit-def: $vgpr21
                                        ; implicit-def: $sgpr4
	s_branch .LBB103_25
.LBB103_28:                             ;   Parent Loop BB103_26 Depth=1
                                        ; =>  This Inner Loop Header: Depth=2
	v_add_nc_u32_e32 v3, s4, v6
	s_cmp_eq_u32 s4, 6
	v_mov_b32_e32 v33, v4
	s_delay_alu instid0(VALU_DEP_2) | instskip(NEXT) | instid1(VALU_DEP_4)
	v_lshlrev_b64 v[14:15], 3, v[3:4]
	v_add_nc_u32_e32 v3, s4, v7
	s_delay_alu instid0(VALU_DEP_1) | instskip(NEXT) | instid1(VALU_DEP_3)
	v_lshlrev_b64 v[30:31], 3, v[3:4]
	v_add_co_u32 v14, vcc_lo, s8, v14
	s_delay_alu instid0(VALU_DEP_4) | instskip(NEXT) | instid1(VALU_DEP_3)
	v_add_co_ci_u32_e32 v15, vcc_lo, s9, v15, vcc_lo
	v_add_co_u32 v30, vcc_lo, s10, v30
	s_delay_alu instid0(VALU_DEP_4) | instskip(SKIP_4) | instid1(VALU_DEP_1)
	v_add_co_ci_u32_e32 v31, vcc_lo, s11, v31, vcc_lo
	global_load_b64 v[34:35], v[14:15], off
	global_load_b64 v[30:31], v[30:31], off
	s_waitcnt vmcnt(0)
	v_dual_fmac_f32 v22, v34, v30 :: v_dual_add_nc_u32 v29, s4, v5
	v_dual_mov_b32 v17, v4 :: v_dual_add_nc_u32 v16, 7, v29
	v_dual_mov_b32 v19, v4 :: v_dual_add_nc_u32 v18, 14, v29
	v_add_nc_u32_e32 v32, 21, v29
	s_delay_alu instid0(VALU_DEP_3) | instskip(NEXT) | instid1(VALU_DEP_3)
	v_lshlrev_b64 v[16:17], 3, v[16:17]
	v_lshlrev_b64 v[18:19], 3, v[18:19]
	s_delay_alu instid0(VALU_DEP_2) | instskip(NEXT) | instid1(VALU_DEP_3)
	v_add_co_u32 v14, vcc_lo, s8, v16
	v_add_co_ci_u32_e32 v15, vcc_lo, s9, v17, vcc_lo
	v_lshlrev_b64 v[16:17], 3, v[32:33]
	s_delay_alu instid0(VALU_DEP_4) | instskip(SKIP_1) | instid1(VALU_DEP_3)
	v_add_co_u32 v18, vcc_lo, s8, v18
	v_add_co_ci_u32_e32 v19, vcc_lo, s9, v19, vcc_lo
	v_add_co_u32 v16, vcc_lo, s8, v16
	s_delay_alu instid0(VALU_DEP_4)
	v_add_co_ci_u32_e32 v17, vcc_lo, s9, v17, vcc_lo
	s_clause 0x2
	global_load_b64 v[32:33], v[14:15], off
	global_load_b64 v[36:37], v[18:19], off
	;; [unrolled: 1-line block ×3, first 2 shown]
	v_fma_f32 v14, -v35, v31, v22
	s_waitcnt vmcnt(2)
	v_fmac_f32_e32 v26, v32, v30
	s_waitcnt vmcnt(1)
	v_fmac_f32_e32 v24, v37, v30
	v_fmac_f32_e32 v21, v35, v30
	;; [unrolled: 1-line block ×3, first 2 shown]
	v_fma_f32 v19, -v33, v31, v26
	s_delay_alu instid0(VALU_DEP_4) | instskip(NEXT) | instid1(VALU_DEP_4)
	v_mov_b32_e32 v18, v24
	v_mov_b32_e32 v8, v21
	v_fmac_f32_e32 v23, v33, v30
	v_fma_f32 v17, -v37, v31, v28
	s_delay_alu instid0(VALU_DEP_4) | instskip(NEXT) | instid1(VALU_DEP_4)
	v_fmac_f32_e32 v18, v36, v31
	v_fmac_f32_e32 v8, v34, v31
	s_waitcnt vmcnt(0)
	v_dual_fmac_f32 v27, v38, v30 :: v_dual_mov_b32 v20, v23
	v_fmac_f32_e32 v25, v39, v30
	s_delay_alu instid0(VALU_DEP_2) | instskip(NEXT) | instid1(VALU_DEP_3)
	v_fma_f32 v15, -v39, v31, v27
	v_fmac_f32_e32 v20, v32, v31
	s_delay_alu instid0(VALU_DEP_3) | instskip(NEXT) | instid1(VALU_DEP_1)
	v_mov_b32_e32 v16, v25
	v_fmac_f32_e32 v16, v38, v31
	s_cbranch_scc1 .LBB103_27
; %bb.29:                               ;   in Loop: Header=BB103_28 Depth=2
	v_dual_mov_b32 v22, v4 :: v_dual_add_nc_u32 v3, 1, v3
	v_add_nc_u32_e32 v21, 1, v29
	s_add_i32 s4, s4, 2
	s_delay_alu instid0(VALU_DEP_2) | instskip(SKIP_1) | instid1(VALU_DEP_3)
	v_lshlrev_b64 v[23:24], 3, v[3:4]
	v_add_nc_u32_e32 v3, 8, v29
	v_lshlrev_b64 v[21:22], 3, v[21:22]
	s_delay_alu instid0(VALU_DEP_2) | instskip(SKIP_1) | instid1(VALU_DEP_3)
	v_lshlrev_b64 v[25:26], 3, v[3:4]
	v_add_nc_u32_e32 v3, 15, v29
	v_add_co_u32 v21, vcc_lo, s8, v21
	s_delay_alu instid0(VALU_DEP_4)
	v_add_co_ci_u32_e32 v22, vcc_lo, s9, v22, vcc_lo
	v_add_co_u32 v23, vcc_lo, s10, v23
	v_add_co_ci_u32_e32 v24, vcc_lo, s11, v24, vcc_lo
	v_add_co_u32 v25, vcc_lo, s8, v25
	v_lshlrev_b64 v[27:28], 3, v[3:4]
	v_add_nc_u32_e32 v3, 22, v29
	v_add_co_ci_u32_e32 v26, vcc_lo, s9, v26, vcc_lo
	global_load_b64 v[29:30], v[21:22], off
	global_load_b64 v[31:32], v[23:24], off
	;; [unrolled: 1-line block ×3, first 2 shown]
	v_lshlrev_b64 v[21:22], 3, v[3:4]
	v_add_co_u32 v23, vcc_lo, s8, v27
	v_add_co_ci_u32_e32 v24, vcc_lo, s9, v28, vcc_lo
	s_delay_alu instid0(VALU_DEP_3) | instskip(NEXT) | instid1(VALU_DEP_4)
	v_add_co_u32 v21, vcc_lo, s8, v21
	v_add_co_ci_u32_e32 v22, vcc_lo, s9, v22, vcc_lo
	s_clause 0x1
	global_load_b64 v[27:28], v[23:24], off
	global_load_b64 v[35:36], v[21:22], off
	s_waitcnt vmcnt(3)
	v_fma_f32 v3, v29, v31, v14
	v_fma_f32 v21, v30, v31, v8
	s_waitcnt vmcnt(2)
	v_fma_f32 v24, v33, v31, v19
	v_fma_f32 v23, v34, v31, v20
	v_fma_f32 v22, -v30, v32, v3
	v_fmac_f32_e32 v21, v29, v32
	s_delay_alu instid0(VALU_DEP_4) | instskip(NEXT) | instid1(VALU_DEP_4)
	v_fma_f32 v26, -v34, v32, v24
	v_fmac_f32_e32 v23, v33, v32
	s_waitcnt vmcnt(1)
	v_fma_f32 v3, v27, v31, v17
	v_fma_f32 v24, v28, v31, v18
	s_waitcnt vmcnt(0)
	v_fma_f32 v29, v35, v31, v15
	v_fma_f32 v25, v36, v31, v16
	v_fma_f32 v28, -v28, v32, v3
	v_fmac_f32_e32 v24, v27, v32
	s_delay_alu instid0(VALU_DEP_4) | instskip(NEXT) | instid1(VALU_DEP_4)
	v_fma_f32 v27, -v36, v32, v29
	v_fmac_f32_e32 v25, v35, v32
	s_cbranch_execnz .LBB103_28
	s_branch .LBB103_25
.LBB103_30:
	s_or_b32 exec_lo, exec_lo, s2
.LBB103_31:
	s_delay_alu instid0(SALU_CYCLE_1)
	s_or_b32 exec_lo, exec_lo, s3
.LBB103_32:
	v_mbcnt_lo_u32_b32 v2, -1, 0
	s_delay_alu instid0(VALU_DEP_1) | instskip(SKIP_1) | instid1(VALU_DEP_2)
	v_or_b32_e32 v3, 32, v2
	v_xor_b32_e32 v23, 16, v2
	v_cmp_gt_i32_e32 vcc_lo, 32, v3
	v_cndmask_b32_e32 v3, v2, v3, vcc_lo
	s_delay_alu instid0(VALU_DEP_3) | instskip(NEXT) | instid1(VALU_DEP_2)
	v_cmp_gt_i32_e32 vcc_lo, 32, v23
	v_lshlrev_b32_e32 v3, 2, v3
	ds_bpermute_b32 v4, v3, v14
	s_waitcnt lgkmcnt(0)
	v_add_f32_e32 v4, v14, v4
	ds_bpermute_b32 v5, v3, v8
	ds_bpermute_b32 v6, v3, v19
	;; [unrolled: 1-line block ×5, first 2 shown]
	v_cndmask_b32_e32 v23, v2, v23, vcc_lo
	ds_bpermute_b32 v7, v3, v20
	ds_bpermute_b32 v3, v3, v16
	s_waitcnt lgkmcnt(5)
	v_dual_add_f32 v5, v8, v5 :: v_dual_add_f32 v6, v19, v6
	s_waitcnt lgkmcnt(4)
	v_dual_add_f32 v8, v17, v13 :: v_dual_lshlrev_b32 v23, 2, v23
	s_waitcnt lgkmcnt(3)
	v_add_f32_e32 v14, v15, v22
	ds_bpermute_b32 v15, v23, v4
	s_waitcnt lgkmcnt(3)
	v_add_f32_e32 v13, v18, v21
	ds_bpermute_b32 v17, v23, v6
	ds_bpermute_b32 v21, v23, v14
	s_waitcnt lgkmcnt(4)
	v_add_f32_e32 v7, v20, v7
	s_waitcnt lgkmcnt(3)
	v_add_f32_e32 v3, v16, v3
	ds_bpermute_b32 v16, v23, v5
	ds_bpermute_b32 v19, v23, v8
	s_waitcnt lgkmcnt(4)
	v_add_f32_e32 v4, v4, v15
	ds_bpermute_b32 v20, v23, v13
	s_waitcnt lgkmcnt(4)
	v_add_f32_e32 v6, v6, v17
	s_waitcnt lgkmcnt(3)
	v_add_f32_e32 v14, v14, v21
	ds_bpermute_b32 v18, v23, v7
	ds_bpermute_b32 v22, v23, v3
	v_xor_b32_e32 v23, 8, v2
	s_waitcnt lgkmcnt(3)
	v_dual_add_f32 v5, v5, v16 :: v_dual_add_f32 v8, v8, v19
	s_delay_alu instid0(VALU_DEP_2) | instskip(SKIP_1) | instid1(VALU_DEP_1)
	v_cmp_gt_i32_e32 vcc_lo, 32, v23
	v_cndmask_b32_e32 v23, v2, v23, vcc_lo
	v_lshlrev_b32_e32 v23, 2, v23
	ds_bpermute_b32 v17, v23, v6
	s_waitcnt lgkmcnt(0)
	v_add_f32_e32 v6, v6, v17
	ds_bpermute_b32 v15, v23, v4
	ds_bpermute_b32 v19, v23, v8
	;; [unrolled: 1-line block ×3, first 2 shown]
	v_add_f32_e32 v7, v7, v18
	v_add_f32_e32 v13, v13, v20
	;; [unrolled: 1-line block ×3, first 2 shown]
	ds_bpermute_b32 v16, v23, v5
	s_waitcnt lgkmcnt(3)
	v_add_f32_e32 v4, v4, v15
	ds_bpermute_b32 v18, v23, v7
	s_waitcnt lgkmcnt(2)
	v_add_f32_e32 v14, v14, v21
	ds_bpermute_b32 v22, v23, v3
	v_add_f32_e32 v8, v8, v19
	ds_bpermute_b32 v20, v23, v13
	v_xor_b32_e32 v23, 4, v2
	s_waitcnt lgkmcnt(3)
	v_add_f32_e32 v5, v5, v16
	s_delay_alu instid0(VALU_DEP_2) | instskip(SKIP_1) | instid1(VALU_DEP_1)
	v_cmp_gt_i32_e32 vcc_lo, 32, v23
	v_cndmask_b32_e32 v23, v2, v23, vcc_lo
	v_lshlrev_b32_e32 v23, 2, v23
	s_waitcnt lgkmcnt(2)
	v_add_f32_e32 v7, v7, v18
	s_waitcnt lgkmcnt(1)
	v_add_f32_e32 v3, v3, v22
	;; [unrolled: 2-line block ×3, first 2 shown]
	ds_bpermute_b32 v16, v23, v5
	ds_bpermute_b32 v18, v23, v7
	;; [unrolled: 1-line block ×3, first 2 shown]
	s_waitcnt lgkmcnt(1)
	v_dual_add_f32 v5, v5, v16 :: v_dual_add_f32 v16, v7, v18
	s_waitcnt lgkmcnt(0)
	v_add_f32_e32 v18, v14, v21
	ds_bpermute_b32 v15, v23, v4
	ds_bpermute_b32 v17, v23, v6
	;; [unrolled: 1-line block ×5, first 2 shown]
	v_xor_b32_e32 v23, 2, v2
	s_delay_alu instid0(VALU_DEP_1) | instskip(SKIP_1) | instid1(VALU_DEP_1)
	v_cmp_gt_i32_e32 vcc_lo, 32, v23
	v_cndmask_b32_e32 v23, v2, v23, vcc_lo
	v_lshlrev_b32_e32 v23, 2, v23
	s_waitcnt lgkmcnt(3)
	v_dual_add_f32 v4, v4, v15 :: v_dual_add_f32 v15, v6, v17
	s_waitcnt lgkmcnt(1)
	v_dual_add_f32 v8, v8, v19 :: v_dual_add_f32 v17, v13, v20
	s_waitcnt lgkmcnt(0)
	v_add_f32_e32 v19, v3, v22
	ds_bpermute_b32 v3, v23, v4
	ds_bpermute_b32 v6, v23, v5
	ds_bpermute_b32 v7, v23, v15
	ds_bpermute_b32 v13, v23, v16
	ds_bpermute_b32 v14, v23, v8
	ds_bpermute_b32 v20, v23, v17
	ds_bpermute_b32 v21, v23, v18
	ds_bpermute_b32 v22, v23, v19
	v_xor_b32_e32 v23, 1, v2
	s_delay_alu instid0(VALU_DEP_1) | instskip(SKIP_4) | instid1(VALU_DEP_3)
	v_cmp_gt_i32_e32 vcc_lo, 32, v23
	v_cndmask_b32_e32 v2, v2, v23, vcc_lo
	v_cmp_eq_u32_e32 vcc_lo, 63, v0
	s_waitcnt lgkmcnt(5)
	v_add_f32_e32 v7, v15, v7
	v_dual_add_f32 v2, v4, v3 :: v_dual_lshlrev_b32 v23, 2, v2
	s_waitcnt lgkmcnt(4)
	v_dual_add_f32 v6, v5, v6 :: v_dual_add_f32 v13, v16, v13
	s_waitcnt lgkmcnt(2)
	v_dual_add_f32 v14, v8, v14 :: v_dual_add_f32 v15, v17, v20
	s_waitcnt lgkmcnt(1)
	v_add_f32_e32 v3, v18, v21
	s_waitcnt lgkmcnt(0)
	v_add_f32_e32 v5, v19, v22
	ds_bpermute_b32 v4, v23, v2
	ds_bpermute_b32 v8, v23, v6
	;; [unrolled: 1-line block ×8, first 2 shown]
	s_and_b32 exec_lo, exec_lo, vcc_lo
	s_cbranch_execz .LBB103_37
; %bb.33:
	s_load_b64 s[2:3], s[0:1], 0x38
	v_cmp_eq_f32_e32 vcc_lo, 0, v11
	v_cmp_eq_f32_e64 s0, 0, v12
	s_waitcnt lgkmcnt(0)
	v_add_f32_e32 v4, v2, v4
	v_dual_add_f32 v8, v6, v8 :: v_dual_add_f32 v5, v5, v17
	v_dual_add_f32 v0, v7, v18 :: v_dual_add_f32 v7, v13, v19
	v_add_f32_e32 v2, v14, v20
	v_add_f32_e32 v6, v15, v21
	v_add_f32_e32 v3, v3, v16
	s_and_b32 s0, vcc_lo, s0
	s_delay_alu instid0(SALU_CYCLE_1) | instskip(NEXT) | instid1(SALU_CYCLE_1)
	s_and_saveexec_b32 s1, s0
	s_xor_b32 s0, exec_lo, s1
	s_cbranch_execz .LBB103_35
; %bb.34:
	v_mul_f32_e64 v11, v8, -v10
	v_mul_f32_e32 v12, v8, v9
	v_mul_f32_e64 v13, v7, -v10
	v_mul_f32_e32 v14, v7, v9
	v_mul_f32_e64 v15, v6, -v10
	v_fmac_f32_e32 v11, v9, v4
	v_dual_fmac_f32 v12, v10, v4 :: v_dual_lshlrev_b32 v17, 2, v1
	s_delay_alu instid0(VALU_DEP_3) | instskip(SKIP_1) | instid1(VALU_DEP_3)
	v_dual_mul_f32 v16, v6, v9 :: v_dual_fmac_f32 v15, v9, v2
	v_fmac_f32_e32 v13, v9, v0
	v_ashrrev_i32_e32 v18, 31, v17
                                        ; implicit-def: $vgpr1
                                        ; implicit-def: $vgpr4
                                        ; implicit-def: $vgpr8
	s_delay_alu instid0(VALU_DEP_3) | instskip(NEXT) | instid1(VALU_DEP_2)
	v_fmac_f32_e32 v16, v10, v2
                                        ; implicit-def: $vgpr2
	v_lshlrev_b64 v[6:7], 3, v[17:18]
	v_mul_f32_e64 v17, v5, -v10
	v_mul_f32_e32 v18, v5, v9
	v_fmac_f32_e32 v14, v10, v0
                                        ; implicit-def: $vgpr0
                                        ; implicit-def: $vgpr5
	s_delay_alu instid0(VALU_DEP_3)
	v_fmac_f32_e32 v17, v9, v3
	v_add_co_u32 v6, vcc_lo, s2, v6
	v_add_co_ci_u32_e32 v7, vcc_lo, s3, v7, vcc_lo
	v_fmac_f32_e32 v18, v10, v3
	s_clause 0x1
	global_store_b128 v[6:7], v[11:14], off
	global_store_b128 v[6:7], v[15:18], off offset:16
                                        ; implicit-def: $vgpr9
                                        ; implicit-def: $vgpr10
                                        ; implicit-def: $vgpr11
                                        ; implicit-def: $vgpr12
                                        ; implicit-def: $vgpr7
                                        ; implicit-def: $vgpr6
                                        ; implicit-def: $vgpr3
.LBB103_35:
	s_and_not1_saveexec_b32 s0, s0
	s_cbranch_execz .LBB103_37
; %bb.36:
	v_mul_f32_e32 v22, v8, v9
	v_lshlrev_b32_e32 v13, 2, v1
	v_mul_f32_e64 v1, v8, -v10
	v_mul_f32_e64 v23, v7, -v10
	v_mul_f32_e32 v24, v7, v9
	v_mul_f32_e64 v7, v6, -v10
	s_delay_alu instid0(VALU_DEP_4) | instskip(SKIP_2) | instid1(VALU_DEP_4)
	v_dual_mul_f32 v6, v6, v9 :: v_dual_fmac_f32 v1, v9, v4
	v_fmac_f32_e32 v22, v10, v4
	v_ashrrev_i32_e32 v14, 31, v13
	v_fmac_f32_e32 v7, v9, v2
	v_mul_f32_e64 v27, v5, -v10
	v_fmac_f32_e32 v23, v9, v0
	v_fmac_f32_e32 v24, v10, v0
	v_lshlrev_b64 v[13:14], 3, v[13:14]
	s_delay_alu instid0(VALU_DEP_4) | instskip(NEXT) | instid1(VALU_DEP_2)
	v_fmac_f32_e32 v27, v9, v3
	v_add_co_u32 v25, vcc_lo, s2, v13
	s_delay_alu instid0(VALU_DEP_3)
	v_add_co_ci_u32_e32 v26, vcc_lo, s3, v14, vcc_lo
	s_clause 0x1
	global_load_b128 v[13:16], v[25:26], off
	global_load_b128 v[17:20], v[25:26], off offset:16
	v_mul_f32_e32 v8, v5, v9
	s_waitcnt vmcnt(1)
	v_dual_fmac_f32 v6, v10, v2 :: v_dual_fmac_f32 v1, v11, v13
	v_fmac_f32_e32 v23, v11, v15
	s_waitcnt vmcnt(0)
	v_dual_fmac_f32 v8, v10, v3 :: v_dual_fmac_f32 v7, v11, v17
	v_dual_fmac_f32 v22, v12, v13 :: v_dual_fmac_f32 v27, v11, v19
	v_fmac_f32_e32 v24, v12, v15
	v_fmac_f32_e32 v6, v12, v17
	s_delay_alu instid0(VALU_DEP_4)
	v_fmac_f32_e32 v8, v12, v19
	v_fma_f32 v21, -v12, v14, v1
	v_fmac_f32_e32 v22, v11, v14
	v_fma_f32 v23, -v12, v16, v23
	;; [unrolled: 2-line block ×4, first 2 shown]
	v_fmac_f32_e32 v8, v11, v20
	s_clause 0x1
	global_store_b128 v[25:26], v[21:24], off
	global_store_b128 v[25:26], v[5:8], off offset:16
.LBB103_37:
	s_nop 0
	s_sendmsg sendmsg(MSG_DEALLOC_VGPRS)
	s_endpgm
	.section	.rodata,"a",@progbits
	.p2align	6, 0x0
	.amdhsa_kernel _ZN9rocsparseL19gebsrmvn_4xn_kernelILj128ELj7ELj64E21rocsparse_complex_numIfEEEvi20rocsparse_direction_NS_24const_host_device_scalarIT2_EEPKiS8_PKS5_SA_S6_PS5_21rocsparse_index_base_b
		.amdhsa_group_segment_fixed_size 0
		.amdhsa_private_segment_fixed_size 0
		.amdhsa_kernarg_size 72
		.amdhsa_user_sgpr_count 15
		.amdhsa_user_sgpr_dispatch_ptr 0
		.amdhsa_user_sgpr_queue_ptr 0
		.amdhsa_user_sgpr_kernarg_segment_ptr 1
		.amdhsa_user_sgpr_dispatch_id 0
		.amdhsa_user_sgpr_private_segment_size 0
		.amdhsa_wavefront_size32 1
		.amdhsa_uses_dynamic_stack 0
		.amdhsa_enable_private_segment 0
		.amdhsa_system_sgpr_workgroup_id_x 1
		.amdhsa_system_sgpr_workgroup_id_y 0
		.amdhsa_system_sgpr_workgroup_id_z 0
		.amdhsa_system_sgpr_workgroup_info 0
		.amdhsa_system_vgpr_workitem_id 0
		.amdhsa_next_free_vgpr 41
		.amdhsa_next_free_sgpr 16
		.amdhsa_reserve_vcc 1
		.amdhsa_float_round_mode_32 0
		.amdhsa_float_round_mode_16_64 0
		.amdhsa_float_denorm_mode_32 3
		.amdhsa_float_denorm_mode_16_64 3
		.amdhsa_dx10_clamp 1
		.amdhsa_ieee_mode 1
		.amdhsa_fp16_overflow 0
		.amdhsa_workgroup_processor_mode 1
		.amdhsa_memory_ordered 1
		.amdhsa_forward_progress 0
		.amdhsa_shared_vgpr_count 0
		.amdhsa_exception_fp_ieee_invalid_op 0
		.amdhsa_exception_fp_denorm_src 0
		.amdhsa_exception_fp_ieee_div_zero 0
		.amdhsa_exception_fp_ieee_overflow 0
		.amdhsa_exception_fp_ieee_underflow 0
		.amdhsa_exception_fp_ieee_inexact 0
		.amdhsa_exception_int_div_zero 0
	.end_amdhsa_kernel
	.section	.text._ZN9rocsparseL19gebsrmvn_4xn_kernelILj128ELj7ELj64E21rocsparse_complex_numIfEEEvi20rocsparse_direction_NS_24const_host_device_scalarIT2_EEPKiS8_PKS5_SA_S6_PS5_21rocsparse_index_base_b,"axG",@progbits,_ZN9rocsparseL19gebsrmvn_4xn_kernelILj128ELj7ELj64E21rocsparse_complex_numIfEEEvi20rocsparse_direction_NS_24const_host_device_scalarIT2_EEPKiS8_PKS5_SA_S6_PS5_21rocsparse_index_base_b,comdat
.Lfunc_end103:
	.size	_ZN9rocsparseL19gebsrmvn_4xn_kernelILj128ELj7ELj64E21rocsparse_complex_numIfEEEvi20rocsparse_direction_NS_24const_host_device_scalarIT2_EEPKiS8_PKS5_SA_S6_PS5_21rocsparse_index_base_b, .Lfunc_end103-_ZN9rocsparseL19gebsrmvn_4xn_kernelILj128ELj7ELj64E21rocsparse_complex_numIfEEEvi20rocsparse_direction_NS_24const_host_device_scalarIT2_EEPKiS8_PKS5_SA_S6_PS5_21rocsparse_index_base_b
                                        ; -- End function
	.section	.AMDGPU.csdata,"",@progbits
; Kernel info:
; codeLenInByte = 3340
; NumSgprs: 18
; NumVgprs: 41
; ScratchSize: 0
; MemoryBound: 0
; FloatMode: 240
; IeeeMode: 1
; LDSByteSize: 0 bytes/workgroup (compile time only)
; SGPRBlocks: 2
; VGPRBlocks: 5
; NumSGPRsForWavesPerEU: 18
; NumVGPRsForWavesPerEU: 41
; Occupancy: 16
; WaveLimiterHint : 1
; COMPUTE_PGM_RSRC2:SCRATCH_EN: 0
; COMPUTE_PGM_RSRC2:USER_SGPR: 15
; COMPUTE_PGM_RSRC2:TRAP_HANDLER: 0
; COMPUTE_PGM_RSRC2:TGID_X_EN: 1
; COMPUTE_PGM_RSRC2:TGID_Y_EN: 0
; COMPUTE_PGM_RSRC2:TGID_Z_EN: 0
; COMPUTE_PGM_RSRC2:TIDIG_COMP_CNT: 0
	.section	.text._ZN9rocsparseL19gebsrmvn_4xn_kernelILj128ELj8ELj4E21rocsparse_complex_numIfEEEvi20rocsparse_direction_NS_24const_host_device_scalarIT2_EEPKiS8_PKS5_SA_S6_PS5_21rocsparse_index_base_b,"axG",@progbits,_ZN9rocsparseL19gebsrmvn_4xn_kernelILj128ELj8ELj4E21rocsparse_complex_numIfEEEvi20rocsparse_direction_NS_24const_host_device_scalarIT2_EEPKiS8_PKS5_SA_S6_PS5_21rocsparse_index_base_b,comdat
	.globl	_ZN9rocsparseL19gebsrmvn_4xn_kernelILj128ELj8ELj4E21rocsparse_complex_numIfEEEvi20rocsparse_direction_NS_24const_host_device_scalarIT2_EEPKiS8_PKS5_SA_S6_PS5_21rocsparse_index_base_b ; -- Begin function _ZN9rocsparseL19gebsrmvn_4xn_kernelILj128ELj8ELj4E21rocsparse_complex_numIfEEEvi20rocsparse_direction_NS_24const_host_device_scalarIT2_EEPKiS8_PKS5_SA_S6_PS5_21rocsparse_index_base_b
	.p2align	8
	.type	_ZN9rocsparseL19gebsrmvn_4xn_kernelILj128ELj8ELj4E21rocsparse_complex_numIfEEEvi20rocsparse_direction_NS_24const_host_device_scalarIT2_EEPKiS8_PKS5_SA_S6_PS5_21rocsparse_index_base_b,@function
_ZN9rocsparseL19gebsrmvn_4xn_kernelILj128ELj8ELj4E21rocsparse_complex_numIfEEEvi20rocsparse_direction_NS_24const_host_device_scalarIT2_EEPKiS8_PKS5_SA_S6_PS5_21rocsparse_index_base_b: ; @_ZN9rocsparseL19gebsrmvn_4xn_kernelILj128ELj8ELj4E21rocsparse_complex_numIfEEEvi20rocsparse_direction_NS_24const_host_device_scalarIT2_EEPKiS8_PKS5_SA_S6_PS5_21rocsparse_index_base_b
; %bb.0:
	s_clause 0x2
	s_load_b64 s[12:13], s[0:1], 0x40
	s_load_b64 s[4:5], s[0:1], 0x8
	;; [unrolled: 1-line block ×3, first 2 shown]
	s_waitcnt lgkmcnt(0)
	s_bitcmp1_b32 s13, 0
	v_mov_b32_e32 v10, s4
	s_cselect_b32 s6, -1, 0
	s_delay_alu instid0(SALU_CYCLE_1)
	s_and_b32 vcc_lo, exec_lo, s6
	s_xor_b32 s6, s6, -1
	s_cbranch_vccz .LBB104_17
; %bb.1:
	v_cndmask_b32_e64 v1, 0, 1, s6
	v_mov_b32_e32 v11, s5
	s_and_not1_b32 vcc_lo, exec_lo, s6
	s_cbranch_vccz .LBB104_18
.LBB104_2:
	s_delay_alu instid0(VALU_DEP_2)
	v_cmp_ne_u32_e32 vcc_lo, 1, v1
	v_mov_b32_e32 v12, s2
	s_cbranch_vccz .LBB104_19
.LBB104_3:
	v_cmp_ne_u32_e32 vcc_lo, 1, v1
	v_mov_b32_e32 v13, s3
	s_cbranch_vccnz .LBB104_5
.LBB104_4:
	v_dual_mov_b32 v1, s2 :: v_dual_mov_b32 v2, s3
	flat_load_b32 v13, v[1:2] offset:4
.LBB104_5:
	s_waitcnt vmcnt(0) lgkmcnt(0)
	v_cmp_eq_f32_e32 vcc_lo, 0, v10
	v_cmp_eq_f32_e64 s2, 0, v11
	s_delay_alu instid0(VALU_DEP_1)
	s_and_b32 s4, vcc_lo, s2
	s_mov_b32 s2, -1
	s_and_saveexec_b32 s3, s4
; %bb.6:
	v_cmp_neq_f32_e32 vcc_lo, 1.0, v12
	v_cmp_neq_f32_e64 s2, 0, v13
	s_delay_alu instid0(VALU_DEP_1) | instskip(NEXT) | instid1(SALU_CYCLE_1)
	s_or_b32 s2, vcc_lo, s2
	s_or_not1_b32 s2, s2, exec_lo
; %bb.7:
	s_or_b32 exec_lo, exec_lo, s3
	s_and_saveexec_b32 s3, s2
	s_cbranch_execz .LBB104_33
; %bb.8:
	s_load_b64 s[2:3], s[0:1], 0x0
	v_lshrrev_b32_e32 v1, 2, v0
	s_delay_alu instid0(VALU_DEP_1) | instskip(SKIP_1) | instid1(VALU_DEP_1)
	v_lshl_or_b32 v1, s15, 5, v1
	s_waitcnt lgkmcnt(0)
	v_cmp_gt_i32_e32 vcc_lo, s2, v1
	s_and_b32 exec_lo, exec_lo, vcc_lo
	s_cbranch_execz .LBB104_33
; %bb.9:
	s_load_b256 s[4:11], s[0:1], 0x10
	v_ashrrev_i32_e32 v2, 31, v1
	v_and_b32_e32 v0, 3, v0
	s_cmp_lg_u32 s3, 0
	s_delay_alu instid0(VALU_DEP_2) | instskip(SKIP_1) | instid1(VALU_DEP_1)
	v_lshlrev_b64 v[2:3], 2, v[1:2]
	s_waitcnt lgkmcnt(0)
	v_add_co_u32 v2, vcc_lo, s4, v2
	s_delay_alu instid0(VALU_DEP_2) | instskip(SKIP_4) | instid1(VALU_DEP_2)
	v_add_co_ci_u32_e32 v3, vcc_lo, s5, v3, vcc_lo
	global_load_b64 v[2:3], v[2:3], off
	s_waitcnt vmcnt(0)
	v_subrev_nc_u32_e32 v2, s12, v2
	v_subrev_nc_u32_e32 v20, s12, v3
	v_add_nc_u32_e32 v2, v2, v0
	s_delay_alu instid0(VALU_DEP_1)
	v_cmp_lt_i32_e64 s2, v2, v20
	s_cbranch_scc0 .LBB104_20
; %bb.10:
	v_dual_mov_b32 v14, 0 :: v_dual_mov_b32 v19, 0
	v_dual_mov_b32 v18, 0 :: v_dual_mov_b32 v15, 0
	;; [unrolled: 1-line block ×4, first 2 shown]
	s_mov_b32 s3, 0
	s_and_saveexec_b32 s13, s2
	s_cbranch_execz .LBB104_16
; %bb.11:
	v_dual_mov_b32 v4, 0 :: v_dual_lshlrev_b32 v3, 5, v2
	v_dual_mov_b32 v6, 0 :: v_dual_mov_b32 v7, v2
	s_add_u32 s14, s10, 8
	s_delay_alu instid0(VALU_DEP_2) | instskip(NEXT) | instid1(VALU_DEP_3)
	v_or_b32_e32 v23, 4, v3
	v_mov_b32_e32 v14, v4
	v_mov_b32_e32 v19, v4
	;; [unrolled: 1-line block ×8, first 2 shown]
	s_addc_u32 s16, s11, 0
	s_mov_b32 s15, 0
.LBB104_12:                             ; =>This Loop Header: Depth=1
                                        ;     Child Loop BB104_13 Depth 2
	v_ashrrev_i32_e32 v8, 31, v7
	v_lshlrev_b64 v[24:25], 3, v[3:4]
	s_mov_b64 s[4:5], 0
	s_delay_alu instid0(VALU_DEP_2) | instskip(NEXT) | instid1(VALU_DEP_1)
	v_lshlrev_b64 v[8:9], 2, v[7:8]
	v_add_co_u32 v8, vcc_lo, s6, v8
	s_delay_alu instid0(VALU_DEP_2) | instskip(NEXT) | instid1(VALU_DEP_4)
	v_add_co_ci_u32_e32 v9, vcc_lo, s7, v9, vcc_lo
	v_add_co_u32 v24, vcc_lo, s8, v24
	v_add_co_ci_u32_e32 v25, vcc_lo, s9, v25, vcc_lo
	global_load_b32 v5, v[8:9], off
	s_waitcnt vmcnt(0)
	v_subrev_nc_u32_e32 v5, s12, v5
	s_delay_alu instid0(VALU_DEP_1) | instskip(SKIP_1) | instid1(VALU_DEP_2)
	v_dual_mov_b32 v9, v4 :: v_dual_lshlrev_b32 v8, 3, v5
	v_mov_b32_e32 v5, v23
	v_lshlrev_b64 v[8:9], 3, v[8:9]
	s_delay_alu instid0(VALU_DEP_1) | instskip(NEXT) | instid1(VALU_DEP_2)
	v_add_co_u32 v8, vcc_lo, s14, v8
	v_add_co_ci_u32_e32 v9, vcc_lo, s16, v9, vcc_lo
.LBB104_13:                             ;   Parent Loop BB104_12 Depth=1
                                        ; =>  This Inner Loop Header: Depth=2
	v_add_co_u32 v34, vcc_lo, v24, s4
	v_add_co_ci_u32_e32 v35, vcc_lo, s5, v25, vcc_lo
	v_lshlrev_b64 v[38:39], 3, v[5:6]
	global_load_b128 v[26:29], v[8:9], off offset:-8
	s_add_u32 s4, s4, 64
	s_clause 0x1
	global_load_b128 v[30:33], v[34:35], off
	global_load_b128 v[34:37], v[34:35], off offset:16
	v_add_nc_u32_e32 v5, 8, v5
	s_addc_u32 s5, s5, 0
	v_add_co_u32 v42, vcc_lo, s8, v38
	v_add_co_ci_u32_e32 v43, vcc_lo, s9, v39, vcc_lo
	s_clause 0x1
	global_load_b128 v[38:41], v[42:43], off
	global_load_b128 v[42:45], v[42:43], off offset:16
	v_add_co_u32 v8, vcc_lo, v8, 16
	v_add_co_ci_u32_e32 v9, vcc_lo, 0, v9, vcc_lo
	s_cmpk_eq_i32 s4, 0x100
	s_waitcnt vmcnt(3)
	v_fmac_f32_e32 v14, v31, v26
	s_delay_alu instid0(VALU_DEP_1) | instskip(SKIP_2) | instid1(VALU_DEP_2)
	v_dual_fmac_f32 v17, v33, v26 :: v_dual_fmac_f32 v14, v30, v27
	v_fmac_f32_e32 v19, v30, v26
	s_waitcnt vmcnt(2)
	v_dual_fmac_f32 v16, v35, v26 :: v_dual_fmac_f32 v17, v32, v27
	v_fmac_f32_e32 v18, v36, v26
	s_waitcnt vmcnt(1)
	v_fmac_f32_e32 v14, v39, v28
	v_fma_f32 v19, -v31, v27, v19
	v_fmac_f32_e32 v22, v32, v26
	v_dual_fmac_f32 v15, v37, v26 :: v_dual_fmac_f32 v16, v34, v27
	v_fmac_f32_e32 v17, v41, v28
	s_delay_alu instid0(VALU_DEP_4) | instskip(NEXT) | instid1(VALU_DEP_4)
	v_fmac_f32_e32 v19, v38, v28
	v_fma_f32 v22, -v33, v27, v22
	v_fmac_f32_e32 v21, v34, v26
	v_fma_f32 v18, -v37, v27, v18
	s_waitcnt vmcnt(0)
	v_dual_fmac_f32 v15, v36, v27 :: v_dual_fmac_f32 v16, v43, v28
	v_fmac_f32_e32 v22, v40, v28
	v_fma_f32 v21, -v35, v27, v21
	v_fmac_f32_e32 v18, v44, v28
	s_delay_alu instid0(VALU_DEP_4) | instskip(SKIP_1) | instid1(VALU_DEP_4)
	v_dual_fmac_f32 v15, v45, v28 :: v_dual_fmac_f32 v14, v38, v29
	v_fma_f32 v19, -v39, v29, v19
	v_fmac_f32_e32 v21, v42, v28
	v_fma_f32 v22, -v41, v29, v22
	v_fmac_f32_e32 v17, v40, v29
	v_fmac_f32_e32 v16, v42, v29
	v_fma_f32 v18, -v45, v29, v18
	v_fma_f32 v21, -v43, v29, v21
	v_fmac_f32_e32 v15, v44, v29
	s_cbranch_scc0 .LBB104_13
; %bb.14:                               ;   in Loop: Header=BB104_12 Depth=1
	v_add_nc_u32_e32 v7, 4, v7
	v_add_nc_u32_e32 v23, 0x80, v23
	;; [unrolled: 1-line block ×3, first 2 shown]
	s_delay_alu instid0(VALU_DEP_3) | instskip(SKIP_1) | instid1(SALU_CYCLE_1)
	v_cmp_ge_i32_e32 vcc_lo, v7, v20
	s_or_b32 s15, vcc_lo, s15
	s_and_not1_b32 exec_lo, exec_lo, s15
	s_cbranch_execnz .LBB104_12
; %bb.15:
	s_or_b32 exec_lo, exec_lo, s15
.LBB104_16:
	s_delay_alu instid0(SALU_CYCLE_1) | instskip(NEXT) | instid1(SALU_CYCLE_1)
	s_or_b32 exec_lo, exec_lo, s13
	s_and_not1_b32 vcc_lo, exec_lo, s3
	s_cbranch_vccz .LBB104_21
	s_branch .LBB104_28
.LBB104_17:
	v_dual_mov_b32 v1, s4 :: v_dual_mov_b32 v2, s5
	flat_load_b32 v10, v[1:2]
	v_cndmask_b32_e64 v1, 0, 1, s6
	v_mov_b32_e32 v11, s5
	s_and_not1_b32 vcc_lo, exec_lo, s6
	s_cbranch_vccnz .LBB104_2
.LBB104_18:
	v_dual_mov_b32 v2, s4 :: v_dual_mov_b32 v3, s5
	flat_load_b32 v11, v[2:3] offset:4
	v_cmp_ne_u32_e32 vcc_lo, 1, v1
	v_mov_b32_e32 v12, s2
	s_cbranch_vccnz .LBB104_3
.LBB104_19:
	v_dual_mov_b32 v2, s2 :: v_dual_mov_b32 v3, s3
	flat_load_b32 v12, v[2:3]
	v_cmp_ne_u32_e32 vcc_lo, 1, v1
	v_mov_b32_e32 v13, s3
	s_cbranch_vccz .LBB104_4
	s_branch .LBB104_5
.LBB104_20:
                                        ; implicit-def: $vgpr14
                                        ; implicit-def: $vgpr19
                                        ; implicit-def: $vgpr18
                                        ; implicit-def: $vgpr15
                                        ; implicit-def: $vgpr21
                                        ; implicit-def: $vgpr16
                                        ; implicit-def: $vgpr22
                                        ; implicit-def: $vgpr17
.LBB104_21:
	v_dual_mov_b32 v14, 0 :: v_dual_mov_b32 v19, 0
	v_dual_mov_b32 v18, 0 :: v_dual_mov_b32 v15, 0
	;; [unrolled: 1-line block ×4, first 2 shown]
	s_and_saveexec_b32 s4, s2
	s_cbranch_execz .LBB104_27
; %bb.22:
	v_dual_mov_b32 v5, 0 :: v_dual_lshlrev_b32 v4, 5, v2
	s_mov_b32 s5, 0
	s_delay_alu instid0(VALU_DEP_1)
	v_mov_b32_e32 v14, v5
	v_mov_b32_e32 v19, v5
	;; [unrolled: 1-line block ×8, first 2 shown]
.LBB104_23:                             ; =>This Loop Header: Depth=1
                                        ;     Child Loop BB104_24 Depth 2
	v_ashrrev_i32_e32 v3, 31, v2
	v_lshlrev_b64 v[8:9], 3, v[4:5]
	s_mov_b64 s[2:3], 0
	s_delay_alu instid0(VALU_DEP_2) | instskip(NEXT) | instid1(VALU_DEP_1)
	v_lshlrev_b64 v[6:7], 2, v[2:3]
	v_add_co_u32 v6, vcc_lo, s6, v6
	s_delay_alu instid0(VALU_DEP_2) | instskip(SKIP_3) | instid1(VALU_DEP_1)
	v_add_co_ci_u32_e32 v7, vcc_lo, s7, v7, vcc_lo
	global_load_b32 v3, v[6:7], off
	s_waitcnt vmcnt(0)
	v_subrev_nc_u32_e32 v3, s12, v3
	v_dual_mov_b32 v7, v5 :: v_dual_lshlrev_b32 v6, 3, v3
	v_add_co_u32 v3, vcc_lo, s8, v8
	s_delay_alu instid0(VALU_DEP_2) | instskip(SKIP_1) | instid1(VALU_DEP_2)
	v_lshlrev_b64 v[23:24], 3, v[6:7]
	v_add_co_ci_u32_e32 v6, vcc_lo, s9, v9, vcc_lo
	v_add_co_u32 v7, vcc_lo, s10, v23
	s_delay_alu instid0(VALU_DEP_3)
	v_add_co_ci_u32_e32 v8, vcc_lo, s11, v24, vcc_lo
.LBB104_24:                             ;   Parent Loop BB104_23 Depth=1
                                        ; =>  This Inner Loop Header: Depth=2
	s_delay_alu instid0(VALU_DEP_2) | instskip(NEXT) | instid1(VALU_DEP_2)
	v_add_co_u32 v23, vcc_lo, v7, s2
	v_add_co_ci_u32_e32 v24, vcc_lo, s3, v8, vcc_lo
	v_add_co_u32 v39, vcc_lo, v3, s2
	v_add_co_ci_u32_e32 v40, vcc_lo, s3, v6, vcc_lo
	s_add_u32 s2, s2, 16
	global_load_b128 v[23:26], v[23:24], off
	s_clause 0x3
	global_load_b128 v[27:30], v[39:40], off
	global_load_b128 v[31:34], v[39:40], off offset:64
	global_load_b128 v[35:38], v[39:40], off offset:128
	;; [unrolled: 1-line block ×3, first 2 shown]
	s_addc_u32 s3, s3, 0
	s_cmp_eq_u32 s2, 64
	s_waitcnt vmcnt(2)
	v_fmac_f32_e32 v17, v32, v23
	v_fmac_f32_e32 v14, v28, v23
	s_waitcnt vmcnt(0)
	v_fmac_f32_e32 v15, v40, v23
	s_delay_alu instid0(VALU_DEP_3) | instskip(NEXT) | instid1(VALU_DEP_3)
	v_dual_fmac_f32 v16, v36, v23 :: v_dual_fmac_f32 v17, v31, v24
	v_fmac_f32_e32 v14, v27, v24
	s_delay_alu instid0(VALU_DEP_3) | instskip(SKIP_1) | instid1(VALU_DEP_4)
	v_fmac_f32_e32 v15, v39, v24
	v_fmac_f32_e32 v19, v27, v23
	v_dual_fmac_f32 v18, v39, v23 :: v_dual_fmac_f32 v17, v34, v25
	s_delay_alu instid0(VALU_DEP_4) | instskip(SKIP_1) | instid1(VALU_DEP_4)
	v_fmac_f32_e32 v14, v30, v25
	v_fmac_f32_e32 v16, v35, v24
	v_fma_f32 v9, -v28, v24, v19
	v_fmac_f32_e32 v22, v31, v23
	v_fma_f32 v18, -v40, v24, v18
	v_dual_fmac_f32 v15, v42, v25 :: v_dual_fmac_f32 v14, v29, v26
	s_delay_alu instid0(VALU_DEP_4) | instskip(NEXT) | instid1(VALU_DEP_4)
	v_fmac_f32_e32 v9, v29, v25
	v_fma_f32 v22, -v32, v24, v22
	v_dual_fmac_f32 v21, v35, v23 :: v_dual_fmac_f32 v16, v38, v25
	v_fmac_f32_e32 v17, v33, v26
	v_fmac_f32_e32 v18, v41, v25
	s_delay_alu instid0(VALU_DEP_4) | instskip(NEXT) | instid1(VALU_DEP_4)
	v_fmac_f32_e32 v22, v33, v25
	v_fma_f32 v21, -v36, v24, v21
	v_fma_f32 v19, -v30, v26, v9
	v_fmac_f32_e32 v16, v37, v26
	v_fma_f32 v18, -v42, v26, v18
	v_fma_f32 v22, -v34, v26, v22
	v_fmac_f32_e32 v21, v37, v25
	v_fmac_f32_e32 v15, v41, v26
	s_delay_alu instid0(VALU_DEP_2)
	v_fma_f32 v21, -v38, v26, v21
	s_cbranch_scc0 .LBB104_24
; %bb.25:                               ;   in Loop: Header=BB104_23 Depth=1
	v_add_nc_u32_e32 v2, 4, v2
	v_add_nc_u32_e32 v4, 0x80, v4
	s_delay_alu instid0(VALU_DEP_2) | instskip(SKIP_1) | instid1(SALU_CYCLE_1)
	v_cmp_ge_i32_e32 vcc_lo, v2, v20
	s_or_b32 s5, vcc_lo, s5
	s_and_not1_b32 exec_lo, exec_lo, s5
	s_cbranch_execnz .LBB104_23
; %bb.26:
	s_or_b32 exec_lo, exec_lo, s5
.LBB104_27:
	s_delay_alu instid0(SALU_CYCLE_1)
	s_or_b32 exec_lo, exec_lo, s4
.LBB104_28:
	v_mbcnt_lo_u32_b32 v2, -1, 0
	s_delay_alu instid0(VALU_DEP_1) | instskip(NEXT) | instid1(VALU_DEP_1)
	v_xor_b32_e32 v3, 2, v2
	v_cmp_gt_i32_e32 vcc_lo, 32, v3
	v_cndmask_b32_e32 v3, v2, v3, vcc_lo
	s_delay_alu instid0(VALU_DEP_1)
	v_lshlrev_b32_e32 v3, 2, v3
	ds_bpermute_b32 v4, v3, v19
	ds_bpermute_b32 v5, v3, v14
	;; [unrolled: 1-line block ×8, first 2 shown]
	v_xor_b32_e32 v3, 1, v2
	s_delay_alu instid0(VALU_DEP_1)
	v_cmp_gt_i32_e32 vcc_lo, 32, v3
	v_cndmask_b32_e32 v2, v2, v3, vcc_lo
	v_cmp_eq_u32_e32 vcc_lo, 3, v0
	s_waitcnt lgkmcnt(6)
	v_add_f32_e32 v6, v14, v5
	s_waitcnt lgkmcnt(5)
	v_add_f32_e32 v7, v22, v7
	;; [unrolled: 2-line block ×4, first 2 shown]
	v_lshlrev_b32_e32 v26, 2, v2
	v_add_f32_e32 v2, v19, v4
	s_waitcnt lgkmcnt(1)
	v_dual_add_f32 v16, v16, v23 :: v_dual_add_f32 v3, v18, v24
	s_waitcnt lgkmcnt(0)
	v_add_f32_e32 v5, v15, v25
	ds_bpermute_b32 v8, v26, v6
	ds_bpermute_b32 v4, v26, v2
	;; [unrolled: 1-line block ×8, first 2 shown]
	s_and_b32 exec_lo, exec_lo, vcc_lo
	s_cbranch_execz .LBB104_33
; %bb.29:
	s_load_b64 s[2:3], s[0:1], 0x38
	v_cmp_eq_f32_e32 vcc_lo, 0, v12
	v_cmp_eq_f32_e64 s0, 0, v13
	s_waitcnt lgkmcnt(0)
	v_add_f32_e32 v4, v2, v4
	v_dual_add_f32 v8, v6, v8 :: v_dual_add_f32 v3, v3, v15
	v_dual_add_f32 v0, v7, v18 :: v_dual_add_f32 v5, v5, v17
	;; [unrolled: 1-line block ×3, first 2 shown]
	v_add_f32_e32 v6, v16, v21
	s_and_b32 s0, vcc_lo, s0
	s_delay_alu instid0(SALU_CYCLE_1) | instskip(NEXT) | instid1(SALU_CYCLE_1)
	s_and_saveexec_b32 s1, s0
	s_xor_b32 s0, exec_lo, s1
	s_cbranch_execz .LBB104_31
; %bb.30:
	v_dual_mul_f32 v13, v8, v10 :: v_dual_lshlrev_b32 v18, 2, v1
	v_mul_f32_e64 v14, v7, -v11
	v_mul_f32_e64 v12, v8, -v11
	v_mul_f32_e32 v15, v7, v10
	s_delay_alu instid0(VALU_DEP_4)
	v_ashrrev_i32_e32 v19, 31, v18
	v_mul_f32_e64 v16, v6, -v11
	v_mul_f32_e32 v17, v6, v10
	v_fmac_f32_e32 v12, v10, v4
	v_fmac_f32_e32 v14, v10, v0
	v_lshlrev_b64 v[6:7], 3, v[18:19]
	v_mul_f32_e32 v19, v5, v10
	v_mul_f32_e64 v18, v5, -v11
	v_dual_fmac_f32 v13, v11, v4 :: v_dual_fmac_f32 v16, v10, v2
	v_fmac_f32_e32 v15, v11, v0
	v_add_co_u32 v6, vcc_lo, s2, v6
	s_delay_alu instid0(VALU_DEP_4)
	v_fmac_f32_e32 v18, v10, v3
	v_add_co_ci_u32_e32 v7, vcc_lo, s3, v7, vcc_lo
	v_fmac_f32_e32 v17, v11, v2
	v_fmac_f32_e32 v19, v11, v3
	s_clause 0x1
	global_store_b128 v[6:7], v[12:15], off
	global_store_b128 v[6:7], v[16:19], off offset:16
                                        ; implicit-def: $vgpr10
                                        ; implicit-def: $vgpr11
                                        ; implicit-def: $vgpr12
                                        ; implicit-def: $vgpr13
                                        ; implicit-def: $vgpr1
                                        ; implicit-def: $vgpr4
                                        ; implicit-def: $vgpr8
                                        ; implicit-def: $vgpr0
                                        ; implicit-def: $vgpr7
                                        ; implicit-def: $vgpr2
                                        ; implicit-def: $vgpr6
                                        ; implicit-def: $vgpr3
                                        ; implicit-def: $vgpr5
.LBB104_31:
	s_and_not1_saveexec_b32 s0, s0
	s_cbranch_execz .LBB104_33
; %bb.32:
	v_dual_mul_f32 v23, v8, v10 :: v_dual_lshlrev_b32 v14, 2, v1
	v_mul_f32_e64 v1, v8, -v11
	v_mul_f32_e64 v9, v7, -v11
	;; [unrolled: 1-line block ×3, first 2 shown]
	s_delay_alu instid0(VALU_DEP_4) | instskip(SKIP_3) | instid1(VALU_DEP_4)
	v_ashrrev_i32_e32 v15, 31, v14
	v_mul_f32_e32 v25, v7, v10
	v_mul_f32_e64 v7, v6, -v11
	v_dual_mul_f32 v6, v6, v10 :: v_dual_fmac_f32 v23, v11, v4
	v_lshlrev_b64 v[14:15], 3, v[14:15]
	v_dual_mul_f32 v8, v5, v10 :: v_dual_fmac_f32 v1, v10, v4
	s_delay_alu instid0(VALU_DEP_3) | instskip(SKIP_1) | instid1(VALU_DEP_4)
	v_dual_fmac_f32 v9, v10, v0 :: v_dual_fmac_f32 v6, v11, v2
	v_fmac_f32_e32 v28, v10, v3
	v_add_co_u32 v26, vcc_lo, s2, v14
	v_add_co_ci_u32_e32 v27, vcc_lo, s3, v15, vcc_lo
	v_dual_fmac_f32 v7, v10, v2 :: v_dual_fmac_f32 v8, v11, v3
	s_clause 0x1
	global_load_b128 v[14:17], v[26:27], off
	global_load_b128 v[18:21], v[26:27], off offset:16
	v_fmac_f32_e32 v25, v11, v0
	s_waitcnt vmcnt(0)
	v_dual_fmac_f32 v1, v12, v14 :: v_dual_fmac_f32 v8, v13, v20
	v_dual_fmac_f32 v23, v13, v14 :: v_dual_fmac_f32 v28, v12, v20
	;; [unrolled: 1-line block ×3, first 2 shown]
	v_fmac_f32_e32 v25, v13, v16
	v_fmac_f32_e32 v7, v12, v18
	v_fma_f32 v22, -v13, v15, v1
	v_fmac_f32_e32 v23, v12, v15
	v_fmac_f32_e32 v6, v12, v19
	v_fma_f32 v24, -v13, v17, v9
	v_fmac_f32_e32 v25, v12, v17
	v_fma_f32 v5, -v13, v19, v7
	v_fma_f32 v7, -v13, v21, v28
	v_fmac_f32_e32 v8, v12, v21
	s_clause 0x1
	global_store_b128 v[26:27], v[22:25], off
	global_store_b128 v[26:27], v[5:8], off offset:16
.LBB104_33:
	s_nop 0
	s_sendmsg sendmsg(MSG_DEALLOC_VGPRS)
	s_endpgm
	.section	.rodata,"a",@progbits
	.p2align	6, 0x0
	.amdhsa_kernel _ZN9rocsparseL19gebsrmvn_4xn_kernelILj128ELj8ELj4E21rocsparse_complex_numIfEEEvi20rocsparse_direction_NS_24const_host_device_scalarIT2_EEPKiS8_PKS5_SA_S6_PS5_21rocsparse_index_base_b
		.amdhsa_group_segment_fixed_size 0
		.amdhsa_private_segment_fixed_size 0
		.amdhsa_kernarg_size 72
		.amdhsa_user_sgpr_count 15
		.amdhsa_user_sgpr_dispatch_ptr 0
		.amdhsa_user_sgpr_queue_ptr 0
		.amdhsa_user_sgpr_kernarg_segment_ptr 1
		.amdhsa_user_sgpr_dispatch_id 0
		.amdhsa_user_sgpr_private_segment_size 0
		.amdhsa_wavefront_size32 1
		.amdhsa_uses_dynamic_stack 0
		.amdhsa_enable_private_segment 0
		.amdhsa_system_sgpr_workgroup_id_x 1
		.amdhsa_system_sgpr_workgroup_id_y 0
		.amdhsa_system_sgpr_workgroup_id_z 0
		.amdhsa_system_sgpr_workgroup_info 0
		.amdhsa_system_vgpr_workitem_id 0
		.amdhsa_next_free_vgpr 46
		.amdhsa_next_free_sgpr 17
		.amdhsa_reserve_vcc 1
		.amdhsa_float_round_mode_32 0
		.amdhsa_float_round_mode_16_64 0
		.amdhsa_float_denorm_mode_32 3
		.amdhsa_float_denorm_mode_16_64 3
		.amdhsa_dx10_clamp 1
		.amdhsa_ieee_mode 1
		.amdhsa_fp16_overflow 0
		.amdhsa_workgroup_processor_mode 1
		.amdhsa_memory_ordered 1
		.amdhsa_forward_progress 0
		.amdhsa_shared_vgpr_count 0
		.amdhsa_exception_fp_ieee_invalid_op 0
		.amdhsa_exception_fp_denorm_src 0
		.amdhsa_exception_fp_ieee_div_zero 0
		.amdhsa_exception_fp_ieee_overflow 0
		.amdhsa_exception_fp_ieee_underflow 0
		.amdhsa_exception_fp_ieee_inexact 0
		.amdhsa_exception_int_div_zero 0
	.end_amdhsa_kernel
	.section	.text._ZN9rocsparseL19gebsrmvn_4xn_kernelILj128ELj8ELj4E21rocsparse_complex_numIfEEEvi20rocsparse_direction_NS_24const_host_device_scalarIT2_EEPKiS8_PKS5_SA_S6_PS5_21rocsparse_index_base_b,"axG",@progbits,_ZN9rocsparseL19gebsrmvn_4xn_kernelILj128ELj8ELj4E21rocsparse_complex_numIfEEEvi20rocsparse_direction_NS_24const_host_device_scalarIT2_EEPKiS8_PKS5_SA_S6_PS5_21rocsparse_index_base_b,comdat
.Lfunc_end104:
	.size	_ZN9rocsparseL19gebsrmvn_4xn_kernelILj128ELj8ELj4E21rocsparse_complex_numIfEEEvi20rocsparse_direction_NS_24const_host_device_scalarIT2_EEPKiS8_PKS5_SA_S6_PS5_21rocsparse_index_base_b, .Lfunc_end104-_ZN9rocsparseL19gebsrmvn_4xn_kernelILj128ELj8ELj4E21rocsparse_complex_numIfEEEvi20rocsparse_direction_NS_24const_host_device_scalarIT2_EEPKiS8_PKS5_SA_S6_PS5_21rocsparse_index_base_b
                                        ; -- End function
	.section	.AMDGPU.csdata,"",@progbits
; Kernel info:
; codeLenInByte = 2248
; NumSgprs: 19
; NumVgprs: 46
; ScratchSize: 0
; MemoryBound: 0
; FloatMode: 240
; IeeeMode: 1
; LDSByteSize: 0 bytes/workgroup (compile time only)
; SGPRBlocks: 2
; VGPRBlocks: 5
; NumSGPRsForWavesPerEU: 19
; NumVGPRsForWavesPerEU: 46
; Occupancy: 16
; WaveLimiterHint : 1
; COMPUTE_PGM_RSRC2:SCRATCH_EN: 0
; COMPUTE_PGM_RSRC2:USER_SGPR: 15
; COMPUTE_PGM_RSRC2:TRAP_HANDLER: 0
; COMPUTE_PGM_RSRC2:TGID_X_EN: 1
; COMPUTE_PGM_RSRC2:TGID_Y_EN: 0
; COMPUTE_PGM_RSRC2:TGID_Z_EN: 0
; COMPUTE_PGM_RSRC2:TIDIG_COMP_CNT: 0
	.section	.text._ZN9rocsparseL19gebsrmvn_4xn_kernelILj128ELj8ELj8E21rocsparse_complex_numIfEEEvi20rocsparse_direction_NS_24const_host_device_scalarIT2_EEPKiS8_PKS5_SA_S6_PS5_21rocsparse_index_base_b,"axG",@progbits,_ZN9rocsparseL19gebsrmvn_4xn_kernelILj128ELj8ELj8E21rocsparse_complex_numIfEEEvi20rocsparse_direction_NS_24const_host_device_scalarIT2_EEPKiS8_PKS5_SA_S6_PS5_21rocsparse_index_base_b,comdat
	.globl	_ZN9rocsparseL19gebsrmvn_4xn_kernelILj128ELj8ELj8E21rocsparse_complex_numIfEEEvi20rocsparse_direction_NS_24const_host_device_scalarIT2_EEPKiS8_PKS5_SA_S6_PS5_21rocsparse_index_base_b ; -- Begin function _ZN9rocsparseL19gebsrmvn_4xn_kernelILj128ELj8ELj8E21rocsparse_complex_numIfEEEvi20rocsparse_direction_NS_24const_host_device_scalarIT2_EEPKiS8_PKS5_SA_S6_PS5_21rocsparse_index_base_b
	.p2align	8
	.type	_ZN9rocsparseL19gebsrmvn_4xn_kernelILj128ELj8ELj8E21rocsparse_complex_numIfEEEvi20rocsparse_direction_NS_24const_host_device_scalarIT2_EEPKiS8_PKS5_SA_S6_PS5_21rocsparse_index_base_b,@function
_ZN9rocsparseL19gebsrmvn_4xn_kernelILj128ELj8ELj8E21rocsparse_complex_numIfEEEvi20rocsparse_direction_NS_24const_host_device_scalarIT2_EEPKiS8_PKS5_SA_S6_PS5_21rocsparse_index_base_b: ; @_ZN9rocsparseL19gebsrmvn_4xn_kernelILj128ELj8ELj8E21rocsparse_complex_numIfEEEvi20rocsparse_direction_NS_24const_host_device_scalarIT2_EEPKiS8_PKS5_SA_S6_PS5_21rocsparse_index_base_b
; %bb.0:
	s_clause 0x2
	s_load_b64 s[12:13], s[0:1], 0x40
	s_load_b64 s[4:5], s[0:1], 0x8
	;; [unrolled: 1-line block ×3, first 2 shown]
	s_waitcnt lgkmcnt(0)
	s_bitcmp1_b32 s13, 0
	v_mov_b32_e32 v10, s4
	s_cselect_b32 s6, -1, 0
	s_delay_alu instid0(SALU_CYCLE_1)
	s_and_b32 vcc_lo, exec_lo, s6
	s_xor_b32 s6, s6, -1
	s_cbranch_vccz .LBB105_17
; %bb.1:
	v_cndmask_b32_e64 v1, 0, 1, s6
	v_mov_b32_e32 v11, s5
	s_and_not1_b32 vcc_lo, exec_lo, s6
	s_cbranch_vccz .LBB105_18
.LBB105_2:
	s_delay_alu instid0(VALU_DEP_2)
	v_cmp_ne_u32_e32 vcc_lo, 1, v1
	v_mov_b32_e32 v12, s2
	s_cbranch_vccz .LBB105_19
.LBB105_3:
	v_cmp_ne_u32_e32 vcc_lo, 1, v1
	v_mov_b32_e32 v13, s3
	s_cbranch_vccnz .LBB105_5
.LBB105_4:
	v_dual_mov_b32 v1, s2 :: v_dual_mov_b32 v2, s3
	flat_load_b32 v13, v[1:2] offset:4
.LBB105_5:
	s_waitcnt vmcnt(0) lgkmcnt(0)
	v_cmp_eq_f32_e32 vcc_lo, 0, v10
	v_cmp_eq_f32_e64 s2, 0, v11
	s_delay_alu instid0(VALU_DEP_1)
	s_and_b32 s4, vcc_lo, s2
	s_mov_b32 s2, -1
	s_and_saveexec_b32 s3, s4
; %bb.6:
	v_cmp_neq_f32_e32 vcc_lo, 1.0, v12
	v_cmp_neq_f32_e64 s2, 0, v13
	s_delay_alu instid0(VALU_DEP_1) | instskip(NEXT) | instid1(SALU_CYCLE_1)
	s_or_b32 s2, vcc_lo, s2
	s_or_not1_b32 s2, s2, exec_lo
; %bb.7:
	s_or_b32 exec_lo, exec_lo, s3
	s_and_saveexec_b32 s3, s2
	s_cbranch_execz .LBB105_33
; %bb.8:
	s_load_b64 s[2:3], s[0:1], 0x0
	v_lshrrev_b32_e32 v1, 3, v0
	s_delay_alu instid0(VALU_DEP_1) | instskip(SKIP_1) | instid1(VALU_DEP_1)
	v_lshl_or_b32 v1, s15, 4, v1
	s_waitcnt lgkmcnt(0)
	v_cmp_gt_i32_e32 vcc_lo, s2, v1
	s_and_b32 exec_lo, exec_lo, vcc_lo
	s_cbranch_execz .LBB105_33
; %bb.9:
	s_load_b256 s[4:11], s[0:1], 0x10
	v_ashrrev_i32_e32 v2, 31, v1
	v_and_b32_e32 v0, 7, v0
	s_cmp_lg_u32 s3, 0
	s_delay_alu instid0(VALU_DEP_2) | instskip(SKIP_1) | instid1(VALU_DEP_1)
	v_lshlrev_b64 v[2:3], 2, v[1:2]
	s_waitcnt lgkmcnt(0)
	v_add_co_u32 v2, vcc_lo, s4, v2
	s_delay_alu instid0(VALU_DEP_2) | instskip(SKIP_4) | instid1(VALU_DEP_2)
	v_add_co_ci_u32_e32 v3, vcc_lo, s5, v3, vcc_lo
	global_load_b64 v[2:3], v[2:3], off
	s_waitcnt vmcnt(0)
	v_subrev_nc_u32_e32 v2, s12, v2
	v_subrev_nc_u32_e32 v21, s12, v3
	v_add_nc_u32_e32 v2, v2, v0
	s_delay_alu instid0(VALU_DEP_1)
	v_cmp_lt_i32_e64 s2, v2, v21
	s_cbranch_scc0 .LBB105_20
; %bb.10:
	v_dual_mov_b32 v14, 0 :: v_dual_mov_b32 v19, 0
	v_dual_mov_b32 v18, 0 :: v_dual_mov_b32 v15, 0
	;; [unrolled: 1-line block ×3, first 2 shown]
	v_mov_b32_e32 v16, 0
	v_mov_b32_e32 v22, 0
	s_mov_b32 s3, 0
	s_and_saveexec_b32 s13, s2
	s_cbranch_execz .LBB105_16
; %bb.11:
	v_dual_mov_b32 v4, 0 :: v_dual_lshlrev_b32 v3, 5, v2
	v_dual_mov_b32 v6, 0 :: v_dual_mov_b32 v7, v2
	s_add_u32 s14, s10, 8
	s_delay_alu instid0(VALU_DEP_2) | instskip(NEXT) | instid1(VALU_DEP_3)
	v_or_b32_e32 v23, 4, v3
	v_mov_b32_e32 v14, v4
	v_mov_b32_e32 v19, v4
	v_mov_b32_e32 v18, v4
	v_mov_b32_e32 v15, v4
	v_mov_b32_e32 v20, v4
	v_mov_b32_e32 v16, v4
	v_mov_b32_e32 v22, v4
	v_mov_b32_e32 v17, v4
	s_addc_u32 s16, s11, 0
	s_mov_b32 s15, 0
.LBB105_12:                             ; =>This Loop Header: Depth=1
                                        ;     Child Loop BB105_13 Depth 2
	v_ashrrev_i32_e32 v8, 31, v7
	v_lshlrev_b64 v[24:25], 3, v[3:4]
	s_mov_b64 s[4:5], 0
	s_delay_alu instid0(VALU_DEP_2) | instskip(NEXT) | instid1(VALU_DEP_1)
	v_lshlrev_b64 v[8:9], 2, v[7:8]
	v_add_co_u32 v8, vcc_lo, s6, v8
	s_delay_alu instid0(VALU_DEP_2) | instskip(NEXT) | instid1(VALU_DEP_4)
	v_add_co_ci_u32_e32 v9, vcc_lo, s7, v9, vcc_lo
	v_add_co_u32 v24, vcc_lo, s8, v24
	v_add_co_ci_u32_e32 v25, vcc_lo, s9, v25, vcc_lo
	global_load_b32 v5, v[8:9], off
	s_waitcnt vmcnt(0)
	v_subrev_nc_u32_e32 v5, s12, v5
	s_delay_alu instid0(VALU_DEP_1) | instskip(SKIP_1) | instid1(VALU_DEP_2)
	v_dual_mov_b32 v9, v4 :: v_dual_lshlrev_b32 v8, 3, v5
	v_mov_b32_e32 v5, v23
	v_lshlrev_b64 v[8:9], 3, v[8:9]
	s_delay_alu instid0(VALU_DEP_1) | instskip(NEXT) | instid1(VALU_DEP_2)
	v_add_co_u32 v8, vcc_lo, s14, v8
	v_add_co_ci_u32_e32 v9, vcc_lo, s16, v9, vcc_lo
.LBB105_13:                             ;   Parent Loop BB105_12 Depth=1
                                        ; =>  This Inner Loop Header: Depth=2
	v_add_co_u32 v34, vcc_lo, v24, s4
	v_add_co_ci_u32_e32 v35, vcc_lo, s5, v25, vcc_lo
	v_lshlrev_b64 v[38:39], 3, v[5:6]
	global_load_b128 v[26:29], v[8:9], off offset:-8
	s_add_u32 s4, s4, 64
	s_clause 0x1
	global_load_b128 v[30:33], v[34:35], off
	global_load_b128 v[34:37], v[34:35], off offset:16
	v_add_nc_u32_e32 v5, 8, v5
	s_addc_u32 s5, s5, 0
	v_add_co_u32 v42, vcc_lo, s8, v38
	v_add_co_ci_u32_e32 v43, vcc_lo, s9, v39, vcc_lo
	s_clause 0x1
	global_load_b128 v[38:41], v[42:43], off
	global_load_b128 v[42:45], v[42:43], off offset:16
	v_add_co_u32 v8, vcc_lo, v8, 16
	v_add_co_ci_u32_e32 v9, vcc_lo, 0, v9, vcc_lo
	s_cmpk_eq_i32 s4, 0x100
	s_waitcnt vmcnt(3)
	v_fmac_f32_e32 v14, v31, v26
	v_fmac_f32_e32 v17, v33, v26
	s_waitcnt vmcnt(2)
	v_fmac_f32_e32 v15, v37, v26
	v_fmac_f32_e32 v16, v35, v26
	;; [unrolled: 1-line block ×4, first 2 shown]
	v_dual_fmac_f32 v20, v34, v26 :: v_dual_fmac_f32 v17, v32, v27
	v_fmac_f32_e32 v18, v36, v26
	s_waitcnt vmcnt(1)
	v_fmac_f32_e32 v14, v39, v28
	v_fma_f32 v19, -v31, v27, v19
	v_fmac_f32_e32 v22, v32, v26
	v_fma_f32 v20, -v35, v27, v20
	v_fmac_f32_e32 v15, v36, v27
	v_fmac_f32_e32 v16, v34, v27
	;; [unrolled: 1-line block ×3, first 2 shown]
	v_fma_f32 v22, -v33, v27, v22
	v_fmac_f32_e32 v17, v41, v28
	v_fma_f32 v18, -v37, v27, v18
	s_waitcnt vmcnt(0)
	v_fmac_f32_e32 v20, v42, v28
	v_dual_fmac_f32 v15, v45, v28 :: v_dual_fmac_f32 v14, v38, v29
	v_fmac_f32_e32 v22, v40, v28
	v_fmac_f32_e32 v16, v43, v28
	;; [unrolled: 1-line block ×3, first 2 shown]
	s_delay_alu instid0(VALU_DEP_4)
	v_fmac_f32_e32 v15, v44, v29
	v_fma_f32 v19, -v39, v29, v19
	v_fma_f32 v22, -v41, v29, v22
	v_fmac_f32_e32 v17, v40, v29
	v_fma_f32 v20, -v43, v29, v20
	v_fmac_f32_e32 v16, v42, v29
	v_fma_f32 v18, -v45, v29, v18
	s_cbranch_scc0 .LBB105_13
; %bb.14:                               ;   in Loop: Header=BB105_12 Depth=1
	v_add_nc_u32_e32 v7, 8, v7
	v_add_nc_u32_e32 v23, 0x100, v23
	;; [unrolled: 1-line block ×3, first 2 shown]
	s_delay_alu instid0(VALU_DEP_3) | instskip(SKIP_1) | instid1(SALU_CYCLE_1)
	v_cmp_ge_i32_e32 vcc_lo, v7, v21
	s_or_b32 s15, vcc_lo, s15
	s_and_not1_b32 exec_lo, exec_lo, s15
	s_cbranch_execnz .LBB105_12
; %bb.15:
	s_or_b32 exec_lo, exec_lo, s15
.LBB105_16:
	s_delay_alu instid0(SALU_CYCLE_1) | instskip(NEXT) | instid1(SALU_CYCLE_1)
	s_or_b32 exec_lo, exec_lo, s13
	s_and_not1_b32 vcc_lo, exec_lo, s3
	s_cbranch_vccz .LBB105_21
	s_branch .LBB105_28
.LBB105_17:
	v_dual_mov_b32 v1, s4 :: v_dual_mov_b32 v2, s5
	flat_load_b32 v10, v[1:2]
	v_cndmask_b32_e64 v1, 0, 1, s6
	v_mov_b32_e32 v11, s5
	s_and_not1_b32 vcc_lo, exec_lo, s6
	s_cbranch_vccnz .LBB105_2
.LBB105_18:
	v_dual_mov_b32 v2, s4 :: v_dual_mov_b32 v3, s5
	flat_load_b32 v11, v[2:3] offset:4
	v_cmp_ne_u32_e32 vcc_lo, 1, v1
	v_mov_b32_e32 v12, s2
	s_cbranch_vccnz .LBB105_3
.LBB105_19:
	v_dual_mov_b32 v2, s2 :: v_dual_mov_b32 v3, s3
	flat_load_b32 v12, v[2:3]
	v_cmp_ne_u32_e32 vcc_lo, 1, v1
	v_mov_b32_e32 v13, s3
	s_cbranch_vccz .LBB105_4
	s_branch .LBB105_5
.LBB105_20:
                                        ; implicit-def: $vgpr14
                                        ; implicit-def: $vgpr19
                                        ; implicit-def: $vgpr18
                                        ; implicit-def: $vgpr15
                                        ; implicit-def: $vgpr20
                                        ; implicit-def: $vgpr16
                                        ; implicit-def: $vgpr22
                                        ; implicit-def: $vgpr17
.LBB105_21:
	v_dual_mov_b32 v14, 0 :: v_dual_mov_b32 v19, 0
	v_dual_mov_b32 v18, 0 :: v_dual_mov_b32 v15, 0
	v_dual_mov_b32 v20, 0 :: v_dual_mov_b32 v17, 0
	v_mov_b32_e32 v16, 0
	v_mov_b32_e32 v22, 0
	s_and_saveexec_b32 s4, s2
	s_cbranch_execz .LBB105_27
; %bb.22:
	v_dual_mov_b32 v5, 0 :: v_dual_lshlrev_b32 v4, 5, v2
	s_mov_b32 s5, 0
	s_delay_alu instid0(VALU_DEP_1)
	v_mov_b32_e32 v14, v5
	v_mov_b32_e32 v19, v5
	;; [unrolled: 1-line block ×8, first 2 shown]
.LBB105_23:                             ; =>This Loop Header: Depth=1
                                        ;     Child Loop BB105_24 Depth 2
	v_ashrrev_i32_e32 v3, 31, v2
	v_lshlrev_b64 v[8:9], 3, v[4:5]
	s_mov_b64 s[2:3], 0
	s_delay_alu instid0(VALU_DEP_2) | instskip(NEXT) | instid1(VALU_DEP_1)
	v_lshlrev_b64 v[6:7], 2, v[2:3]
	v_add_co_u32 v6, vcc_lo, s6, v6
	s_delay_alu instid0(VALU_DEP_2) | instskip(SKIP_3) | instid1(VALU_DEP_1)
	v_add_co_ci_u32_e32 v7, vcc_lo, s7, v7, vcc_lo
	global_load_b32 v3, v[6:7], off
	s_waitcnt vmcnt(0)
	v_subrev_nc_u32_e32 v3, s12, v3
	v_dual_mov_b32 v7, v5 :: v_dual_lshlrev_b32 v6, 3, v3
	v_add_co_u32 v3, vcc_lo, s8, v8
	s_delay_alu instid0(VALU_DEP_2) | instskip(SKIP_1) | instid1(VALU_DEP_2)
	v_lshlrev_b64 v[23:24], 3, v[6:7]
	v_add_co_ci_u32_e32 v6, vcc_lo, s9, v9, vcc_lo
	v_add_co_u32 v7, vcc_lo, s10, v23
	s_delay_alu instid0(VALU_DEP_3)
	v_add_co_ci_u32_e32 v8, vcc_lo, s11, v24, vcc_lo
.LBB105_24:                             ;   Parent Loop BB105_23 Depth=1
                                        ; =>  This Inner Loop Header: Depth=2
	s_delay_alu instid0(VALU_DEP_2) | instskip(NEXT) | instid1(VALU_DEP_2)
	v_add_co_u32 v23, vcc_lo, v7, s2
	v_add_co_ci_u32_e32 v24, vcc_lo, s3, v8, vcc_lo
	v_add_co_u32 v39, vcc_lo, v3, s2
	v_add_co_ci_u32_e32 v40, vcc_lo, s3, v6, vcc_lo
	s_add_u32 s2, s2, 16
	global_load_b128 v[23:26], v[23:24], off
	s_clause 0x3
	global_load_b128 v[27:30], v[39:40], off
	global_load_b128 v[31:34], v[39:40], off offset:64
	global_load_b128 v[35:38], v[39:40], off offset:128
	;; [unrolled: 1-line block ×3, first 2 shown]
	s_addc_u32 s3, s3, 0
	s_cmp_eq_u32 s2, 64
	s_waitcnt vmcnt(2)
	v_fmac_f32_e32 v17, v32, v23
	v_fmac_f32_e32 v14, v28, v23
	s_waitcnt vmcnt(0)
	v_fmac_f32_e32 v15, v40, v23
	s_delay_alu instid0(VALU_DEP_3) | instskip(NEXT) | instid1(VALU_DEP_3)
	v_dual_fmac_f32 v16, v36, v23 :: v_dual_fmac_f32 v17, v31, v24
	v_fmac_f32_e32 v14, v27, v24
	s_delay_alu instid0(VALU_DEP_3) | instskip(SKIP_1) | instid1(VALU_DEP_4)
	v_fmac_f32_e32 v15, v39, v24
	v_fmac_f32_e32 v19, v27, v23
	v_dual_fmac_f32 v20, v35, v23 :: v_dual_fmac_f32 v17, v34, v25
	s_delay_alu instid0(VALU_DEP_3) | instskip(SKIP_1) | instid1(VALU_DEP_4)
	v_dual_fmac_f32 v18, v39, v23 :: v_dual_fmac_f32 v15, v42, v25
	v_fmac_f32_e32 v14, v30, v25
	v_fma_f32 v9, -v28, v24, v19
	v_fmac_f32_e32 v22, v31, v23
	v_fma_f32 v20, -v36, v24, v20
	;; [unrolled: 2-line block ×4, first 2 shown]
	v_fmac_f32_e32 v20, v37, v25
	v_dual_fmac_f32 v16, v38, v25 :: v_dual_fmac_f32 v17, v33, v26
	v_fmac_f32_e32 v18, v41, v25
	s_delay_alu instid0(VALU_DEP_4)
	v_fmac_f32_e32 v22, v33, v25
	v_fma_f32 v19, -v30, v26, v9
	v_fmac_f32_e32 v14, v29, v26
	v_fma_f32 v20, -v38, v26, v20
	;; [unrolled: 2-line block ×3, first 2 shown]
	v_fma_f32 v18, -v42, v26, v18
	v_fmac_f32_e32 v15, v41, v26
	s_cbranch_scc0 .LBB105_24
; %bb.25:                               ;   in Loop: Header=BB105_23 Depth=1
	v_add_nc_u32_e32 v2, 8, v2
	v_add_nc_u32_e32 v4, 0x100, v4
	s_delay_alu instid0(VALU_DEP_2) | instskip(SKIP_1) | instid1(SALU_CYCLE_1)
	v_cmp_ge_i32_e32 vcc_lo, v2, v21
	s_or_b32 s5, vcc_lo, s5
	s_and_not1_b32 exec_lo, exec_lo, s5
	s_cbranch_execnz .LBB105_23
; %bb.26:
	s_or_b32 exec_lo, exec_lo, s5
.LBB105_27:
	s_delay_alu instid0(SALU_CYCLE_1)
	s_or_b32 exec_lo, exec_lo, s4
.LBB105_28:
	v_mbcnt_lo_u32_b32 v2, -1, 0
	s_delay_alu instid0(VALU_DEP_1) | instskip(SKIP_1) | instid1(VALU_DEP_2)
	v_xor_b32_e32 v3, 4, v2
	v_xor_b32_e32 v23, 2, v2
	v_cmp_gt_i32_e32 vcc_lo, 32, v3
	v_cndmask_b32_e32 v3, v2, v3, vcc_lo
	s_delay_alu instid0(VALU_DEP_3) | instskip(NEXT) | instid1(VALU_DEP_2)
	v_cmp_gt_i32_e32 vcc_lo, 32, v23
	v_lshlrev_b32_e32 v3, 2, v3
	ds_bpermute_b32 v5, v3, v14
	ds_bpermute_b32 v6, v3, v22
	s_waitcnt lgkmcnt(1)
	v_add_f32_e32 v5, v14, v5
	s_waitcnt lgkmcnt(0)
	v_add_f32_e32 v14, v22, v6
	ds_bpermute_b32 v8, v3, v20
	ds_bpermute_b32 v4, v3, v19
	;; [unrolled: 1-line block ×6, first 2 shown]
	s_waitcnt lgkmcnt(5)
	v_dual_cndmask_b32 v23, v2, v23 :: v_dual_add_f32 v8, v20, v8
	s_waitcnt lgkmcnt(4)
	s_delay_alu instid0(VALU_DEP_1)
	v_dual_add_f32 v4, v19, v4 :: v_dual_lshlrev_b32 v23, 2, v23
	s_waitcnt lgkmcnt(2)
	v_dual_add_f32 v16, v16, v9 :: v_dual_add_f32 v17, v17, v7
	s_waitcnt lgkmcnt(1)
	v_add_f32_e32 v18, v18, v21
	ds_bpermute_b32 v6, v23, v5
	s_waitcnt lgkmcnt(1)
	v_add_f32_e32 v19, v15, v3
	ds_bpermute_b32 v3, v23, v4
	ds_bpermute_b32 v7, v23, v14
	;; [unrolled: 1-line block ×7, first 2 shown]
	v_xor_b32_e32 v23, 1, v2
	s_delay_alu instid0(VALU_DEP_1)
	v_cmp_gt_i32_e32 vcc_lo, 32, v23
	v_cndmask_b32_e32 v2, v2, v23, vcc_lo
	v_cmp_eq_u32_e32 vcc_lo, 7, v0
	s_waitcnt lgkmcnt(5)
	v_add_f32_e32 v7, v14, v7
	s_waitcnt lgkmcnt(4)
	v_add_f32_e32 v9, v17, v9
	s_waitcnt lgkmcnt(3)
	v_dual_add_f32 v14, v8, v15 :: v_dual_lshlrev_b32 v23, 2, v2
	v_add_f32_e32 v2, v4, v3
	s_waitcnt lgkmcnt(2)
	v_dual_add_f32 v6, v5, v6 :: v_dual_add_f32 v15, v16, v20
	s_waitcnt lgkmcnt(1)
	v_add_f32_e32 v3, v18, v21
	s_waitcnt lgkmcnt(0)
	v_add_f32_e32 v5, v19, v22
	ds_bpermute_b32 v4, v23, v2
	ds_bpermute_b32 v8, v23, v6
	;; [unrolled: 1-line block ×8, first 2 shown]
	s_and_b32 exec_lo, exec_lo, vcc_lo
	s_cbranch_execz .LBB105_33
; %bb.29:
	s_load_b64 s[2:3], s[0:1], 0x38
	v_cmp_eq_f32_e32 vcc_lo, 0, v12
	v_cmp_eq_f32_e64 s0, 0, v13
	s_waitcnt lgkmcnt(0)
	v_add_f32_e32 v4, v2, v4
	v_dual_add_f32 v8, v6, v8 :: v_dual_add_f32 v5, v5, v17
	v_dual_add_f32 v0, v7, v18 :: v_dual_add_f32 v7, v9, v19
	v_add_f32_e32 v2, v14, v20
	v_add_f32_e32 v6, v15, v21
	;; [unrolled: 1-line block ×3, first 2 shown]
	s_and_b32 s0, vcc_lo, s0
	s_delay_alu instid0(SALU_CYCLE_1) | instskip(NEXT) | instid1(SALU_CYCLE_1)
	s_and_saveexec_b32 s1, s0
	s_xor_b32 s0, exec_lo, s1
	s_cbranch_execz .LBB105_31
; %bb.30:
	v_dual_mul_f32 v13, v8, v10 :: v_dual_lshlrev_b32 v18, 2, v1
	v_mul_f32_e64 v14, v7, -v11
	v_mul_f32_e64 v12, v8, -v11
	v_mul_f32_e32 v15, v7, v10
	s_delay_alu instid0(VALU_DEP_4)
	v_ashrrev_i32_e32 v19, 31, v18
	v_mul_f32_e64 v16, v6, -v11
	v_mul_f32_e32 v17, v6, v10
	v_fmac_f32_e32 v12, v10, v4
	v_fmac_f32_e32 v14, v10, v0
	v_lshlrev_b64 v[6:7], 3, v[18:19]
	v_mul_f32_e32 v19, v5, v10
	v_mul_f32_e64 v18, v5, -v11
	v_dual_fmac_f32 v13, v11, v4 :: v_dual_fmac_f32 v16, v10, v2
	v_fmac_f32_e32 v15, v11, v0
	v_add_co_u32 v6, vcc_lo, s2, v6
	s_delay_alu instid0(VALU_DEP_4)
	v_fmac_f32_e32 v18, v10, v3
	v_add_co_ci_u32_e32 v7, vcc_lo, s3, v7, vcc_lo
	v_fmac_f32_e32 v17, v11, v2
	v_fmac_f32_e32 v19, v11, v3
	s_clause 0x1
	global_store_b128 v[6:7], v[12:15], off
	global_store_b128 v[6:7], v[16:19], off offset:16
                                        ; implicit-def: $vgpr10
                                        ; implicit-def: $vgpr11
                                        ; implicit-def: $vgpr12
                                        ; implicit-def: $vgpr13
                                        ; implicit-def: $vgpr1
                                        ; implicit-def: $vgpr4
                                        ; implicit-def: $vgpr8
                                        ; implicit-def: $vgpr0
                                        ; implicit-def: $vgpr7
                                        ; implicit-def: $vgpr2
                                        ; implicit-def: $vgpr6
                                        ; implicit-def: $vgpr3
                                        ; implicit-def: $vgpr5
.LBB105_31:
	s_and_not1_saveexec_b32 s0, s0
	s_cbranch_execz .LBB105_33
; %bb.32:
	v_dual_mul_f32 v23, v8, v10 :: v_dual_lshlrev_b32 v14, 2, v1
	v_mul_f32_e64 v1, v8, -v11
	v_mul_f32_e64 v9, v7, -v11
	;; [unrolled: 1-line block ×3, first 2 shown]
	s_delay_alu instid0(VALU_DEP_4) | instskip(SKIP_3) | instid1(VALU_DEP_4)
	v_ashrrev_i32_e32 v15, 31, v14
	v_mul_f32_e32 v25, v7, v10
	v_mul_f32_e64 v7, v6, -v11
	v_dual_mul_f32 v6, v6, v10 :: v_dual_fmac_f32 v23, v11, v4
	v_lshlrev_b64 v[14:15], 3, v[14:15]
	v_dual_mul_f32 v8, v5, v10 :: v_dual_fmac_f32 v1, v10, v4
	s_delay_alu instid0(VALU_DEP_3) | instskip(SKIP_1) | instid1(VALU_DEP_4)
	v_dual_fmac_f32 v9, v10, v0 :: v_dual_fmac_f32 v6, v11, v2
	v_fmac_f32_e32 v28, v10, v3
	v_add_co_u32 v26, vcc_lo, s2, v14
	v_add_co_ci_u32_e32 v27, vcc_lo, s3, v15, vcc_lo
	v_dual_fmac_f32 v7, v10, v2 :: v_dual_fmac_f32 v8, v11, v3
	s_clause 0x1
	global_load_b128 v[14:17], v[26:27], off
	global_load_b128 v[18:21], v[26:27], off offset:16
	v_fmac_f32_e32 v25, v11, v0
	s_waitcnt vmcnt(0)
	v_dual_fmac_f32 v1, v12, v14 :: v_dual_fmac_f32 v8, v13, v20
	v_dual_fmac_f32 v23, v13, v14 :: v_dual_fmac_f32 v28, v12, v20
	;; [unrolled: 1-line block ×3, first 2 shown]
	v_fmac_f32_e32 v25, v13, v16
	v_fmac_f32_e32 v7, v12, v18
	v_fma_f32 v22, -v13, v15, v1
	v_fmac_f32_e32 v23, v12, v15
	v_fmac_f32_e32 v6, v12, v19
	v_fma_f32 v24, -v13, v17, v9
	v_fmac_f32_e32 v25, v12, v17
	v_fma_f32 v5, -v13, v19, v7
	v_fma_f32 v7, -v13, v21, v28
	v_fmac_f32_e32 v8, v12, v21
	s_clause 0x1
	global_store_b128 v[26:27], v[22:25], off
	global_store_b128 v[26:27], v[5:8], off offset:16
.LBB105_33:
	s_nop 0
	s_sendmsg sendmsg(MSG_DEALLOC_VGPRS)
	s_endpgm
	.section	.rodata,"a",@progbits
	.p2align	6, 0x0
	.amdhsa_kernel _ZN9rocsparseL19gebsrmvn_4xn_kernelILj128ELj8ELj8E21rocsparse_complex_numIfEEEvi20rocsparse_direction_NS_24const_host_device_scalarIT2_EEPKiS8_PKS5_SA_S6_PS5_21rocsparse_index_base_b
		.amdhsa_group_segment_fixed_size 0
		.amdhsa_private_segment_fixed_size 0
		.amdhsa_kernarg_size 72
		.amdhsa_user_sgpr_count 15
		.amdhsa_user_sgpr_dispatch_ptr 0
		.amdhsa_user_sgpr_queue_ptr 0
		.amdhsa_user_sgpr_kernarg_segment_ptr 1
		.amdhsa_user_sgpr_dispatch_id 0
		.amdhsa_user_sgpr_private_segment_size 0
		.amdhsa_wavefront_size32 1
		.amdhsa_uses_dynamic_stack 0
		.amdhsa_enable_private_segment 0
		.amdhsa_system_sgpr_workgroup_id_x 1
		.amdhsa_system_sgpr_workgroup_id_y 0
		.amdhsa_system_sgpr_workgroup_id_z 0
		.amdhsa_system_sgpr_workgroup_info 0
		.amdhsa_system_vgpr_workitem_id 0
		.amdhsa_next_free_vgpr 46
		.amdhsa_next_free_sgpr 17
		.amdhsa_reserve_vcc 1
		.amdhsa_float_round_mode_32 0
		.amdhsa_float_round_mode_16_64 0
		.amdhsa_float_denorm_mode_32 3
		.amdhsa_float_denorm_mode_16_64 3
		.amdhsa_dx10_clamp 1
		.amdhsa_ieee_mode 1
		.amdhsa_fp16_overflow 0
		.amdhsa_workgroup_processor_mode 1
		.amdhsa_memory_ordered 1
		.amdhsa_forward_progress 0
		.amdhsa_shared_vgpr_count 0
		.amdhsa_exception_fp_ieee_invalid_op 0
		.amdhsa_exception_fp_denorm_src 0
		.amdhsa_exception_fp_ieee_div_zero 0
		.amdhsa_exception_fp_ieee_overflow 0
		.amdhsa_exception_fp_ieee_underflow 0
		.amdhsa_exception_fp_ieee_inexact 0
		.amdhsa_exception_int_div_zero 0
	.end_amdhsa_kernel
	.section	.text._ZN9rocsparseL19gebsrmvn_4xn_kernelILj128ELj8ELj8E21rocsparse_complex_numIfEEEvi20rocsparse_direction_NS_24const_host_device_scalarIT2_EEPKiS8_PKS5_SA_S6_PS5_21rocsparse_index_base_b,"axG",@progbits,_ZN9rocsparseL19gebsrmvn_4xn_kernelILj128ELj8ELj8E21rocsparse_complex_numIfEEEvi20rocsparse_direction_NS_24const_host_device_scalarIT2_EEPKiS8_PKS5_SA_S6_PS5_21rocsparse_index_base_b,comdat
.Lfunc_end105:
	.size	_ZN9rocsparseL19gebsrmvn_4xn_kernelILj128ELj8ELj8E21rocsparse_complex_numIfEEEvi20rocsparse_direction_NS_24const_host_device_scalarIT2_EEPKiS8_PKS5_SA_S6_PS5_21rocsparse_index_base_b, .Lfunc_end105-_ZN9rocsparseL19gebsrmvn_4xn_kernelILj128ELj8ELj8E21rocsparse_complex_numIfEEEvi20rocsparse_direction_NS_24const_host_device_scalarIT2_EEPKiS8_PKS5_SA_S6_PS5_21rocsparse_index_base_b
                                        ; -- End function
	.section	.AMDGPU.csdata,"",@progbits
; Kernel info:
; codeLenInByte = 2376
; NumSgprs: 19
; NumVgprs: 46
; ScratchSize: 0
; MemoryBound: 0
; FloatMode: 240
; IeeeMode: 1
; LDSByteSize: 0 bytes/workgroup (compile time only)
; SGPRBlocks: 2
; VGPRBlocks: 5
; NumSGPRsForWavesPerEU: 19
; NumVGPRsForWavesPerEU: 46
; Occupancy: 16
; WaveLimiterHint : 1
; COMPUTE_PGM_RSRC2:SCRATCH_EN: 0
; COMPUTE_PGM_RSRC2:USER_SGPR: 15
; COMPUTE_PGM_RSRC2:TRAP_HANDLER: 0
; COMPUTE_PGM_RSRC2:TGID_X_EN: 1
; COMPUTE_PGM_RSRC2:TGID_Y_EN: 0
; COMPUTE_PGM_RSRC2:TGID_Z_EN: 0
; COMPUTE_PGM_RSRC2:TIDIG_COMP_CNT: 0
	.section	.text._ZN9rocsparseL19gebsrmvn_4xn_kernelILj128ELj8ELj16E21rocsparse_complex_numIfEEEvi20rocsparse_direction_NS_24const_host_device_scalarIT2_EEPKiS8_PKS5_SA_S6_PS5_21rocsparse_index_base_b,"axG",@progbits,_ZN9rocsparseL19gebsrmvn_4xn_kernelILj128ELj8ELj16E21rocsparse_complex_numIfEEEvi20rocsparse_direction_NS_24const_host_device_scalarIT2_EEPKiS8_PKS5_SA_S6_PS5_21rocsparse_index_base_b,comdat
	.globl	_ZN9rocsparseL19gebsrmvn_4xn_kernelILj128ELj8ELj16E21rocsparse_complex_numIfEEEvi20rocsparse_direction_NS_24const_host_device_scalarIT2_EEPKiS8_PKS5_SA_S6_PS5_21rocsparse_index_base_b ; -- Begin function _ZN9rocsparseL19gebsrmvn_4xn_kernelILj128ELj8ELj16E21rocsparse_complex_numIfEEEvi20rocsparse_direction_NS_24const_host_device_scalarIT2_EEPKiS8_PKS5_SA_S6_PS5_21rocsparse_index_base_b
	.p2align	8
	.type	_ZN9rocsparseL19gebsrmvn_4xn_kernelILj128ELj8ELj16E21rocsparse_complex_numIfEEEvi20rocsparse_direction_NS_24const_host_device_scalarIT2_EEPKiS8_PKS5_SA_S6_PS5_21rocsparse_index_base_b,@function
_ZN9rocsparseL19gebsrmvn_4xn_kernelILj128ELj8ELj16E21rocsparse_complex_numIfEEEvi20rocsparse_direction_NS_24const_host_device_scalarIT2_EEPKiS8_PKS5_SA_S6_PS5_21rocsparse_index_base_b: ; @_ZN9rocsparseL19gebsrmvn_4xn_kernelILj128ELj8ELj16E21rocsparse_complex_numIfEEEvi20rocsparse_direction_NS_24const_host_device_scalarIT2_EEPKiS8_PKS5_SA_S6_PS5_21rocsparse_index_base_b
; %bb.0:
	s_clause 0x2
	s_load_b64 s[12:13], s[0:1], 0x40
	s_load_b64 s[4:5], s[0:1], 0x8
	s_load_b64 s[2:3], s[0:1], 0x30
	s_waitcnt lgkmcnt(0)
	s_bitcmp1_b32 s13, 0
	v_mov_b32_e32 v10, s4
	s_cselect_b32 s6, -1, 0
	s_delay_alu instid0(SALU_CYCLE_1)
	s_and_b32 vcc_lo, exec_lo, s6
	s_xor_b32 s6, s6, -1
	s_cbranch_vccz .LBB106_17
; %bb.1:
	v_cndmask_b32_e64 v1, 0, 1, s6
	v_mov_b32_e32 v11, s5
	s_and_not1_b32 vcc_lo, exec_lo, s6
	s_cbranch_vccz .LBB106_18
.LBB106_2:
	s_delay_alu instid0(VALU_DEP_2)
	v_cmp_ne_u32_e32 vcc_lo, 1, v1
	v_mov_b32_e32 v12, s2
	s_cbranch_vccz .LBB106_19
.LBB106_3:
	v_cmp_ne_u32_e32 vcc_lo, 1, v1
	v_mov_b32_e32 v13, s3
	s_cbranch_vccnz .LBB106_5
.LBB106_4:
	v_dual_mov_b32 v1, s2 :: v_dual_mov_b32 v2, s3
	flat_load_b32 v13, v[1:2] offset:4
.LBB106_5:
	s_waitcnt vmcnt(0) lgkmcnt(0)
	v_cmp_eq_f32_e32 vcc_lo, 0, v10
	v_cmp_eq_f32_e64 s2, 0, v11
	s_delay_alu instid0(VALU_DEP_1)
	s_and_b32 s4, vcc_lo, s2
	s_mov_b32 s2, -1
	s_and_saveexec_b32 s3, s4
; %bb.6:
	v_cmp_neq_f32_e32 vcc_lo, 1.0, v12
	v_cmp_neq_f32_e64 s2, 0, v13
	s_delay_alu instid0(VALU_DEP_1) | instskip(NEXT) | instid1(SALU_CYCLE_1)
	s_or_b32 s2, vcc_lo, s2
	s_or_not1_b32 s2, s2, exec_lo
; %bb.7:
	s_or_b32 exec_lo, exec_lo, s3
	s_and_saveexec_b32 s3, s2
	s_cbranch_execz .LBB106_33
; %bb.8:
	s_load_b64 s[2:3], s[0:1], 0x0
	v_lshrrev_b32_e32 v1, 4, v0
	s_delay_alu instid0(VALU_DEP_1) | instskip(SKIP_1) | instid1(VALU_DEP_1)
	v_lshl_or_b32 v1, s15, 3, v1
	s_waitcnt lgkmcnt(0)
	v_cmp_gt_i32_e32 vcc_lo, s2, v1
	s_and_b32 exec_lo, exec_lo, vcc_lo
	s_cbranch_execz .LBB106_33
; %bb.9:
	s_load_b256 s[4:11], s[0:1], 0x10
	v_ashrrev_i32_e32 v2, 31, v1
	v_and_b32_e32 v0, 15, v0
	s_cmp_lg_u32 s3, 0
	s_delay_alu instid0(VALU_DEP_2) | instskip(SKIP_1) | instid1(VALU_DEP_1)
	v_lshlrev_b64 v[2:3], 2, v[1:2]
	s_waitcnt lgkmcnt(0)
	v_add_co_u32 v2, vcc_lo, s4, v2
	s_delay_alu instid0(VALU_DEP_2) | instskip(SKIP_4) | instid1(VALU_DEP_2)
	v_add_co_ci_u32_e32 v3, vcc_lo, s5, v3, vcc_lo
	global_load_b64 v[2:3], v[2:3], off
	s_waitcnt vmcnt(0)
	v_subrev_nc_u32_e32 v2, s12, v2
	v_subrev_nc_u32_e32 v22, s12, v3
	v_add_nc_u32_e32 v2, v2, v0
	s_delay_alu instid0(VALU_DEP_1)
	v_cmp_lt_i32_e64 s2, v2, v22
	s_cbranch_scc0 .LBB106_20
; %bb.10:
	v_dual_mov_b32 v14, 0 :: v_dual_mov_b32 v19, 0
	v_dual_mov_b32 v18, 0 :: v_dual_mov_b32 v15, 0
	;; [unrolled: 1-line block ×4, first 2 shown]
	s_mov_b32 s3, 0
	s_and_saveexec_b32 s13, s2
	s_cbranch_execz .LBB106_16
; %bb.11:
	v_dual_mov_b32 v4, 0 :: v_dual_lshlrev_b32 v3, 5, v2
	v_dual_mov_b32 v6, 0 :: v_dual_mov_b32 v7, v2
	s_add_u32 s14, s10, 8
	s_delay_alu instid0(VALU_DEP_2) | instskip(NEXT) | instid1(VALU_DEP_3)
	v_or_b32_e32 v23, 4, v3
	v_mov_b32_e32 v14, v4
	v_mov_b32_e32 v19, v4
	;; [unrolled: 1-line block ×8, first 2 shown]
	s_addc_u32 s16, s11, 0
	s_mov_b32 s15, 0
.LBB106_12:                             ; =>This Loop Header: Depth=1
                                        ;     Child Loop BB106_13 Depth 2
	v_ashrrev_i32_e32 v8, 31, v7
	v_lshlrev_b64 v[24:25], 3, v[3:4]
	s_mov_b64 s[4:5], 0
	s_delay_alu instid0(VALU_DEP_2) | instskip(NEXT) | instid1(VALU_DEP_1)
	v_lshlrev_b64 v[8:9], 2, v[7:8]
	v_add_co_u32 v8, vcc_lo, s6, v8
	s_delay_alu instid0(VALU_DEP_2) | instskip(NEXT) | instid1(VALU_DEP_4)
	v_add_co_ci_u32_e32 v9, vcc_lo, s7, v9, vcc_lo
	v_add_co_u32 v24, vcc_lo, s8, v24
	v_add_co_ci_u32_e32 v25, vcc_lo, s9, v25, vcc_lo
	global_load_b32 v5, v[8:9], off
	s_waitcnt vmcnt(0)
	v_subrev_nc_u32_e32 v5, s12, v5
	s_delay_alu instid0(VALU_DEP_1) | instskip(SKIP_1) | instid1(VALU_DEP_2)
	v_dual_mov_b32 v9, v4 :: v_dual_lshlrev_b32 v8, 3, v5
	v_mov_b32_e32 v5, v23
	v_lshlrev_b64 v[8:9], 3, v[8:9]
	s_delay_alu instid0(VALU_DEP_1) | instskip(NEXT) | instid1(VALU_DEP_2)
	v_add_co_u32 v8, vcc_lo, s14, v8
	v_add_co_ci_u32_e32 v9, vcc_lo, s16, v9, vcc_lo
.LBB106_13:                             ;   Parent Loop BB106_12 Depth=1
                                        ; =>  This Inner Loop Header: Depth=2
	v_add_co_u32 v34, vcc_lo, v24, s4
	v_add_co_ci_u32_e32 v35, vcc_lo, s5, v25, vcc_lo
	v_lshlrev_b64 v[38:39], 3, v[5:6]
	global_load_b128 v[26:29], v[8:9], off offset:-8
	s_add_u32 s4, s4, 64
	s_clause 0x1
	global_load_b128 v[30:33], v[34:35], off
	global_load_b128 v[34:37], v[34:35], off offset:16
	v_add_nc_u32_e32 v5, 8, v5
	s_addc_u32 s5, s5, 0
	v_add_co_u32 v42, vcc_lo, s8, v38
	v_add_co_ci_u32_e32 v43, vcc_lo, s9, v39, vcc_lo
	s_clause 0x1
	global_load_b128 v[38:41], v[42:43], off
	global_load_b128 v[42:45], v[42:43], off offset:16
	v_add_co_u32 v8, vcc_lo, v8, 16
	v_add_co_ci_u32_e32 v9, vcc_lo, 0, v9, vcc_lo
	s_cmpk_eq_i32 s4, 0x100
	s_waitcnt vmcnt(3)
	v_fmac_f32_e32 v14, v31, v26
	v_fmac_f32_e32 v21, v32, v26
	s_waitcnt vmcnt(2)
	v_fmac_f32_e32 v15, v37, v26
	v_fmac_f32_e32 v16, v35, v26
	;; [unrolled: 1-line block ×4, first 2 shown]
	s_delay_alu instid0(VALU_DEP_4) | instskip(NEXT) | instid1(VALU_DEP_4)
	v_fmac_f32_e32 v15, v36, v27
	v_dual_fmac_f32 v17, v33, v26 :: v_dual_fmac_f32 v16, v34, v27
	v_fmac_f32_e32 v20, v34, v26
	s_waitcnt vmcnt(1)
	v_fmac_f32_e32 v14, v39, v28
	v_fma_f32 v19, -v31, v27, v19
	v_fmac_f32_e32 v17, v32, v27
	v_fmac_f32_e32 v18, v36, v26
	v_fma_f32 v21, -v33, v27, v21
	v_fma_f32 v20, -v35, v27, v20
	v_fmac_f32_e32 v19, v38, v28
	s_waitcnt vmcnt(0)
	v_fmac_f32_e32 v16, v43, v28
	v_fma_f32 v18, -v37, v27, v18
	v_dual_fmac_f32 v21, v40, v28 :: v_dual_fmac_f32 v14, v38, v29
	s_delay_alu instid0(VALU_DEP_3) | instskip(SKIP_1) | instid1(VALU_DEP_4)
	v_dual_fmac_f32 v17, v41, v28 :: v_dual_fmac_f32 v16, v42, v29
	v_fmac_f32_e32 v20, v42, v28
	v_fmac_f32_e32 v18, v44, v28
	;; [unrolled: 1-line block ×3, first 2 shown]
	v_fma_f32 v19, -v39, v29, v19
	v_fma_f32 v21, -v41, v29, v21
	v_fmac_f32_e32 v17, v40, v29
	v_fma_f32 v20, -v43, v29, v20
	v_fma_f32 v18, -v45, v29, v18
	v_fmac_f32_e32 v15, v44, v29
	s_cbranch_scc0 .LBB106_13
; %bb.14:                               ;   in Loop: Header=BB106_12 Depth=1
	v_add_nc_u32_e32 v7, 16, v7
	v_add_nc_u32_e32 v23, 0x200, v23
	;; [unrolled: 1-line block ×3, first 2 shown]
	s_delay_alu instid0(VALU_DEP_3) | instskip(SKIP_1) | instid1(SALU_CYCLE_1)
	v_cmp_ge_i32_e32 vcc_lo, v7, v22
	s_or_b32 s15, vcc_lo, s15
	s_and_not1_b32 exec_lo, exec_lo, s15
	s_cbranch_execnz .LBB106_12
; %bb.15:
	s_or_b32 exec_lo, exec_lo, s15
.LBB106_16:
	s_delay_alu instid0(SALU_CYCLE_1) | instskip(NEXT) | instid1(SALU_CYCLE_1)
	s_or_b32 exec_lo, exec_lo, s13
	s_and_not1_b32 vcc_lo, exec_lo, s3
	s_cbranch_vccz .LBB106_21
	s_branch .LBB106_28
.LBB106_17:
	v_dual_mov_b32 v1, s4 :: v_dual_mov_b32 v2, s5
	flat_load_b32 v10, v[1:2]
	v_cndmask_b32_e64 v1, 0, 1, s6
	v_mov_b32_e32 v11, s5
	s_and_not1_b32 vcc_lo, exec_lo, s6
	s_cbranch_vccnz .LBB106_2
.LBB106_18:
	v_dual_mov_b32 v2, s4 :: v_dual_mov_b32 v3, s5
	flat_load_b32 v11, v[2:3] offset:4
	v_cmp_ne_u32_e32 vcc_lo, 1, v1
	v_mov_b32_e32 v12, s2
	s_cbranch_vccnz .LBB106_3
.LBB106_19:
	v_dual_mov_b32 v2, s2 :: v_dual_mov_b32 v3, s3
	flat_load_b32 v12, v[2:3]
	v_cmp_ne_u32_e32 vcc_lo, 1, v1
	v_mov_b32_e32 v13, s3
	s_cbranch_vccz .LBB106_4
	s_branch .LBB106_5
.LBB106_20:
                                        ; implicit-def: $vgpr14
                                        ; implicit-def: $vgpr19
                                        ; implicit-def: $vgpr18
                                        ; implicit-def: $vgpr15
                                        ; implicit-def: $vgpr20
                                        ; implicit-def: $vgpr16
                                        ; implicit-def: $vgpr21
                                        ; implicit-def: $vgpr17
.LBB106_21:
	v_dual_mov_b32 v14, 0 :: v_dual_mov_b32 v19, 0
	v_dual_mov_b32 v18, 0 :: v_dual_mov_b32 v15, 0
	;; [unrolled: 1-line block ×4, first 2 shown]
	s_and_saveexec_b32 s4, s2
	s_cbranch_execz .LBB106_27
; %bb.22:
	v_dual_mov_b32 v5, 0 :: v_dual_lshlrev_b32 v4, 5, v2
	s_mov_b32 s5, 0
	s_delay_alu instid0(VALU_DEP_1)
	v_mov_b32_e32 v14, v5
	v_mov_b32_e32 v19, v5
	;; [unrolled: 1-line block ×8, first 2 shown]
.LBB106_23:                             ; =>This Loop Header: Depth=1
                                        ;     Child Loop BB106_24 Depth 2
	v_ashrrev_i32_e32 v3, 31, v2
	v_lshlrev_b64 v[8:9], 3, v[4:5]
	s_mov_b64 s[2:3], 0
	s_delay_alu instid0(VALU_DEP_2) | instskip(NEXT) | instid1(VALU_DEP_1)
	v_lshlrev_b64 v[6:7], 2, v[2:3]
	v_add_co_u32 v6, vcc_lo, s6, v6
	s_delay_alu instid0(VALU_DEP_2) | instskip(SKIP_3) | instid1(VALU_DEP_1)
	v_add_co_ci_u32_e32 v7, vcc_lo, s7, v7, vcc_lo
	global_load_b32 v3, v[6:7], off
	s_waitcnt vmcnt(0)
	v_subrev_nc_u32_e32 v3, s12, v3
	v_dual_mov_b32 v7, v5 :: v_dual_lshlrev_b32 v6, 3, v3
	v_add_co_u32 v3, vcc_lo, s8, v8
	s_delay_alu instid0(VALU_DEP_2) | instskip(SKIP_1) | instid1(VALU_DEP_2)
	v_lshlrev_b64 v[23:24], 3, v[6:7]
	v_add_co_ci_u32_e32 v6, vcc_lo, s9, v9, vcc_lo
	v_add_co_u32 v7, vcc_lo, s10, v23
	s_delay_alu instid0(VALU_DEP_3)
	v_add_co_ci_u32_e32 v8, vcc_lo, s11, v24, vcc_lo
.LBB106_24:                             ;   Parent Loop BB106_23 Depth=1
                                        ; =>  This Inner Loop Header: Depth=2
	s_delay_alu instid0(VALU_DEP_2) | instskip(NEXT) | instid1(VALU_DEP_2)
	v_add_co_u32 v23, vcc_lo, v7, s2
	v_add_co_ci_u32_e32 v24, vcc_lo, s3, v8, vcc_lo
	v_add_co_u32 v39, vcc_lo, v3, s2
	v_add_co_ci_u32_e32 v40, vcc_lo, s3, v6, vcc_lo
	s_add_u32 s2, s2, 16
	global_load_b128 v[23:26], v[23:24], off
	s_clause 0x3
	global_load_b128 v[27:30], v[39:40], off
	global_load_b128 v[31:34], v[39:40], off offset:64
	global_load_b128 v[35:38], v[39:40], off offset:128
	;; [unrolled: 1-line block ×3, first 2 shown]
	s_addc_u32 s3, s3, 0
	s_cmp_eq_u32 s2, 64
	s_waitcnt vmcnt(2)
	v_fmac_f32_e32 v17, v32, v23
	v_fmac_f32_e32 v14, v28, v23
	s_waitcnt vmcnt(0)
	v_fmac_f32_e32 v15, v40, v23
	s_delay_alu instid0(VALU_DEP_3) | instskip(NEXT) | instid1(VALU_DEP_3)
	v_dual_fmac_f32 v16, v36, v23 :: v_dual_fmac_f32 v17, v31, v24
	v_fmac_f32_e32 v14, v27, v24
	s_delay_alu instid0(VALU_DEP_3) | instskip(SKIP_1) | instid1(VALU_DEP_4)
	v_fmac_f32_e32 v15, v39, v24
	v_fmac_f32_e32 v19, v27, v23
	;; [unrolled: 1-line block ×3, first 2 shown]
	s_delay_alu instid0(VALU_DEP_4) | instskip(SKIP_1) | instid1(VALU_DEP_4)
	v_fmac_f32_e32 v14, v30, v25
	v_fmac_f32_e32 v17, v34, v25
	v_fma_f32 v9, -v28, v24, v19
	v_fmac_f32_e32 v20, v35, v23
	s_delay_alu instid0(VALU_DEP_4) | instskip(NEXT) | instid1(VALU_DEP_4)
	v_fmac_f32_e32 v14, v29, v26
	v_dual_fmac_f32 v16, v38, v25 :: v_dual_fmac_f32 v17, v33, v26
	s_delay_alu instid0(VALU_DEP_4) | instskip(NEXT) | instid1(VALU_DEP_4)
	v_fmac_f32_e32 v9, v29, v25
	v_fma_f32 v20, -v36, v24, v20
	v_fmac_f32_e32 v21, v31, v23
	s_delay_alu instid0(VALU_DEP_4) | instskip(NEXT) | instid1(VALU_DEP_4)
	v_dual_fmac_f32 v15, v42, v25 :: v_dual_fmac_f32 v16, v37, v26
	v_fma_f32 v19, -v30, v26, v9
	s_delay_alu instid0(VALU_DEP_4) | instskip(NEXT) | instid1(VALU_DEP_4)
	v_fmac_f32_e32 v20, v37, v25
	v_fma_f32 v21, -v32, v24, v21
	s_delay_alu instid0(VALU_DEP_4) | instskip(NEXT) | instid1(VALU_DEP_3)
	v_dual_fmac_f32 v18, v39, v23 :: v_dual_fmac_f32 v15, v41, v26
	v_fma_f32 v20, -v38, v26, v20
	s_delay_alu instid0(VALU_DEP_3) | instskip(NEXT) | instid1(VALU_DEP_3)
	v_fmac_f32_e32 v21, v33, v25
	v_fma_f32 v18, -v40, v24, v18
	s_delay_alu instid0(VALU_DEP_2) | instskip(NEXT) | instid1(VALU_DEP_2)
	v_fma_f32 v21, -v34, v26, v21
	v_fmac_f32_e32 v18, v41, v25
	s_delay_alu instid0(VALU_DEP_1)
	v_fma_f32 v18, -v42, v26, v18
	s_cbranch_scc0 .LBB106_24
; %bb.25:                               ;   in Loop: Header=BB106_23 Depth=1
	v_add_nc_u32_e32 v2, 16, v2
	v_add_nc_u32_e32 v4, 0x200, v4
	s_delay_alu instid0(VALU_DEP_2) | instskip(SKIP_1) | instid1(SALU_CYCLE_1)
	v_cmp_ge_i32_e32 vcc_lo, v2, v22
	s_or_b32 s5, vcc_lo, s5
	s_and_not1_b32 exec_lo, exec_lo, s5
	s_cbranch_execnz .LBB106_23
; %bb.26:
	s_or_b32 exec_lo, exec_lo, s5
.LBB106_27:
	s_delay_alu instid0(SALU_CYCLE_1)
	s_or_b32 exec_lo, exec_lo, s4
.LBB106_28:
	v_mbcnt_lo_u32_b32 v2, -1, 0
	s_delay_alu instid0(VALU_DEP_1) | instskip(SKIP_1) | instid1(VALU_DEP_2)
	v_xor_b32_e32 v3, 8, v2
	v_xor_b32_e32 v23, 4, v2
	v_cmp_gt_i32_e32 vcc_lo, 32, v3
	v_cndmask_b32_e32 v3, v2, v3, vcc_lo
	s_delay_alu instid0(VALU_DEP_3) | instskip(NEXT) | instid1(VALU_DEP_2)
	v_cmp_gt_i32_e32 vcc_lo, 32, v23
	v_lshlrev_b32_e32 v3, 2, v3
	ds_bpermute_b32 v6, v3, v21
	s_waitcnt lgkmcnt(0)
	v_add_f32_e32 v6, v21, v6
	ds_bpermute_b32 v4, v3, v19
	ds_bpermute_b32 v8, v3, v20
	ds_bpermute_b32 v5, v3, v14
	ds_bpermute_b32 v7, v3, v17
	ds_bpermute_b32 v9, v3, v16
	ds_bpermute_b32 v22, v3, v18
	ds_bpermute_b32 v3, v3, v15
	s_waitcnt lgkmcnt(6)
	v_dual_cndmask_b32 v23, v2, v23 :: v_dual_add_f32 v4, v19, v4
	s_waitcnt lgkmcnt(5)
	s_delay_alu instid0(VALU_DEP_1)
	v_dual_add_f32 v8, v20, v8 :: v_dual_lshlrev_b32 v23, 2, v23
	s_waitcnt lgkmcnt(4)
	v_add_f32_e32 v5, v14, v5
	s_waitcnt lgkmcnt(0)
	v_dual_add_f32 v14, v18, v22 :: v_dual_add_f32 v3, v15, v3
	ds_bpermute_b32 v15, v23, v4
	ds_bpermute_b32 v19, v23, v8
	;; [unrolled: 1-line block ×3, first 2 shown]
	v_add_f32_e32 v7, v17, v7
	ds_bpermute_b32 v17, v23, v6
	ds_bpermute_b32 v22, v23, v3
	;; [unrolled: 1-line block ×3, first 2 shown]
	v_add_f32_e32 v9, v16, v9
	s_waitcnt lgkmcnt(5)
	v_add_f32_e32 v4, v4, v15
	ds_bpermute_b32 v16, v23, v5
	s_waitcnt lgkmcnt(3)
	v_dual_add_f32 v8, v8, v19 :: v_dual_add_f32 v15, v6, v17
	s_waitcnt lgkmcnt(0)
	v_dual_add_f32 v5, v5, v16 :: v_dual_add_f32 v16, v7, v18
	ds_bpermute_b32 v20, v23, v9
	v_xor_b32_e32 v23, 2, v2
	v_add_f32_e32 v18, v14, v21
	s_delay_alu instid0(VALU_DEP_2) | instskip(SKIP_1) | instid1(VALU_DEP_1)
	v_cmp_gt_i32_e32 vcc_lo, 32, v23
	v_cndmask_b32_e32 v23, v2, v23, vcc_lo
	v_lshlrev_b32_e32 v23, 2, v23
	s_waitcnt lgkmcnt(0)
	v_add_f32_e32 v17, v9, v20
	ds_bpermute_b32 v6, v23, v5
	ds_bpermute_b32 v7, v23, v15
	;; [unrolled: 1-line block ×6, first 2 shown]
	s_waitcnt lgkmcnt(5)
	v_add_f32_e32 v6, v5, v6
	v_add_f32_e32 v19, v3, v22
	ds_bpermute_b32 v3, v23, v4
	s_waitcnt lgkmcnt(4)
	v_add_f32_e32 v9, v16, v9
	s_waitcnt lgkmcnt(3)
	v_add_f32_e32 v14, v8, v14
	ds_bpermute_b32 v22, v23, v19
	v_xor_b32_e32 v23, 1, v2
	s_delay_alu instid0(VALU_DEP_1) | instskip(SKIP_3) | instid1(VALU_DEP_2)
	v_cmp_gt_i32_e32 vcc_lo, 32, v23
	v_cndmask_b32_e32 v2, v2, v23, vcc_lo
	v_cmp_eq_u32_e32 vcc_lo, 15, v0
	s_waitcnt lgkmcnt(1)
	v_dual_add_f32 v2, v4, v3 :: v_dual_lshlrev_b32 v23, 2, v2
	v_add_f32_e32 v7, v15, v7
	v_add_f32_e32 v15, v17, v20
	;; [unrolled: 1-line block ×3, first 2 shown]
	s_waitcnt lgkmcnt(0)
	v_add_f32_e32 v5, v19, v22
	ds_bpermute_b32 v4, v23, v2
	ds_bpermute_b32 v8, v23, v6
	;; [unrolled: 1-line block ×8, first 2 shown]
	s_and_b32 exec_lo, exec_lo, vcc_lo
	s_cbranch_execz .LBB106_33
; %bb.29:
	s_load_b64 s[2:3], s[0:1], 0x38
	v_cmp_eq_f32_e32 vcc_lo, 0, v12
	v_cmp_eq_f32_e64 s0, 0, v13
	s_waitcnt lgkmcnt(0)
	v_add_f32_e32 v4, v2, v4
	v_dual_add_f32 v8, v6, v8 :: v_dual_add_f32 v5, v5, v17
	v_dual_add_f32 v0, v7, v18 :: v_dual_add_f32 v7, v9, v19
	v_add_f32_e32 v2, v14, v20
	v_add_f32_e32 v6, v15, v21
	;; [unrolled: 1-line block ×3, first 2 shown]
	s_and_b32 s0, vcc_lo, s0
	s_delay_alu instid0(SALU_CYCLE_1) | instskip(NEXT) | instid1(SALU_CYCLE_1)
	s_and_saveexec_b32 s1, s0
	s_xor_b32 s0, exec_lo, s1
	s_cbranch_execz .LBB106_31
; %bb.30:
	v_dual_mul_f32 v13, v8, v10 :: v_dual_lshlrev_b32 v18, 2, v1
	v_mul_f32_e64 v14, v7, -v11
	v_mul_f32_e64 v12, v8, -v11
	v_mul_f32_e32 v15, v7, v10
	s_delay_alu instid0(VALU_DEP_4)
	v_ashrrev_i32_e32 v19, 31, v18
	v_mul_f32_e64 v16, v6, -v11
	v_mul_f32_e32 v17, v6, v10
	v_fmac_f32_e32 v12, v10, v4
	v_fmac_f32_e32 v14, v10, v0
	v_lshlrev_b64 v[6:7], 3, v[18:19]
	v_mul_f32_e32 v19, v5, v10
	v_mul_f32_e64 v18, v5, -v11
	v_dual_fmac_f32 v13, v11, v4 :: v_dual_fmac_f32 v16, v10, v2
	v_fmac_f32_e32 v15, v11, v0
	v_add_co_u32 v6, vcc_lo, s2, v6
	s_delay_alu instid0(VALU_DEP_4)
	v_fmac_f32_e32 v18, v10, v3
	v_add_co_ci_u32_e32 v7, vcc_lo, s3, v7, vcc_lo
	v_fmac_f32_e32 v17, v11, v2
	v_fmac_f32_e32 v19, v11, v3
	s_clause 0x1
	global_store_b128 v[6:7], v[12:15], off
	global_store_b128 v[6:7], v[16:19], off offset:16
                                        ; implicit-def: $vgpr10
                                        ; implicit-def: $vgpr11
                                        ; implicit-def: $vgpr12
                                        ; implicit-def: $vgpr13
                                        ; implicit-def: $vgpr1
                                        ; implicit-def: $vgpr4
                                        ; implicit-def: $vgpr8
                                        ; implicit-def: $vgpr0
                                        ; implicit-def: $vgpr7
                                        ; implicit-def: $vgpr2
                                        ; implicit-def: $vgpr6
                                        ; implicit-def: $vgpr3
                                        ; implicit-def: $vgpr5
.LBB106_31:
	s_and_not1_saveexec_b32 s0, s0
	s_cbranch_execz .LBB106_33
; %bb.32:
	v_dual_mul_f32 v23, v8, v10 :: v_dual_lshlrev_b32 v14, 2, v1
	v_mul_f32_e64 v1, v8, -v11
	v_mul_f32_e64 v9, v7, -v11
	;; [unrolled: 1-line block ×3, first 2 shown]
	s_delay_alu instid0(VALU_DEP_4) | instskip(SKIP_3) | instid1(VALU_DEP_4)
	v_ashrrev_i32_e32 v15, 31, v14
	v_mul_f32_e32 v25, v7, v10
	v_mul_f32_e64 v7, v6, -v11
	v_dual_mul_f32 v6, v6, v10 :: v_dual_fmac_f32 v23, v11, v4
	v_lshlrev_b64 v[14:15], 3, v[14:15]
	v_dual_mul_f32 v8, v5, v10 :: v_dual_fmac_f32 v1, v10, v4
	s_delay_alu instid0(VALU_DEP_3) | instskip(SKIP_1) | instid1(VALU_DEP_4)
	v_dual_fmac_f32 v9, v10, v0 :: v_dual_fmac_f32 v6, v11, v2
	v_fmac_f32_e32 v28, v10, v3
	v_add_co_u32 v26, vcc_lo, s2, v14
	v_add_co_ci_u32_e32 v27, vcc_lo, s3, v15, vcc_lo
	v_dual_fmac_f32 v7, v10, v2 :: v_dual_fmac_f32 v8, v11, v3
	s_clause 0x1
	global_load_b128 v[14:17], v[26:27], off
	global_load_b128 v[18:21], v[26:27], off offset:16
	v_fmac_f32_e32 v25, v11, v0
	s_waitcnt vmcnt(0)
	v_dual_fmac_f32 v1, v12, v14 :: v_dual_fmac_f32 v8, v13, v20
	v_dual_fmac_f32 v23, v13, v14 :: v_dual_fmac_f32 v28, v12, v20
	;; [unrolled: 1-line block ×3, first 2 shown]
	v_fmac_f32_e32 v25, v13, v16
	v_fmac_f32_e32 v7, v12, v18
	v_fma_f32 v22, -v13, v15, v1
	v_fmac_f32_e32 v23, v12, v15
	v_fmac_f32_e32 v6, v12, v19
	v_fma_f32 v24, -v13, v17, v9
	v_fmac_f32_e32 v25, v12, v17
	v_fma_f32 v5, -v13, v19, v7
	v_fma_f32 v7, -v13, v21, v28
	v_fmac_f32_e32 v8, v12, v21
	s_clause 0x1
	global_store_b128 v[26:27], v[22:25], off
	global_store_b128 v[26:27], v[5:8], off offset:16
.LBB106_33:
	s_nop 0
	s_sendmsg sendmsg(MSG_DEALLOC_VGPRS)
	s_endpgm
	.section	.rodata,"a",@progbits
	.p2align	6, 0x0
	.amdhsa_kernel _ZN9rocsparseL19gebsrmvn_4xn_kernelILj128ELj8ELj16E21rocsparse_complex_numIfEEEvi20rocsparse_direction_NS_24const_host_device_scalarIT2_EEPKiS8_PKS5_SA_S6_PS5_21rocsparse_index_base_b
		.amdhsa_group_segment_fixed_size 0
		.amdhsa_private_segment_fixed_size 0
		.amdhsa_kernarg_size 72
		.amdhsa_user_sgpr_count 15
		.amdhsa_user_sgpr_dispatch_ptr 0
		.amdhsa_user_sgpr_queue_ptr 0
		.amdhsa_user_sgpr_kernarg_segment_ptr 1
		.amdhsa_user_sgpr_dispatch_id 0
		.amdhsa_user_sgpr_private_segment_size 0
		.amdhsa_wavefront_size32 1
		.amdhsa_uses_dynamic_stack 0
		.amdhsa_enable_private_segment 0
		.amdhsa_system_sgpr_workgroup_id_x 1
		.amdhsa_system_sgpr_workgroup_id_y 0
		.amdhsa_system_sgpr_workgroup_id_z 0
		.amdhsa_system_sgpr_workgroup_info 0
		.amdhsa_system_vgpr_workitem_id 0
		.amdhsa_next_free_vgpr 46
		.amdhsa_next_free_sgpr 17
		.amdhsa_reserve_vcc 1
		.amdhsa_float_round_mode_32 0
		.amdhsa_float_round_mode_16_64 0
		.amdhsa_float_denorm_mode_32 3
		.amdhsa_float_denorm_mode_16_64 3
		.amdhsa_dx10_clamp 1
		.amdhsa_ieee_mode 1
		.amdhsa_fp16_overflow 0
		.amdhsa_workgroup_processor_mode 1
		.amdhsa_memory_ordered 1
		.amdhsa_forward_progress 0
		.amdhsa_shared_vgpr_count 0
		.amdhsa_exception_fp_ieee_invalid_op 0
		.amdhsa_exception_fp_denorm_src 0
		.amdhsa_exception_fp_ieee_div_zero 0
		.amdhsa_exception_fp_ieee_overflow 0
		.amdhsa_exception_fp_ieee_underflow 0
		.amdhsa_exception_fp_ieee_inexact 0
		.amdhsa_exception_int_div_zero 0
	.end_amdhsa_kernel
	.section	.text._ZN9rocsparseL19gebsrmvn_4xn_kernelILj128ELj8ELj16E21rocsparse_complex_numIfEEEvi20rocsparse_direction_NS_24const_host_device_scalarIT2_EEPKiS8_PKS5_SA_S6_PS5_21rocsparse_index_base_b,"axG",@progbits,_ZN9rocsparseL19gebsrmvn_4xn_kernelILj128ELj8ELj16E21rocsparse_complex_numIfEEEvi20rocsparse_direction_NS_24const_host_device_scalarIT2_EEPKiS8_PKS5_SA_S6_PS5_21rocsparse_index_base_b,comdat
.Lfunc_end106:
	.size	_ZN9rocsparseL19gebsrmvn_4xn_kernelILj128ELj8ELj16E21rocsparse_complex_numIfEEEvi20rocsparse_direction_NS_24const_host_device_scalarIT2_EEPKiS8_PKS5_SA_S6_PS5_21rocsparse_index_base_b, .Lfunc_end106-_ZN9rocsparseL19gebsrmvn_4xn_kernelILj128ELj8ELj16E21rocsparse_complex_numIfEEEvi20rocsparse_direction_NS_24const_host_device_scalarIT2_EEPKiS8_PKS5_SA_S6_PS5_21rocsparse_index_base_b
                                        ; -- End function
	.section	.AMDGPU.csdata,"",@progbits
; Kernel info:
; codeLenInByte = 2528
; NumSgprs: 19
; NumVgprs: 46
; ScratchSize: 0
; MemoryBound: 0
; FloatMode: 240
; IeeeMode: 1
; LDSByteSize: 0 bytes/workgroup (compile time only)
; SGPRBlocks: 2
; VGPRBlocks: 5
; NumSGPRsForWavesPerEU: 19
; NumVGPRsForWavesPerEU: 46
; Occupancy: 16
; WaveLimiterHint : 1
; COMPUTE_PGM_RSRC2:SCRATCH_EN: 0
; COMPUTE_PGM_RSRC2:USER_SGPR: 15
; COMPUTE_PGM_RSRC2:TRAP_HANDLER: 0
; COMPUTE_PGM_RSRC2:TGID_X_EN: 1
; COMPUTE_PGM_RSRC2:TGID_Y_EN: 0
; COMPUTE_PGM_RSRC2:TGID_Z_EN: 0
; COMPUTE_PGM_RSRC2:TIDIG_COMP_CNT: 0
	.section	.text._ZN9rocsparseL19gebsrmvn_4xn_kernelILj128ELj8ELj32E21rocsparse_complex_numIfEEEvi20rocsparse_direction_NS_24const_host_device_scalarIT2_EEPKiS8_PKS5_SA_S6_PS5_21rocsparse_index_base_b,"axG",@progbits,_ZN9rocsparseL19gebsrmvn_4xn_kernelILj128ELj8ELj32E21rocsparse_complex_numIfEEEvi20rocsparse_direction_NS_24const_host_device_scalarIT2_EEPKiS8_PKS5_SA_S6_PS5_21rocsparse_index_base_b,comdat
	.globl	_ZN9rocsparseL19gebsrmvn_4xn_kernelILj128ELj8ELj32E21rocsparse_complex_numIfEEEvi20rocsparse_direction_NS_24const_host_device_scalarIT2_EEPKiS8_PKS5_SA_S6_PS5_21rocsparse_index_base_b ; -- Begin function _ZN9rocsparseL19gebsrmvn_4xn_kernelILj128ELj8ELj32E21rocsparse_complex_numIfEEEvi20rocsparse_direction_NS_24const_host_device_scalarIT2_EEPKiS8_PKS5_SA_S6_PS5_21rocsparse_index_base_b
	.p2align	8
	.type	_ZN9rocsparseL19gebsrmvn_4xn_kernelILj128ELj8ELj32E21rocsparse_complex_numIfEEEvi20rocsparse_direction_NS_24const_host_device_scalarIT2_EEPKiS8_PKS5_SA_S6_PS5_21rocsparse_index_base_b,@function
_ZN9rocsparseL19gebsrmvn_4xn_kernelILj128ELj8ELj32E21rocsparse_complex_numIfEEEvi20rocsparse_direction_NS_24const_host_device_scalarIT2_EEPKiS8_PKS5_SA_S6_PS5_21rocsparse_index_base_b: ; @_ZN9rocsparseL19gebsrmvn_4xn_kernelILj128ELj8ELj32E21rocsparse_complex_numIfEEEvi20rocsparse_direction_NS_24const_host_device_scalarIT2_EEPKiS8_PKS5_SA_S6_PS5_21rocsparse_index_base_b
; %bb.0:
	s_clause 0x2
	s_load_b64 s[12:13], s[0:1], 0x40
	s_load_b64 s[4:5], s[0:1], 0x8
	;; [unrolled: 1-line block ×3, first 2 shown]
	s_waitcnt lgkmcnt(0)
	s_bitcmp1_b32 s13, 0
	v_mov_b32_e32 v10, s4
	s_cselect_b32 s6, -1, 0
	s_delay_alu instid0(SALU_CYCLE_1)
	s_and_b32 vcc_lo, exec_lo, s6
	s_xor_b32 s6, s6, -1
	s_cbranch_vccz .LBB107_17
; %bb.1:
	v_cndmask_b32_e64 v1, 0, 1, s6
	v_mov_b32_e32 v11, s5
	s_and_not1_b32 vcc_lo, exec_lo, s6
	s_cbranch_vccz .LBB107_18
.LBB107_2:
	s_delay_alu instid0(VALU_DEP_2)
	v_cmp_ne_u32_e32 vcc_lo, 1, v1
	v_mov_b32_e32 v12, s2
	s_cbranch_vccz .LBB107_19
.LBB107_3:
	v_cmp_ne_u32_e32 vcc_lo, 1, v1
	v_mov_b32_e32 v13, s3
	s_cbranch_vccnz .LBB107_5
.LBB107_4:
	v_dual_mov_b32 v1, s2 :: v_dual_mov_b32 v2, s3
	flat_load_b32 v13, v[1:2] offset:4
.LBB107_5:
	s_waitcnt vmcnt(0) lgkmcnt(0)
	v_cmp_eq_f32_e32 vcc_lo, 0, v10
	v_cmp_eq_f32_e64 s2, 0, v11
	s_delay_alu instid0(VALU_DEP_1)
	s_and_b32 s4, vcc_lo, s2
	s_mov_b32 s2, -1
	s_and_saveexec_b32 s3, s4
; %bb.6:
	v_cmp_neq_f32_e32 vcc_lo, 1.0, v12
	v_cmp_neq_f32_e64 s2, 0, v13
	s_delay_alu instid0(VALU_DEP_1) | instskip(NEXT) | instid1(SALU_CYCLE_1)
	s_or_b32 s2, vcc_lo, s2
	s_or_not1_b32 s2, s2, exec_lo
; %bb.7:
	s_or_b32 exec_lo, exec_lo, s3
	s_and_saveexec_b32 s3, s2
	s_cbranch_execz .LBB107_33
; %bb.8:
	s_load_b64 s[2:3], s[0:1], 0x0
	v_lshrrev_b32_e32 v1, 5, v0
	s_delay_alu instid0(VALU_DEP_1) | instskip(SKIP_1) | instid1(VALU_DEP_1)
	v_lshl_or_b32 v1, s15, 2, v1
	s_waitcnt lgkmcnt(0)
	v_cmp_gt_i32_e32 vcc_lo, s2, v1
	s_and_b32 exec_lo, exec_lo, vcc_lo
	s_cbranch_execz .LBB107_33
; %bb.9:
	s_load_b256 s[4:11], s[0:1], 0x10
	v_ashrrev_i32_e32 v2, 31, v1
	v_and_b32_e32 v0, 31, v0
	s_cmp_lg_u32 s3, 0
	s_delay_alu instid0(VALU_DEP_2) | instskip(SKIP_1) | instid1(VALU_DEP_1)
	v_lshlrev_b64 v[2:3], 2, v[1:2]
	s_waitcnt lgkmcnt(0)
	v_add_co_u32 v2, vcc_lo, s4, v2
	s_delay_alu instid0(VALU_DEP_2) | instskip(SKIP_4) | instid1(VALU_DEP_2)
	v_add_co_ci_u32_e32 v3, vcc_lo, s5, v3, vcc_lo
	global_load_b64 v[2:3], v[2:3], off
	s_waitcnt vmcnt(0)
	v_subrev_nc_u32_e32 v2, s12, v2
	v_subrev_nc_u32_e32 v22, s12, v3
	v_add_nc_u32_e32 v2, v2, v0
	s_delay_alu instid0(VALU_DEP_1)
	v_cmp_lt_i32_e64 s2, v2, v22
	s_cbranch_scc0 .LBB107_20
; %bb.10:
	v_dual_mov_b32 v14, 0 :: v_dual_mov_b32 v19, 0
	v_dual_mov_b32 v18, 0 :: v_dual_mov_b32 v15, 0
	;; [unrolled: 1-line block ×4, first 2 shown]
	s_mov_b32 s3, 0
	s_and_saveexec_b32 s13, s2
	s_cbranch_execz .LBB107_16
; %bb.11:
	v_dual_mov_b32 v4, 0 :: v_dual_lshlrev_b32 v3, 5, v2
	v_dual_mov_b32 v6, 0 :: v_dual_mov_b32 v7, v2
	s_add_u32 s14, s10, 8
	s_delay_alu instid0(VALU_DEP_2) | instskip(NEXT) | instid1(VALU_DEP_3)
	v_or_b32_e32 v23, 4, v3
	v_mov_b32_e32 v14, v4
	v_mov_b32_e32 v19, v4
	;; [unrolled: 1-line block ×8, first 2 shown]
	s_addc_u32 s16, s11, 0
	s_mov_b32 s15, 0
.LBB107_12:                             ; =>This Loop Header: Depth=1
                                        ;     Child Loop BB107_13 Depth 2
	v_ashrrev_i32_e32 v8, 31, v7
	v_lshlrev_b64 v[24:25], 3, v[3:4]
	s_mov_b64 s[4:5], 0
	s_delay_alu instid0(VALU_DEP_2) | instskip(NEXT) | instid1(VALU_DEP_1)
	v_lshlrev_b64 v[8:9], 2, v[7:8]
	v_add_co_u32 v8, vcc_lo, s6, v8
	s_delay_alu instid0(VALU_DEP_2) | instskip(NEXT) | instid1(VALU_DEP_4)
	v_add_co_ci_u32_e32 v9, vcc_lo, s7, v9, vcc_lo
	v_add_co_u32 v24, vcc_lo, s8, v24
	v_add_co_ci_u32_e32 v25, vcc_lo, s9, v25, vcc_lo
	global_load_b32 v5, v[8:9], off
	s_waitcnt vmcnt(0)
	v_subrev_nc_u32_e32 v5, s12, v5
	s_delay_alu instid0(VALU_DEP_1) | instskip(SKIP_1) | instid1(VALU_DEP_2)
	v_dual_mov_b32 v9, v4 :: v_dual_lshlrev_b32 v8, 3, v5
	v_mov_b32_e32 v5, v23
	v_lshlrev_b64 v[8:9], 3, v[8:9]
	s_delay_alu instid0(VALU_DEP_1) | instskip(NEXT) | instid1(VALU_DEP_2)
	v_add_co_u32 v8, vcc_lo, s14, v8
	v_add_co_ci_u32_e32 v9, vcc_lo, s16, v9, vcc_lo
.LBB107_13:                             ;   Parent Loop BB107_12 Depth=1
                                        ; =>  This Inner Loop Header: Depth=2
	v_add_co_u32 v34, vcc_lo, v24, s4
	v_add_co_ci_u32_e32 v35, vcc_lo, s5, v25, vcc_lo
	v_lshlrev_b64 v[38:39], 3, v[5:6]
	global_load_b128 v[26:29], v[8:9], off offset:-8
	s_add_u32 s4, s4, 64
	s_clause 0x1
	global_load_b128 v[30:33], v[34:35], off
	global_load_b128 v[34:37], v[34:35], off offset:16
	v_add_nc_u32_e32 v5, 8, v5
	s_addc_u32 s5, s5, 0
	v_add_co_u32 v42, vcc_lo, s8, v38
	v_add_co_ci_u32_e32 v43, vcc_lo, s9, v39, vcc_lo
	s_clause 0x1
	global_load_b128 v[38:41], v[42:43], off
	global_load_b128 v[42:45], v[42:43], off offset:16
	v_add_co_u32 v8, vcc_lo, v8, 16
	v_add_co_ci_u32_e32 v9, vcc_lo, 0, v9, vcc_lo
	s_cmpk_eq_i32 s4, 0x100
	s_waitcnt vmcnt(3)
	v_fmac_f32_e32 v14, v31, v26
	v_fmac_f32_e32 v21, v32, v26
	s_waitcnt vmcnt(2)
	v_fmac_f32_e32 v15, v37, v26
	v_fmac_f32_e32 v16, v35, v26
	;; [unrolled: 1-line block ×4, first 2 shown]
	s_delay_alu instid0(VALU_DEP_4) | instskip(NEXT) | instid1(VALU_DEP_4)
	v_fmac_f32_e32 v15, v36, v27
	v_dual_fmac_f32 v17, v33, v26 :: v_dual_fmac_f32 v16, v34, v27
	v_fmac_f32_e32 v20, v34, v26
	s_waitcnt vmcnt(1)
	v_fmac_f32_e32 v14, v39, v28
	v_fma_f32 v19, -v31, v27, v19
	v_fmac_f32_e32 v17, v32, v27
	v_fmac_f32_e32 v18, v36, v26
	v_fma_f32 v21, -v33, v27, v21
	v_fma_f32 v20, -v35, v27, v20
	v_fmac_f32_e32 v19, v38, v28
	s_waitcnt vmcnt(0)
	v_fmac_f32_e32 v16, v43, v28
	v_fma_f32 v18, -v37, v27, v18
	v_dual_fmac_f32 v21, v40, v28 :: v_dual_fmac_f32 v14, v38, v29
	s_delay_alu instid0(VALU_DEP_3) | instskip(SKIP_1) | instid1(VALU_DEP_4)
	v_dual_fmac_f32 v17, v41, v28 :: v_dual_fmac_f32 v16, v42, v29
	v_fmac_f32_e32 v20, v42, v28
	v_fmac_f32_e32 v18, v44, v28
	;; [unrolled: 1-line block ×3, first 2 shown]
	v_fma_f32 v19, -v39, v29, v19
	v_fma_f32 v21, -v41, v29, v21
	v_fmac_f32_e32 v17, v40, v29
	v_fma_f32 v20, -v43, v29, v20
	v_fma_f32 v18, -v45, v29, v18
	v_fmac_f32_e32 v15, v44, v29
	s_cbranch_scc0 .LBB107_13
; %bb.14:                               ;   in Loop: Header=BB107_12 Depth=1
	v_add_nc_u32_e32 v7, 32, v7
	v_add_nc_u32_e32 v23, 0x400, v23
	;; [unrolled: 1-line block ×3, first 2 shown]
	s_delay_alu instid0(VALU_DEP_3) | instskip(SKIP_1) | instid1(SALU_CYCLE_1)
	v_cmp_ge_i32_e32 vcc_lo, v7, v22
	s_or_b32 s15, vcc_lo, s15
	s_and_not1_b32 exec_lo, exec_lo, s15
	s_cbranch_execnz .LBB107_12
; %bb.15:
	s_or_b32 exec_lo, exec_lo, s15
.LBB107_16:
	s_delay_alu instid0(SALU_CYCLE_1) | instskip(NEXT) | instid1(SALU_CYCLE_1)
	s_or_b32 exec_lo, exec_lo, s13
	s_and_not1_b32 vcc_lo, exec_lo, s3
	s_cbranch_vccz .LBB107_21
	s_branch .LBB107_28
.LBB107_17:
	v_dual_mov_b32 v1, s4 :: v_dual_mov_b32 v2, s5
	flat_load_b32 v10, v[1:2]
	v_cndmask_b32_e64 v1, 0, 1, s6
	v_mov_b32_e32 v11, s5
	s_and_not1_b32 vcc_lo, exec_lo, s6
	s_cbranch_vccnz .LBB107_2
.LBB107_18:
	v_dual_mov_b32 v2, s4 :: v_dual_mov_b32 v3, s5
	flat_load_b32 v11, v[2:3] offset:4
	v_cmp_ne_u32_e32 vcc_lo, 1, v1
	v_mov_b32_e32 v12, s2
	s_cbranch_vccnz .LBB107_3
.LBB107_19:
	v_dual_mov_b32 v2, s2 :: v_dual_mov_b32 v3, s3
	flat_load_b32 v12, v[2:3]
	v_cmp_ne_u32_e32 vcc_lo, 1, v1
	v_mov_b32_e32 v13, s3
	s_cbranch_vccz .LBB107_4
	s_branch .LBB107_5
.LBB107_20:
                                        ; implicit-def: $vgpr14
                                        ; implicit-def: $vgpr19
                                        ; implicit-def: $vgpr18
                                        ; implicit-def: $vgpr15
                                        ; implicit-def: $vgpr20
                                        ; implicit-def: $vgpr16
                                        ; implicit-def: $vgpr21
                                        ; implicit-def: $vgpr17
.LBB107_21:
	v_dual_mov_b32 v14, 0 :: v_dual_mov_b32 v19, 0
	v_dual_mov_b32 v18, 0 :: v_dual_mov_b32 v15, 0
	;; [unrolled: 1-line block ×4, first 2 shown]
	s_and_saveexec_b32 s4, s2
	s_cbranch_execz .LBB107_27
; %bb.22:
	v_dual_mov_b32 v5, 0 :: v_dual_lshlrev_b32 v4, 5, v2
	s_mov_b32 s5, 0
	s_delay_alu instid0(VALU_DEP_1)
	v_mov_b32_e32 v14, v5
	v_mov_b32_e32 v19, v5
	;; [unrolled: 1-line block ×8, first 2 shown]
.LBB107_23:                             ; =>This Loop Header: Depth=1
                                        ;     Child Loop BB107_24 Depth 2
	v_ashrrev_i32_e32 v3, 31, v2
	v_lshlrev_b64 v[8:9], 3, v[4:5]
	s_mov_b64 s[2:3], 0
	s_delay_alu instid0(VALU_DEP_2) | instskip(NEXT) | instid1(VALU_DEP_1)
	v_lshlrev_b64 v[6:7], 2, v[2:3]
	v_add_co_u32 v6, vcc_lo, s6, v6
	s_delay_alu instid0(VALU_DEP_2) | instskip(SKIP_3) | instid1(VALU_DEP_1)
	v_add_co_ci_u32_e32 v7, vcc_lo, s7, v7, vcc_lo
	global_load_b32 v3, v[6:7], off
	s_waitcnt vmcnt(0)
	v_subrev_nc_u32_e32 v3, s12, v3
	v_dual_mov_b32 v7, v5 :: v_dual_lshlrev_b32 v6, 3, v3
	v_add_co_u32 v3, vcc_lo, s8, v8
	s_delay_alu instid0(VALU_DEP_2) | instskip(SKIP_1) | instid1(VALU_DEP_2)
	v_lshlrev_b64 v[23:24], 3, v[6:7]
	v_add_co_ci_u32_e32 v6, vcc_lo, s9, v9, vcc_lo
	v_add_co_u32 v7, vcc_lo, s10, v23
	s_delay_alu instid0(VALU_DEP_3)
	v_add_co_ci_u32_e32 v8, vcc_lo, s11, v24, vcc_lo
.LBB107_24:                             ;   Parent Loop BB107_23 Depth=1
                                        ; =>  This Inner Loop Header: Depth=2
	s_delay_alu instid0(VALU_DEP_2) | instskip(NEXT) | instid1(VALU_DEP_2)
	v_add_co_u32 v23, vcc_lo, v7, s2
	v_add_co_ci_u32_e32 v24, vcc_lo, s3, v8, vcc_lo
	v_add_co_u32 v39, vcc_lo, v3, s2
	v_add_co_ci_u32_e32 v40, vcc_lo, s3, v6, vcc_lo
	s_add_u32 s2, s2, 16
	global_load_b128 v[23:26], v[23:24], off
	s_clause 0x3
	global_load_b128 v[27:30], v[39:40], off
	global_load_b128 v[31:34], v[39:40], off offset:64
	global_load_b128 v[35:38], v[39:40], off offset:128
	global_load_b128 v[39:42], v[39:40], off offset:192
	s_addc_u32 s3, s3, 0
	s_cmp_eq_u32 s2, 64
	s_waitcnt vmcnt(2)
	v_fmac_f32_e32 v17, v32, v23
	v_fmac_f32_e32 v14, v28, v23
	s_waitcnt vmcnt(0)
	v_fmac_f32_e32 v15, v40, v23
	s_delay_alu instid0(VALU_DEP_3) | instskip(NEXT) | instid1(VALU_DEP_3)
	v_dual_fmac_f32 v16, v36, v23 :: v_dual_fmac_f32 v17, v31, v24
	v_fmac_f32_e32 v14, v27, v24
	s_delay_alu instid0(VALU_DEP_3) | instskip(SKIP_1) | instid1(VALU_DEP_4)
	v_fmac_f32_e32 v15, v39, v24
	v_fmac_f32_e32 v19, v27, v23
	;; [unrolled: 1-line block ×3, first 2 shown]
	s_delay_alu instid0(VALU_DEP_4) | instskip(SKIP_1) | instid1(VALU_DEP_4)
	v_fmac_f32_e32 v14, v30, v25
	v_fmac_f32_e32 v17, v34, v25
	v_fma_f32 v9, -v28, v24, v19
	v_fmac_f32_e32 v20, v35, v23
	s_delay_alu instid0(VALU_DEP_4) | instskip(NEXT) | instid1(VALU_DEP_4)
	v_fmac_f32_e32 v14, v29, v26
	v_dual_fmac_f32 v16, v38, v25 :: v_dual_fmac_f32 v17, v33, v26
	s_delay_alu instid0(VALU_DEP_4) | instskip(NEXT) | instid1(VALU_DEP_4)
	v_fmac_f32_e32 v9, v29, v25
	v_fma_f32 v20, -v36, v24, v20
	v_fmac_f32_e32 v21, v31, v23
	s_delay_alu instid0(VALU_DEP_4) | instskip(NEXT) | instid1(VALU_DEP_4)
	v_dual_fmac_f32 v15, v42, v25 :: v_dual_fmac_f32 v16, v37, v26
	v_fma_f32 v19, -v30, v26, v9
	s_delay_alu instid0(VALU_DEP_4) | instskip(NEXT) | instid1(VALU_DEP_4)
	v_fmac_f32_e32 v20, v37, v25
	v_fma_f32 v21, -v32, v24, v21
	s_delay_alu instid0(VALU_DEP_4) | instskip(NEXT) | instid1(VALU_DEP_3)
	v_dual_fmac_f32 v18, v39, v23 :: v_dual_fmac_f32 v15, v41, v26
	v_fma_f32 v20, -v38, v26, v20
	s_delay_alu instid0(VALU_DEP_3) | instskip(NEXT) | instid1(VALU_DEP_3)
	v_fmac_f32_e32 v21, v33, v25
	v_fma_f32 v18, -v40, v24, v18
	s_delay_alu instid0(VALU_DEP_2) | instskip(NEXT) | instid1(VALU_DEP_2)
	v_fma_f32 v21, -v34, v26, v21
	v_fmac_f32_e32 v18, v41, v25
	s_delay_alu instid0(VALU_DEP_1)
	v_fma_f32 v18, -v42, v26, v18
	s_cbranch_scc0 .LBB107_24
; %bb.25:                               ;   in Loop: Header=BB107_23 Depth=1
	v_add_nc_u32_e32 v2, 32, v2
	v_add_nc_u32_e32 v4, 0x400, v4
	s_delay_alu instid0(VALU_DEP_2) | instskip(SKIP_1) | instid1(SALU_CYCLE_1)
	v_cmp_ge_i32_e32 vcc_lo, v2, v22
	s_or_b32 s5, vcc_lo, s5
	s_and_not1_b32 exec_lo, exec_lo, s5
	s_cbranch_execnz .LBB107_23
; %bb.26:
	s_or_b32 exec_lo, exec_lo, s5
.LBB107_27:
	s_delay_alu instid0(SALU_CYCLE_1)
	s_or_b32 exec_lo, exec_lo, s4
.LBB107_28:
	v_mbcnt_lo_u32_b32 v2, -1, 0
	s_delay_alu instid0(VALU_DEP_1) | instskip(SKIP_1) | instid1(VALU_DEP_2)
	v_xor_b32_e32 v3, 16, v2
	v_xor_b32_e32 v23, 8, v2
	v_cmp_gt_i32_e32 vcc_lo, 32, v3
	v_cndmask_b32_e32 v3, v2, v3, vcc_lo
	s_delay_alu instid0(VALU_DEP_3) | instskip(NEXT) | instid1(VALU_DEP_2)
	v_cmp_gt_i32_e32 vcc_lo, 32, v23
	v_lshlrev_b32_e32 v3, 2, v3
	ds_bpermute_b32 v6, v3, v21
	s_waitcnt lgkmcnt(0)
	v_add_f32_e32 v6, v21, v6
	ds_bpermute_b32 v8, v3, v20
	ds_bpermute_b32 v4, v3, v19
	;; [unrolled: 1-line block ×5, first 2 shown]
	v_cndmask_b32_e32 v23, v2, v23, vcc_lo
	ds_bpermute_b32 v9, v3, v16
	ds_bpermute_b32 v3, v3, v15
	s_waitcnt lgkmcnt(6)
	v_dual_add_f32 v8, v20, v8 :: v_dual_lshlrev_b32 v23, 2, v23
	s_waitcnt lgkmcnt(4)
	v_dual_add_f32 v4, v19, v4 :: v_dual_add_f32 v5, v14, v5
	s_waitcnt lgkmcnt(2)
	v_dual_add_f32 v7, v17, v7 :: v_dual_add_f32 v14, v18, v22
	ds_bpermute_b32 v17, v23, v6
	ds_bpermute_b32 v19, v23, v8
	ds_bpermute_b32 v21, v23, v14
	s_waitcnt lgkmcnt(3)
	v_add_f32_e32 v3, v15, v3
	ds_bpermute_b32 v15, v23, v4
	s_waitcnt lgkmcnt(3)
	v_add_f32_e32 v6, v6, v17
	ds_bpermute_b32 v18, v23, v7
	s_waitcnt lgkmcnt(3)
	v_add_f32_e32 v8, v8, v19
	s_waitcnt lgkmcnt(2)
	v_add_f32_e32 v14, v14, v21
	ds_bpermute_b32 v22, v23, v3
	s_waitcnt lgkmcnt(1)
	v_dual_add_f32 v4, v4, v15 :: v_dual_add_f32 v7, v7, v18
	v_add_f32_e32 v9, v16, v9
	ds_bpermute_b32 v16, v23, v5
	s_waitcnt lgkmcnt(1)
	v_add_f32_e32 v3, v3, v22
	ds_bpermute_b32 v20, v23, v9
	v_xor_b32_e32 v23, 4, v2
	s_delay_alu instid0(VALU_DEP_1) | instskip(SKIP_1) | instid1(VALU_DEP_1)
	v_cmp_gt_i32_e32 vcc_lo, 32, v23
	v_cndmask_b32_e32 v23, v2, v23, vcc_lo
	v_lshlrev_b32_e32 v23, 2, v23
	s_waitcnt lgkmcnt(1)
	v_add_f32_e32 v5, v5, v16
	ds_bpermute_b32 v18, v23, v7
	ds_bpermute_b32 v16, v23, v5
	ds_bpermute_b32 v21, v23, v14
	s_waitcnt lgkmcnt(1)
	v_dual_add_f32 v5, v5, v16 :: v_dual_add_f32 v16, v7, v18
	s_waitcnt lgkmcnt(0)
	v_add_f32_e32 v18, v14, v21
	ds_bpermute_b32 v19, v23, v8
	v_add_f32_e32 v9, v9, v20
	ds_bpermute_b32 v15, v23, v4
	ds_bpermute_b32 v17, v23, v6
	ds_bpermute_b32 v22, v23, v3
	s_waitcnt lgkmcnt(3)
	v_add_f32_e32 v8, v8, v19
	ds_bpermute_b32 v20, v23, v9
	v_xor_b32_e32 v23, 2, v2
	s_waitcnt lgkmcnt(2)
	v_dual_add_f32 v4, v4, v15 :: v_dual_add_f32 v15, v6, v17
	s_waitcnt lgkmcnt(1)
	v_add_f32_e32 v19, v3, v22
	v_cmp_gt_i32_e32 vcc_lo, 32, v23
	v_cndmask_b32_e32 v23, v2, v23, vcc_lo
	s_delay_alu instid0(VALU_DEP_1)
	v_lshlrev_b32_e32 v23, 2, v23
	s_waitcnt lgkmcnt(0)
	v_add_f32_e32 v17, v9, v20
	ds_bpermute_b32 v3, v23, v4
	ds_bpermute_b32 v6, v23, v5
	;; [unrolled: 1-line block ×8, first 2 shown]
	v_xor_b32_e32 v23, 1, v2
	s_delay_alu instid0(VALU_DEP_1) | instskip(SKIP_4) | instid1(VALU_DEP_3)
	v_cmp_gt_i32_e32 vcc_lo, 32, v23
	v_cndmask_b32_e32 v2, v2, v23, vcc_lo
	v_cmp_eq_u32_e32 vcc_lo, 31, v0
	s_waitcnt lgkmcnt(5)
	v_add_f32_e32 v7, v15, v7
	v_lshlrev_b32_e32 v23, 2, v2
	s_waitcnt lgkmcnt(3)
	v_add_f32_e32 v14, v8, v14
	v_add_f32_e32 v2, v4, v3
	v_dual_add_f32 v6, v5, v6 :: v_dual_add_f32 v9, v16, v9
	s_waitcnt lgkmcnt(2)
	v_add_f32_e32 v15, v17, v20
	s_waitcnt lgkmcnt(1)
	v_add_f32_e32 v3, v18, v21
	;; [unrolled: 2-line block ×3, first 2 shown]
	ds_bpermute_b32 v4, v23, v2
	ds_bpermute_b32 v8, v23, v6
	;; [unrolled: 1-line block ×8, first 2 shown]
	s_and_b32 exec_lo, exec_lo, vcc_lo
	s_cbranch_execz .LBB107_33
; %bb.29:
	s_load_b64 s[2:3], s[0:1], 0x38
	v_cmp_eq_f32_e32 vcc_lo, 0, v12
	v_cmp_eq_f32_e64 s0, 0, v13
	s_waitcnt lgkmcnt(0)
	v_add_f32_e32 v4, v2, v4
	v_dual_add_f32 v8, v6, v8 :: v_dual_add_f32 v5, v5, v17
	v_dual_add_f32 v0, v7, v18 :: v_dual_add_f32 v7, v9, v19
	v_add_f32_e32 v2, v14, v20
	v_add_f32_e32 v6, v15, v21
	;; [unrolled: 1-line block ×3, first 2 shown]
	s_and_b32 s0, vcc_lo, s0
	s_delay_alu instid0(SALU_CYCLE_1) | instskip(NEXT) | instid1(SALU_CYCLE_1)
	s_and_saveexec_b32 s1, s0
	s_xor_b32 s0, exec_lo, s1
	s_cbranch_execz .LBB107_31
; %bb.30:
	v_dual_mul_f32 v13, v8, v10 :: v_dual_lshlrev_b32 v18, 2, v1
	v_mul_f32_e64 v14, v7, -v11
	v_mul_f32_e64 v12, v8, -v11
	v_mul_f32_e32 v15, v7, v10
	s_delay_alu instid0(VALU_DEP_4)
	v_ashrrev_i32_e32 v19, 31, v18
	v_mul_f32_e64 v16, v6, -v11
	v_mul_f32_e32 v17, v6, v10
	v_fmac_f32_e32 v12, v10, v4
	v_fmac_f32_e32 v14, v10, v0
	v_lshlrev_b64 v[6:7], 3, v[18:19]
	v_mul_f32_e32 v19, v5, v10
	v_mul_f32_e64 v18, v5, -v11
	v_dual_fmac_f32 v13, v11, v4 :: v_dual_fmac_f32 v16, v10, v2
	v_fmac_f32_e32 v15, v11, v0
	v_add_co_u32 v6, vcc_lo, s2, v6
	s_delay_alu instid0(VALU_DEP_4)
	v_fmac_f32_e32 v18, v10, v3
	v_add_co_ci_u32_e32 v7, vcc_lo, s3, v7, vcc_lo
	v_fmac_f32_e32 v17, v11, v2
	v_fmac_f32_e32 v19, v11, v3
	s_clause 0x1
	global_store_b128 v[6:7], v[12:15], off
	global_store_b128 v[6:7], v[16:19], off offset:16
                                        ; implicit-def: $vgpr10
                                        ; implicit-def: $vgpr11
                                        ; implicit-def: $vgpr12
                                        ; implicit-def: $vgpr13
                                        ; implicit-def: $vgpr1
                                        ; implicit-def: $vgpr4
                                        ; implicit-def: $vgpr8
                                        ; implicit-def: $vgpr0
                                        ; implicit-def: $vgpr7
                                        ; implicit-def: $vgpr2
                                        ; implicit-def: $vgpr6
                                        ; implicit-def: $vgpr3
                                        ; implicit-def: $vgpr5
.LBB107_31:
	s_and_not1_saveexec_b32 s0, s0
	s_cbranch_execz .LBB107_33
; %bb.32:
	v_dual_mul_f32 v23, v8, v10 :: v_dual_lshlrev_b32 v14, 2, v1
	v_mul_f32_e64 v1, v8, -v11
	v_mul_f32_e64 v9, v7, -v11
	;; [unrolled: 1-line block ×3, first 2 shown]
	s_delay_alu instid0(VALU_DEP_4) | instskip(SKIP_3) | instid1(VALU_DEP_4)
	v_ashrrev_i32_e32 v15, 31, v14
	v_mul_f32_e32 v25, v7, v10
	v_mul_f32_e64 v7, v6, -v11
	v_dual_mul_f32 v6, v6, v10 :: v_dual_fmac_f32 v23, v11, v4
	v_lshlrev_b64 v[14:15], 3, v[14:15]
	v_dual_mul_f32 v8, v5, v10 :: v_dual_fmac_f32 v1, v10, v4
	s_delay_alu instid0(VALU_DEP_3) | instskip(SKIP_1) | instid1(VALU_DEP_4)
	v_dual_fmac_f32 v9, v10, v0 :: v_dual_fmac_f32 v6, v11, v2
	v_fmac_f32_e32 v28, v10, v3
	v_add_co_u32 v26, vcc_lo, s2, v14
	v_add_co_ci_u32_e32 v27, vcc_lo, s3, v15, vcc_lo
	v_dual_fmac_f32 v7, v10, v2 :: v_dual_fmac_f32 v8, v11, v3
	s_clause 0x1
	global_load_b128 v[14:17], v[26:27], off
	global_load_b128 v[18:21], v[26:27], off offset:16
	v_fmac_f32_e32 v25, v11, v0
	s_waitcnt vmcnt(0)
	v_dual_fmac_f32 v1, v12, v14 :: v_dual_fmac_f32 v8, v13, v20
	v_dual_fmac_f32 v23, v13, v14 :: v_dual_fmac_f32 v28, v12, v20
	;; [unrolled: 1-line block ×3, first 2 shown]
	v_fmac_f32_e32 v25, v13, v16
	v_fmac_f32_e32 v7, v12, v18
	v_fma_f32 v22, -v13, v15, v1
	v_fmac_f32_e32 v23, v12, v15
	v_fmac_f32_e32 v6, v12, v19
	v_fma_f32 v24, -v13, v17, v9
	v_fmac_f32_e32 v25, v12, v17
	v_fma_f32 v5, -v13, v19, v7
	v_fma_f32 v7, -v13, v21, v28
	v_fmac_f32_e32 v8, v12, v21
	s_clause 0x1
	global_store_b128 v[26:27], v[22:25], off
	global_store_b128 v[26:27], v[5:8], off offset:16
.LBB107_33:
	s_nop 0
	s_sendmsg sendmsg(MSG_DEALLOC_VGPRS)
	s_endpgm
	.section	.rodata,"a",@progbits
	.p2align	6, 0x0
	.amdhsa_kernel _ZN9rocsparseL19gebsrmvn_4xn_kernelILj128ELj8ELj32E21rocsparse_complex_numIfEEEvi20rocsparse_direction_NS_24const_host_device_scalarIT2_EEPKiS8_PKS5_SA_S6_PS5_21rocsparse_index_base_b
		.amdhsa_group_segment_fixed_size 0
		.amdhsa_private_segment_fixed_size 0
		.amdhsa_kernarg_size 72
		.amdhsa_user_sgpr_count 15
		.amdhsa_user_sgpr_dispatch_ptr 0
		.amdhsa_user_sgpr_queue_ptr 0
		.amdhsa_user_sgpr_kernarg_segment_ptr 1
		.amdhsa_user_sgpr_dispatch_id 0
		.amdhsa_user_sgpr_private_segment_size 0
		.amdhsa_wavefront_size32 1
		.amdhsa_uses_dynamic_stack 0
		.amdhsa_enable_private_segment 0
		.amdhsa_system_sgpr_workgroup_id_x 1
		.amdhsa_system_sgpr_workgroup_id_y 0
		.amdhsa_system_sgpr_workgroup_id_z 0
		.amdhsa_system_sgpr_workgroup_info 0
		.amdhsa_system_vgpr_workitem_id 0
		.amdhsa_next_free_vgpr 46
		.amdhsa_next_free_sgpr 17
		.amdhsa_reserve_vcc 1
		.amdhsa_float_round_mode_32 0
		.amdhsa_float_round_mode_16_64 0
		.amdhsa_float_denorm_mode_32 3
		.amdhsa_float_denorm_mode_16_64 3
		.amdhsa_dx10_clamp 1
		.amdhsa_ieee_mode 1
		.amdhsa_fp16_overflow 0
		.amdhsa_workgroup_processor_mode 1
		.amdhsa_memory_ordered 1
		.amdhsa_forward_progress 0
		.amdhsa_shared_vgpr_count 0
		.amdhsa_exception_fp_ieee_invalid_op 0
		.amdhsa_exception_fp_denorm_src 0
		.amdhsa_exception_fp_ieee_div_zero 0
		.amdhsa_exception_fp_ieee_overflow 0
		.amdhsa_exception_fp_ieee_underflow 0
		.amdhsa_exception_fp_ieee_inexact 0
		.amdhsa_exception_int_div_zero 0
	.end_amdhsa_kernel
	.section	.text._ZN9rocsparseL19gebsrmvn_4xn_kernelILj128ELj8ELj32E21rocsparse_complex_numIfEEEvi20rocsparse_direction_NS_24const_host_device_scalarIT2_EEPKiS8_PKS5_SA_S6_PS5_21rocsparse_index_base_b,"axG",@progbits,_ZN9rocsparseL19gebsrmvn_4xn_kernelILj128ELj8ELj32E21rocsparse_complex_numIfEEEvi20rocsparse_direction_NS_24const_host_device_scalarIT2_EEPKiS8_PKS5_SA_S6_PS5_21rocsparse_index_base_b,comdat
.Lfunc_end107:
	.size	_ZN9rocsparseL19gebsrmvn_4xn_kernelILj128ELj8ELj32E21rocsparse_complex_numIfEEEvi20rocsparse_direction_NS_24const_host_device_scalarIT2_EEPKiS8_PKS5_SA_S6_PS5_21rocsparse_index_base_b, .Lfunc_end107-_ZN9rocsparseL19gebsrmvn_4xn_kernelILj128ELj8ELj32E21rocsparse_complex_numIfEEEvi20rocsparse_direction_NS_24const_host_device_scalarIT2_EEPKiS8_PKS5_SA_S6_PS5_21rocsparse_index_base_b
                                        ; -- End function
	.section	.AMDGPU.csdata,"",@progbits
; Kernel info:
; codeLenInByte = 2672
; NumSgprs: 19
; NumVgprs: 46
; ScratchSize: 0
; MemoryBound: 0
; FloatMode: 240
; IeeeMode: 1
; LDSByteSize: 0 bytes/workgroup (compile time only)
; SGPRBlocks: 2
; VGPRBlocks: 5
; NumSGPRsForWavesPerEU: 19
; NumVGPRsForWavesPerEU: 46
; Occupancy: 16
; WaveLimiterHint : 1
; COMPUTE_PGM_RSRC2:SCRATCH_EN: 0
; COMPUTE_PGM_RSRC2:USER_SGPR: 15
; COMPUTE_PGM_RSRC2:TRAP_HANDLER: 0
; COMPUTE_PGM_RSRC2:TGID_X_EN: 1
; COMPUTE_PGM_RSRC2:TGID_Y_EN: 0
; COMPUTE_PGM_RSRC2:TGID_Z_EN: 0
; COMPUTE_PGM_RSRC2:TIDIG_COMP_CNT: 0
	.section	.text._ZN9rocsparseL19gebsrmvn_4xn_kernelILj128ELj8ELj64E21rocsparse_complex_numIfEEEvi20rocsparse_direction_NS_24const_host_device_scalarIT2_EEPKiS8_PKS5_SA_S6_PS5_21rocsparse_index_base_b,"axG",@progbits,_ZN9rocsparseL19gebsrmvn_4xn_kernelILj128ELj8ELj64E21rocsparse_complex_numIfEEEvi20rocsparse_direction_NS_24const_host_device_scalarIT2_EEPKiS8_PKS5_SA_S6_PS5_21rocsparse_index_base_b,comdat
	.globl	_ZN9rocsparseL19gebsrmvn_4xn_kernelILj128ELj8ELj64E21rocsparse_complex_numIfEEEvi20rocsparse_direction_NS_24const_host_device_scalarIT2_EEPKiS8_PKS5_SA_S6_PS5_21rocsparse_index_base_b ; -- Begin function _ZN9rocsparseL19gebsrmvn_4xn_kernelILj128ELj8ELj64E21rocsparse_complex_numIfEEEvi20rocsparse_direction_NS_24const_host_device_scalarIT2_EEPKiS8_PKS5_SA_S6_PS5_21rocsparse_index_base_b
	.p2align	8
	.type	_ZN9rocsparseL19gebsrmvn_4xn_kernelILj128ELj8ELj64E21rocsparse_complex_numIfEEEvi20rocsparse_direction_NS_24const_host_device_scalarIT2_EEPKiS8_PKS5_SA_S6_PS5_21rocsparse_index_base_b,@function
_ZN9rocsparseL19gebsrmvn_4xn_kernelILj128ELj8ELj64E21rocsparse_complex_numIfEEEvi20rocsparse_direction_NS_24const_host_device_scalarIT2_EEPKiS8_PKS5_SA_S6_PS5_21rocsparse_index_base_b: ; @_ZN9rocsparseL19gebsrmvn_4xn_kernelILj128ELj8ELj64E21rocsparse_complex_numIfEEEvi20rocsparse_direction_NS_24const_host_device_scalarIT2_EEPKiS8_PKS5_SA_S6_PS5_21rocsparse_index_base_b
; %bb.0:
	s_clause 0x2
	s_load_b64 s[12:13], s[0:1], 0x40
	s_load_b64 s[4:5], s[0:1], 0x8
	;; [unrolled: 1-line block ×3, first 2 shown]
	s_waitcnt lgkmcnt(0)
	s_bitcmp1_b32 s13, 0
	v_mov_b32_e32 v10, s4
	s_cselect_b32 s6, -1, 0
	s_delay_alu instid0(SALU_CYCLE_1)
	s_and_b32 vcc_lo, exec_lo, s6
	s_xor_b32 s6, s6, -1
	s_cbranch_vccz .LBB108_17
; %bb.1:
	v_cndmask_b32_e64 v1, 0, 1, s6
	v_mov_b32_e32 v11, s5
	s_and_not1_b32 vcc_lo, exec_lo, s6
	s_cbranch_vccz .LBB108_18
.LBB108_2:
	s_delay_alu instid0(VALU_DEP_2)
	v_cmp_ne_u32_e32 vcc_lo, 1, v1
	v_mov_b32_e32 v12, s2
	s_cbranch_vccz .LBB108_19
.LBB108_3:
	v_cmp_ne_u32_e32 vcc_lo, 1, v1
	v_mov_b32_e32 v13, s3
	s_cbranch_vccnz .LBB108_5
.LBB108_4:
	v_dual_mov_b32 v1, s2 :: v_dual_mov_b32 v2, s3
	flat_load_b32 v13, v[1:2] offset:4
.LBB108_5:
	s_waitcnt vmcnt(0) lgkmcnt(0)
	v_cmp_eq_f32_e32 vcc_lo, 0, v10
	v_cmp_eq_f32_e64 s2, 0, v11
	s_delay_alu instid0(VALU_DEP_1)
	s_and_b32 s4, vcc_lo, s2
	s_mov_b32 s2, -1
	s_and_saveexec_b32 s3, s4
; %bb.6:
	v_cmp_neq_f32_e32 vcc_lo, 1.0, v12
	v_cmp_neq_f32_e64 s2, 0, v13
	s_delay_alu instid0(VALU_DEP_1) | instskip(NEXT) | instid1(SALU_CYCLE_1)
	s_or_b32 s2, vcc_lo, s2
	s_or_not1_b32 s2, s2, exec_lo
; %bb.7:
	s_or_b32 exec_lo, exec_lo, s3
	s_and_saveexec_b32 s3, s2
	s_cbranch_execz .LBB108_33
; %bb.8:
	s_load_b64 s[2:3], s[0:1], 0x0
	v_lshrrev_b32_e32 v1, 6, v0
	s_delay_alu instid0(VALU_DEP_1) | instskip(SKIP_1) | instid1(VALU_DEP_1)
	v_lshl_or_b32 v1, s15, 1, v1
	s_waitcnt lgkmcnt(0)
	v_cmp_gt_i32_e32 vcc_lo, s2, v1
	s_and_b32 exec_lo, exec_lo, vcc_lo
	s_cbranch_execz .LBB108_33
; %bb.9:
	s_load_b256 s[4:11], s[0:1], 0x10
	v_ashrrev_i32_e32 v2, 31, v1
	v_and_b32_e32 v0, 63, v0
	s_cmp_lg_u32 s3, 0
	s_delay_alu instid0(VALU_DEP_2) | instskip(SKIP_1) | instid1(VALU_DEP_1)
	v_lshlrev_b64 v[2:3], 2, v[1:2]
	s_waitcnt lgkmcnt(0)
	v_add_co_u32 v2, vcc_lo, s4, v2
	s_delay_alu instid0(VALU_DEP_2) | instskip(SKIP_4) | instid1(VALU_DEP_2)
	v_add_co_ci_u32_e32 v3, vcc_lo, s5, v3, vcc_lo
	global_load_b64 v[2:3], v[2:3], off
	s_waitcnt vmcnt(0)
	v_subrev_nc_u32_e32 v2, s12, v2
	v_subrev_nc_u32_e32 v22, s12, v3
	v_add_nc_u32_e32 v2, v2, v0
	s_delay_alu instid0(VALU_DEP_1)
	v_cmp_lt_i32_e64 s2, v2, v22
	s_cbranch_scc0 .LBB108_20
; %bb.10:
	v_dual_mov_b32 v14, 0 :: v_dual_mov_b32 v19, 0
	v_dual_mov_b32 v18, 0 :: v_dual_mov_b32 v15, 0
	;; [unrolled: 1-line block ×4, first 2 shown]
	s_mov_b32 s3, 0
	s_and_saveexec_b32 s13, s2
	s_cbranch_execz .LBB108_16
; %bb.11:
	v_dual_mov_b32 v4, 0 :: v_dual_lshlrev_b32 v3, 5, v2
	v_dual_mov_b32 v6, 0 :: v_dual_mov_b32 v7, v2
	s_add_u32 s14, s10, 8
	s_delay_alu instid0(VALU_DEP_2) | instskip(NEXT) | instid1(VALU_DEP_3)
	v_or_b32_e32 v23, 4, v3
	v_mov_b32_e32 v14, v4
	v_mov_b32_e32 v19, v4
	;; [unrolled: 1-line block ×8, first 2 shown]
	s_addc_u32 s16, s11, 0
	s_mov_b32 s15, 0
.LBB108_12:                             ; =>This Loop Header: Depth=1
                                        ;     Child Loop BB108_13 Depth 2
	v_ashrrev_i32_e32 v8, 31, v7
	v_lshlrev_b64 v[24:25], 3, v[3:4]
	s_mov_b64 s[4:5], 0
	s_delay_alu instid0(VALU_DEP_2) | instskip(NEXT) | instid1(VALU_DEP_1)
	v_lshlrev_b64 v[8:9], 2, v[7:8]
	v_add_co_u32 v8, vcc_lo, s6, v8
	s_delay_alu instid0(VALU_DEP_2) | instskip(NEXT) | instid1(VALU_DEP_4)
	v_add_co_ci_u32_e32 v9, vcc_lo, s7, v9, vcc_lo
	v_add_co_u32 v24, vcc_lo, s8, v24
	v_add_co_ci_u32_e32 v25, vcc_lo, s9, v25, vcc_lo
	global_load_b32 v5, v[8:9], off
	s_waitcnt vmcnt(0)
	v_subrev_nc_u32_e32 v5, s12, v5
	s_delay_alu instid0(VALU_DEP_1) | instskip(SKIP_1) | instid1(VALU_DEP_2)
	v_dual_mov_b32 v9, v4 :: v_dual_lshlrev_b32 v8, 3, v5
	v_mov_b32_e32 v5, v23
	v_lshlrev_b64 v[8:9], 3, v[8:9]
	s_delay_alu instid0(VALU_DEP_1) | instskip(NEXT) | instid1(VALU_DEP_2)
	v_add_co_u32 v8, vcc_lo, s14, v8
	v_add_co_ci_u32_e32 v9, vcc_lo, s16, v9, vcc_lo
.LBB108_13:                             ;   Parent Loop BB108_12 Depth=1
                                        ; =>  This Inner Loop Header: Depth=2
	v_add_co_u32 v34, vcc_lo, v24, s4
	v_add_co_ci_u32_e32 v35, vcc_lo, s5, v25, vcc_lo
	v_lshlrev_b64 v[38:39], 3, v[5:6]
	global_load_b128 v[26:29], v[8:9], off offset:-8
	s_add_u32 s4, s4, 64
	s_clause 0x1
	global_load_b128 v[30:33], v[34:35], off
	global_load_b128 v[34:37], v[34:35], off offset:16
	v_add_nc_u32_e32 v5, 8, v5
	s_addc_u32 s5, s5, 0
	v_add_co_u32 v42, vcc_lo, s8, v38
	v_add_co_ci_u32_e32 v43, vcc_lo, s9, v39, vcc_lo
	s_clause 0x1
	global_load_b128 v[38:41], v[42:43], off
	global_load_b128 v[42:45], v[42:43], off offset:16
	v_add_co_u32 v8, vcc_lo, v8, 16
	v_add_co_ci_u32_e32 v9, vcc_lo, 0, v9, vcc_lo
	s_cmpk_eq_i32 s4, 0x100
	s_waitcnt vmcnt(3)
	v_fmac_f32_e32 v14, v31, v26
	v_fmac_f32_e32 v21, v32, v26
	s_waitcnt vmcnt(2)
	v_fmac_f32_e32 v15, v37, v26
	v_fmac_f32_e32 v16, v35, v26
	;; [unrolled: 1-line block ×4, first 2 shown]
	s_delay_alu instid0(VALU_DEP_4) | instskip(NEXT) | instid1(VALU_DEP_4)
	v_fmac_f32_e32 v15, v36, v27
	v_dual_fmac_f32 v17, v33, v26 :: v_dual_fmac_f32 v16, v34, v27
	v_fmac_f32_e32 v20, v34, v26
	s_waitcnt vmcnt(1)
	v_fmac_f32_e32 v14, v39, v28
	v_fma_f32 v19, -v31, v27, v19
	v_fmac_f32_e32 v17, v32, v27
	v_fmac_f32_e32 v18, v36, v26
	v_fma_f32 v21, -v33, v27, v21
	v_fma_f32 v20, -v35, v27, v20
	v_fmac_f32_e32 v19, v38, v28
	s_waitcnt vmcnt(0)
	v_fmac_f32_e32 v16, v43, v28
	v_fma_f32 v18, -v37, v27, v18
	v_dual_fmac_f32 v21, v40, v28 :: v_dual_fmac_f32 v14, v38, v29
	s_delay_alu instid0(VALU_DEP_3) | instskip(SKIP_1) | instid1(VALU_DEP_4)
	v_dual_fmac_f32 v17, v41, v28 :: v_dual_fmac_f32 v16, v42, v29
	v_fmac_f32_e32 v20, v42, v28
	v_fmac_f32_e32 v18, v44, v28
	;; [unrolled: 1-line block ×3, first 2 shown]
	v_fma_f32 v19, -v39, v29, v19
	v_fma_f32 v21, -v41, v29, v21
	v_fmac_f32_e32 v17, v40, v29
	v_fma_f32 v20, -v43, v29, v20
	v_fma_f32 v18, -v45, v29, v18
	v_fmac_f32_e32 v15, v44, v29
	s_cbranch_scc0 .LBB108_13
; %bb.14:                               ;   in Loop: Header=BB108_12 Depth=1
	v_add_nc_u32_e32 v7, 64, v7
	v_add_nc_u32_e32 v23, 0x800, v23
	;; [unrolled: 1-line block ×3, first 2 shown]
	s_delay_alu instid0(VALU_DEP_3) | instskip(SKIP_1) | instid1(SALU_CYCLE_1)
	v_cmp_ge_i32_e32 vcc_lo, v7, v22
	s_or_b32 s15, vcc_lo, s15
	s_and_not1_b32 exec_lo, exec_lo, s15
	s_cbranch_execnz .LBB108_12
; %bb.15:
	s_or_b32 exec_lo, exec_lo, s15
.LBB108_16:
	s_delay_alu instid0(SALU_CYCLE_1) | instskip(NEXT) | instid1(SALU_CYCLE_1)
	s_or_b32 exec_lo, exec_lo, s13
	s_and_not1_b32 vcc_lo, exec_lo, s3
	s_cbranch_vccz .LBB108_21
	s_branch .LBB108_28
.LBB108_17:
	v_dual_mov_b32 v1, s4 :: v_dual_mov_b32 v2, s5
	flat_load_b32 v10, v[1:2]
	v_cndmask_b32_e64 v1, 0, 1, s6
	v_mov_b32_e32 v11, s5
	s_and_not1_b32 vcc_lo, exec_lo, s6
	s_cbranch_vccnz .LBB108_2
.LBB108_18:
	v_dual_mov_b32 v2, s4 :: v_dual_mov_b32 v3, s5
	flat_load_b32 v11, v[2:3] offset:4
	v_cmp_ne_u32_e32 vcc_lo, 1, v1
	v_mov_b32_e32 v12, s2
	s_cbranch_vccnz .LBB108_3
.LBB108_19:
	v_dual_mov_b32 v2, s2 :: v_dual_mov_b32 v3, s3
	flat_load_b32 v12, v[2:3]
	v_cmp_ne_u32_e32 vcc_lo, 1, v1
	v_mov_b32_e32 v13, s3
	s_cbranch_vccz .LBB108_4
	s_branch .LBB108_5
.LBB108_20:
                                        ; implicit-def: $vgpr14
                                        ; implicit-def: $vgpr19
                                        ; implicit-def: $vgpr18
                                        ; implicit-def: $vgpr15
                                        ; implicit-def: $vgpr20
                                        ; implicit-def: $vgpr16
                                        ; implicit-def: $vgpr21
                                        ; implicit-def: $vgpr17
.LBB108_21:
	v_dual_mov_b32 v14, 0 :: v_dual_mov_b32 v19, 0
	v_dual_mov_b32 v18, 0 :: v_dual_mov_b32 v15, 0
	;; [unrolled: 1-line block ×4, first 2 shown]
	s_and_saveexec_b32 s4, s2
	s_cbranch_execz .LBB108_27
; %bb.22:
	v_dual_mov_b32 v5, 0 :: v_dual_lshlrev_b32 v4, 5, v2
	s_mov_b32 s5, 0
	s_delay_alu instid0(VALU_DEP_1)
	v_mov_b32_e32 v14, v5
	v_mov_b32_e32 v19, v5
	;; [unrolled: 1-line block ×8, first 2 shown]
.LBB108_23:                             ; =>This Loop Header: Depth=1
                                        ;     Child Loop BB108_24 Depth 2
	v_ashrrev_i32_e32 v3, 31, v2
	v_lshlrev_b64 v[8:9], 3, v[4:5]
	s_mov_b64 s[2:3], 0
	s_delay_alu instid0(VALU_DEP_2) | instskip(NEXT) | instid1(VALU_DEP_1)
	v_lshlrev_b64 v[6:7], 2, v[2:3]
	v_add_co_u32 v6, vcc_lo, s6, v6
	s_delay_alu instid0(VALU_DEP_2) | instskip(SKIP_3) | instid1(VALU_DEP_1)
	v_add_co_ci_u32_e32 v7, vcc_lo, s7, v7, vcc_lo
	global_load_b32 v3, v[6:7], off
	s_waitcnt vmcnt(0)
	v_subrev_nc_u32_e32 v3, s12, v3
	v_dual_mov_b32 v7, v5 :: v_dual_lshlrev_b32 v6, 3, v3
	v_add_co_u32 v3, vcc_lo, s8, v8
	s_delay_alu instid0(VALU_DEP_2) | instskip(SKIP_1) | instid1(VALU_DEP_2)
	v_lshlrev_b64 v[23:24], 3, v[6:7]
	v_add_co_ci_u32_e32 v6, vcc_lo, s9, v9, vcc_lo
	v_add_co_u32 v7, vcc_lo, s10, v23
	s_delay_alu instid0(VALU_DEP_3)
	v_add_co_ci_u32_e32 v8, vcc_lo, s11, v24, vcc_lo
.LBB108_24:                             ;   Parent Loop BB108_23 Depth=1
                                        ; =>  This Inner Loop Header: Depth=2
	s_delay_alu instid0(VALU_DEP_2) | instskip(NEXT) | instid1(VALU_DEP_2)
	v_add_co_u32 v23, vcc_lo, v7, s2
	v_add_co_ci_u32_e32 v24, vcc_lo, s3, v8, vcc_lo
	v_add_co_u32 v39, vcc_lo, v3, s2
	v_add_co_ci_u32_e32 v40, vcc_lo, s3, v6, vcc_lo
	s_add_u32 s2, s2, 16
	global_load_b128 v[23:26], v[23:24], off
	s_clause 0x3
	global_load_b128 v[27:30], v[39:40], off
	global_load_b128 v[31:34], v[39:40], off offset:64
	global_load_b128 v[35:38], v[39:40], off offset:128
	;; [unrolled: 1-line block ×3, first 2 shown]
	s_addc_u32 s3, s3, 0
	s_cmp_eq_u32 s2, 64
	s_waitcnt vmcnt(2)
	v_fmac_f32_e32 v17, v32, v23
	v_fmac_f32_e32 v14, v28, v23
	s_waitcnt vmcnt(0)
	v_fmac_f32_e32 v15, v40, v23
	s_delay_alu instid0(VALU_DEP_3) | instskip(NEXT) | instid1(VALU_DEP_3)
	v_dual_fmac_f32 v16, v36, v23 :: v_dual_fmac_f32 v17, v31, v24
	v_fmac_f32_e32 v14, v27, v24
	s_delay_alu instid0(VALU_DEP_3) | instskip(SKIP_1) | instid1(VALU_DEP_4)
	v_fmac_f32_e32 v15, v39, v24
	v_fmac_f32_e32 v19, v27, v23
	;; [unrolled: 1-line block ×3, first 2 shown]
	s_delay_alu instid0(VALU_DEP_4) | instskip(SKIP_1) | instid1(VALU_DEP_4)
	v_fmac_f32_e32 v14, v30, v25
	v_fmac_f32_e32 v17, v34, v25
	v_fma_f32 v9, -v28, v24, v19
	v_fmac_f32_e32 v20, v35, v23
	s_delay_alu instid0(VALU_DEP_4) | instskip(NEXT) | instid1(VALU_DEP_4)
	v_fmac_f32_e32 v14, v29, v26
	v_dual_fmac_f32 v16, v38, v25 :: v_dual_fmac_f32 v17, v33, v26
	s_delay_alu instid0(VALU_DEP_4) | instskip(NEXT) | instid1(VALU_DEP_4)
	v_fmac_f32_e32 v9, v29, v25
	v_fma_f32 v20, -v36, v24, v20
	v_fmac_f32_e32 v21, v31, v23
	s_delay_alu instid0(VALU_DEP_4) | instskip(NEXT) | instid1(VALU_DEP_4)
	v_dual_fmac_f32 v15, v42, v25 :: v_dual_fmac_f32 v16, v37, v26
	v_fma_f32 v19, -v30, v26, v9
	s_delay_alu instid0(VALU_DEP_4) | instskip(NEXT) | instid1(VALU_DEP_4)
	v_fmac_f32_e32 v20, v37, v25
	v_fma_f32 v21, -v32, v24, v21
	s_delay_alu instid0(VALU_DEP_4) | instskip(NEXT) | instid1(VALU_DEP_3)
	v_dual_fmac_f32 v18, v39, v23 :: v_dual_fmac_f32 v15, v41, v26
	v_fma_f32 v20, -v38, v26, v20
	s_delay_alu instid0(VALU_DEP_3) | instskip(NEXT) | instid1(VALU_DEP_3)
	v_fmac_f32_e32 v21, v33, v25
	v_fma_f32 v18, -v40, v24, v18
	s_delay_alu instid0(VALU_DEP_2) | instskip(NEXT) | instid1(VALU_DEP_2)
	v_fma_f32 v21, -v34, v26, v21
	v_fmac_f32_e32 v18, v41, v25
	s_delay_alu instid0(VALU_DEP_1)
	v_fma_f32 v18, -v42, v26, v18
	s_cbranch_scc0 .LBB108_24
; %bb.25:                               ;   in Loop: Header=BB108_23 Depth=1
	v_add_nc_u32_e32 v2, 64, v2
	v_add_nc_u32_e32 v4, 0x800, v4
	s_delay_alu instid0(VALU_DEP_2) | instskip(SKIP_1) | instid1(SALU_CYCLE_1)
	v_cmp_ge_i32_e32 vcc_lo, v2, v22
	s_or_b32 s5, vcc_lo, s5
	s_and_not1_b32 exec_lo, exec_lo, s5
	s_cbranch_execnz .LBB108_23
; %bb.26:
	s_or_b32 exec_lo, exec_lo, s5
.LBB108_27:
	s_delay_alu instid0(SALU_CYCLE_1)
	s_or_b32 exec_lo, exec_lo, s4
.LBB108_28:
	v_mbcnt_lo_u32_b32 v2, -1, 0
	s_delay_alu instid0(VALU_DEP_1) | instskip(SKIP_1) | instid1(VALU_DEP_2)
	v_or_b32_e32 v3, 32, v2
	v_xor_b32_e32 v23, 16, v2
	v_cmp_gt_i32_e32 vcc_lo, 32, v3
	v_cndmask_b32_e32 v3, v2, v3, vcc_lo
	s_delay_alu instid0(VALU_DEP_3) | instskip(NEXT) | instid1(VALU_DEP_2)
	v_cmp_gt_i32_e32 vcc_lo, 32, v23
	v_lshlrev_b32_e32 v3, 2, v3
	ds_bpermute_b32 v6, v3, v21
	s_waitcnt lgkmcnt(0)
	v_add_f32_e32 v6, v21, v6
	ds_bpermute_b32 v4, v3, v19
	ds_bpermute_b32 v5, v3, v14
	;; [unrolled: 1-line block ×7, first 2 shown]
	s_waitcnt lgkmcnt(6)
	v_dual_cndmask_b32 v23, v2, v23 :: v_dual_add_f32 v4, v19, v4
	s_waitcnt lgkmcnt(4)
	v_dual_add_f32 v5, v14, v5 :: v_dual_add_f32 v8, v20, v8
	s_waitcnt lgkmcnt(3)
	s_delay_alu instid0(VALU_DEP_2)
	v_dual_add_f32 v14, v18, v22 :: v_dual_lshlrev_b32 v23, 2, v23
	s_waitcnt lgkmcnt(2)
	v_add_f32_e32 v7, v17, v7
	s_waitcnt lgkmcnt(1)
	v_add_f32_e32 v9, v16, v9
	ds_bpermute_b32 v17, v23, v6
	ds_bpermute_b32 v21, v23, v14
	s_waitcnt lgkmcnt(2)
	v_add_f32_e32 v3, v15, v3
	ds_bpermute_b32 v15, v23, v4
	ds_bpermute_b32 v19, v23, v8
	;; [unrolled: 1-line block ×3, first 2 shown]
	s_waitcnt lgkmcnt(4)
	v_add_f32_e32 v6, v6, v17
	s_waitcnt lgkmcnt(3)
	v_add_f32_e32 v14, v14, v21
	ds_bpermute_b32 v18, v23, v7
	ds_bpermute_b32 v22, v23, v3
	s_waitcnt lgkmcnt(4)
	v_add_f32_e32 v4, v4, v15
	ds_bpermute_b32 v16, v23, v5
	v_xor_b32_e32 v23, 8, v2
	s_waitcnt lgkmcnt(4)
	v_add_f32_e32 v8, v8, v19
	s_delay_alu instid0(VALU_DEP_2) | instskip(SKIP_1) | instid1(VALU_DEP_1)
	v_cmp_gt_i32_e32 vcc_lo, 32, v23
	v_cndmask_b32_e32 v23, v2, v23, vcc_lo
	v_lshlrev_b32_e32 v23, 2, v23
	s_waitcnt lgkmcnt(0)
	v_add_f32_e32 v5, v5, v16
	ds_bpermute_b32 v17, v23, v6
	s_waitcnt lgkmcnt(0)
	v_add_f32_e32 v6, v6, v17
	ds_bpermute_b32 v15, v23, v4
	ds_bpermute_b32 v19, v23, v8
	;; [unrolled: 1-line block ×3, first 2 shown]
	v_add_f32_e32 v7, v7, v18
	v_add_f32_e32 v9, v9, v20
	;; [unrolled: 1-line block ×3, first 2 shown]
	ds_bpermute_b32 v16, v23, v5
	s_waitcnt lgkmcnt(3)
	v_add_f32_e32 v4, v4, v15
	ds_bpermute_b32 v18, v23, v7
	s_waitcnt lgkmcnt(2)
	v_add_f32_e32 v14, v14, v21
	ds_bpermute_b32 v22, v23, v3
	v_add_f32_e32 v8, v8, v19
	ds_bpermute_b32 v20, v23, v9
	v_xor_b32_e32 v23, 4, v2
	s_waitcnt lgkmcnt(3)
	v_add_f32_e32 v5, v5, v16
	s_delay_alu instid0(VALU_DEP_2) | instskip(SKIP_1) | instid1(VALU_DEP_1)
	v_cmp_gt_i32_e32 vcc_lo, 32, v23
	v_cndmask_b32_e32 v23, v2, v23, vcc_lo
	v_lshlrev_b32_e32 v23, 2, v23
	s_waitcnt lgkmcnt(2)
	v_add_f32_e32 v7, v7, v18
	s_waitcnt lgkmcnt(1)
	v_add_f32_e32 v3, v3, v22
	s_waitcnt lgkmcnt(0)
	v_add_f32_e32 v9, v9, v20
	ds_bpermute_b32 v16, v23, v5
	ds_bpermute_b32 v18, v23, v7
	;; [unrolled: 1-line block ×3, first 2 shown]
	s_waitcnt lgkmcnt(1)
	v_dual_add_f32 v5, v5, v16 :: v_dual_add_f32 v16, v7, v18
	s_waitcnt lgkmcnt(0)
	v_add_f32_e32 v18, v14, v21
	ds_bpermute_b32 v15, v23, v4
	ds_bpermute_b32 v17, v23, v6
	;; [unrolled: 1-line block ×5, first 2 shown]
	v_xor_b32_e32 v23, 2, v2
	s_delay_alu instid0(VALU_DEP_1) | instskip(SKIP_1) | instid1(VALU_DEP_1)
	v_cmp_gt_i32_e32 vcc_lo, 32, v23
	v_cndmask_b32_e32 v23, v2, v23, vcc_lo
	v_lshlrev_b32_e32 v23, 2, v23
	s_waitcnt lgkmcnt(3)
	v_dual_add_f32 v4, v4, v15 :: v_dual_add_f32 v15, v6, v17
	s_waitcnt lgkmcnt(1)
	v_dual_add_f32 v8, v8, v19 :: v_dual_add_f32 v17, v9, v20
	s_waitcnt lgkmcnt(0)
	v_add_f32_e32 v19, v3, v22
	ds_bpermute_b32 v3, v23, v4
	ds_bpermute_b32 v6, v23, v5
	;; [unrolled: 1-line block ×8, first 2 shown]
	v_xor_b32_e32 v23, 1, v2
	s_delay_alu instid0(VALU_DEP_1) | instskip(SKIP_4) | instid1(VALU_DEP_3)
	v_cmp_gt_i32_e32 vcc_lo, 32, v23
	v_cndmask_b32_e32 v2, v2, v23, vcc_lo
	v_cmp_eq_u32_e32 vcc_lo, 63, v0
	s_waitcnt lgkmcnt(5)
	v_add_f32_e32 v7, v15, v7
	v_dual_add_f32 v2, v4, v3 :: v_dual_lshlrev_b32 v23, 2, v2
	s_waitcnt lgkmcnt(4)
	v_dual_add_f32 v6, v5, v6 :: v_dual_add_f32 v9, v16, v9
	s_waitcnt lgkmcnt(2)
	v_dual_add_f32 v14, v8, v14 :: v_dual_add_f32 v15, v17, v20
	s_waitcnt lgkmcnt(1)
	v_add_f32_e32 v3, v18, v21
	s_waitcnt lgkmcnt(0)
	v_add_f32_e32 v5, v19, v22
	ds_bpermute_b32 v4, v23, v2
	ds_bpermute_b32 v8, v23, v6
	;; [unrolled: 1-line block ×8, first 2 shown]
	s_and_b32 exec_lo, exec_lo, vcc_lo
	s_cbranch_execz .LBB108_33
; %bb.29:
	s_load_b64 s[2:3], s[0:1], 0x38
	v_cmp_eq_f32_e32 vcc_lo, 0, v12
	v_cmp_eq_f32_e64 s0, 0, v13
	s_waitcnt lgkmcnt(0)
	v_add_f32_e32 v4, v2, v4
	v_dual_add_f32 v8, v6, v8 :: v_dual_add_f32 v5, v5, v17
	v_dual_add_f32 v0, v7, v18 :: v_dual_add_f32 v7, v9, v19
	v_add_f32_e32 v2, v14, v20
	v_add_f32_e32 v6, v15, v21
	;; [unrolled: 1-line block ×3, first 2 shown]
	s_and_b32 s0, vcc_lo, s0
	s_delay_alu instid0(SALU_CYCLE_1) | instskip(NEXT) | instid1(SALU_CYCLE_1)
	s_and_saveexec_b32 s1, s0
	s_xor_b32 s0, exec_lo, s1
	s_cbranch_execz .LBB108_31
; %bb.30:
	v_dual_mul_f32 v13, v8, v10 :: v_dual_lshlrev_b32 v18, 2, v1
	v_mul_f32_e64 v14, v7, -v11
	v_mul_f32_e64 v12, v8, -v11
	v_mul_f32_e32 v15, v7, v10
	s_delay_alu instid0(VALU_DEP_4)
	v_ashrrev_i32_e32 v19, 31, v18
	v_mul_f32_e64 v16, v6, -v11
	v_mul_f32_e32 v17, v6, v10
	v_fmac_f32_e32 v12, v10, v4
	v_fmac_f32_e32 v14, v10, v0
	v_lshlrev_b64 v[6:7], 3, v[18:19]
	v_mul_f32_e32 v19, v5, v10
	v_mul_f32_e64 v18, v5, -v11
	v_dual_fmac_f32 v13, v11, v4 :: v_dual_fmac_f32 v16, v10, v2
	v_fmac_f32_e32 v15, v11, v0
	v_add_co_u32 v6, vcc_lo, s2, v6
	s_delay_alu instid0(VALU_DEP_4)
	v_fmac_f32_e32 v18, v10, v3
	v_add_co_ci_u32_e32 v7, vcc_lo, s3, v7, vcc_lo
	v_fmac_f32_e32 v17, v11, v2
	v_fmac_f32_e32 v19, v11, v3
	s_clause 0x1
	global_store_b128 v[6:7], v[12:15], off
	global_store_b128 v[6:7], v[16:19], off offset:16
                                        ; implicit-def: $vgpr10
                                        ; implicit-def: $vgpr11
                                        ; implicit-def: $vgpr12
                                        ; implicit-def: $vgpr13
                                        ; implicit-def: $vgpr1
                                        ; implicit-def: $vgpr4
                                        ; implicit-def: $vgpr8
                                        ; implicit-def: $vgpr0
                                        ; implicit-def: $vgpr7
                                        ; implicit-def: $vgpr2
                                        ; implicit-def: $vgpr6
                                        ; implicit-def: $vgpr3
                                        ; implicit-def: $vgpr5
.LBB108_31:
	s_and_not1_saveexec_b32 s0, s0
	s_cbranch_execz .LBB108_33
; %bb.32:
	v_dual_mul_f32 v23, v8, v10 :: v_dual_lshlrev_b32 v14, 2, v1
	v_mul_f32_e64 v1, v8, -v11
	v_mul_f32_e64 v9, v7, -v11
	;; [unrolled: 1-line block ×3, first 2 shown]
	s_delay_alu instid0(VALU_DEP_4) | instskip(SKIP_3) | instid1(VALU_DEP_4)
	v_ashrrev_i32_e32 v15, 31, v14
	v_mul_f32_e32 v25, v7, v10
	v_mul_f32_e64 v7, v6, -v11
	v_dual_mul_f32 v6, v6, v10 :: v_dual_fmac_f32 v23, v11, v4
	v_lshlrev_b64 v[14:15], 3, v[14:15]
	v_dual_mul_f32 v8, v5, v10 :: v_dual_fmac_f32 v1, v10, v4
	s_delay_alu instid0(VALU_DEP_3) | instskip(SKIP_1) | instid1(VALU_DEP_4)
	v_dual_fmac_f32 v9, v10, v0 :: v_dual_fmac_f32 v6, v11, v2
	v_fmac_f32_e32 v28, v10, v3
	v_add_co_u32 v26, vcc_lo, s2, v14
	v_add_co_ci_u32_e32 v27, vcc_lo, s3, v15, vcc_lo
	v_dual_fmac_f32 v7, v10, v2 :: v_dual_fmac_f32 v8, v11, v3
	s_clause 0x1
	global_load_b128 v[14:17], v[26:27], off
	global_load_b128 v[18:21], v[26:27], off offset:16
	v_fmac_f32_e32 v25, v11, v0
	s_waitcnt vmcnt(0)
	v_dual_fmac_f32 v1, v12, v14 :: v_dual_fmac_f32 v8, v13, v20
	v_dual_fmac_f32 v23, v13, v14 :: v_dual_fmac_f32 v28, v12, v20
	v_dual_fmac_f32 v9, v12, v16 :: v_dual_fmac_f32 v6, v13, v18
	v_fmac_f32_e32 v25, v13, v16
	v_fmac_f32_e32 v7, v12, v18
	v_fma_f32 v22, -v13, v15, v1
	v_fmac_f32_e32 v23, v12, v15
	v_fmac_f32_e32 v6, v12, v19
	v_fma_f32 v24, -v13, v17, v9
	v_fmac_f32_e32 v25, v12, v17
	v_fma_f32 v5, -v13, v19, v7
	v_fma_f32 v7, -v13, v21, v28
	v_fmac_f32_e32 v8, v12, v21
	s_clause 0x1
	global_store_b128 v[26:27], v[22:25], off
	global_store_b128 v[26:27], v[5:8], off offset:16
.LBB108_33:
	s_nop 0
	s_sendmsg sendmsg(MSG_DEALLOC_VGPRS)
	s_endpgm
	.section	.rodata,"a",@progbits
	.p2align	6, 0x0
	.amdhsa_kernel _ZN9rocsparseL19gebsrmvn_4xn_kernelILj128ELj8ELj64E21rocsparse_complex_numIfEEEvi20rocsparse_direction_NS_24const_host_device_scalarIT2_EEPKiS8_PKS5_SA_S6_PS5_21rocsparse_index_base_b
		.amdhsa_group_segment_fixed_size 0
		.amdhsa_private_segment_fixed_size 0
		.amdhsa_kernarg_size 72
		.amdhsa_user_sgpr_count 15
		.amdhsa_user_sgpr_dispatch_ptr 0
		.amdhsa_user_sgpr_queue_ptr 0
		.amdhsa_user_sgpr_kernarg_segment_ptr 1
		.amdhsa_user_sgpr_dispatch_id 0
		.amdhsa_user_sgpr_private_segment_size 0
		.amdhsa_wavefront_size32 1
		.amdhsa_uses_dynamic_stack 0
		.amdhsa_enable_private_segment 0
		.amdhsa_system_sgpr_workgroup_id_x 1
		.amdhsa_system_sgpr_workgroup_id_y 0
		.amdhsa_system_sgpr_workgroup_id_z 0
		.amdhsa_system_sgpr_workgroup_info 0
		.amdhsa_system_vgpr_workitem_id 0
		.amdhsa_next_free_vgpr 46
		.amdhsa_next_free_sgpr 17
		.amdhsa_reserve_vcc 1
		.amdhsa_float_round_mode_32 0
		.amdhsa_float_round_mode_16_64 0
		.amdhsa_float_denorm_mode_32 3
		.amdhsa_float_denorm_mode_16_64 3
		.amdhsa_dx10_clamp 1
		.amdhsa_ieee_mode 1
		.amdhsa_fp16_overflow 0
		.amdhsa_workgroup_processor_mode 1
		.amdhsa_memory_ordered 1
		.amdhsa_forward_progress 0
		.amdhsa_shared_vgpr_count 0
		.amdhsa_exception_fp_ieee_invalid_op 0
		.amdhsa_exception_fp_denorm_src 0
		.amdhsa_exception_fp_ieee_div_zero 0
		.amdhsa_exception_fp_ieee_overflow 0
		.amdhsa_exception_fp_ieee_underflow 0
		.amdhsa_exception_fp_ieee_inexact 0
		.amdhsa_exception_int_div_zero 0
	.end_amdhsa_kernel
	.section	.text._ZN9rocsparseL19gebsrmvn_4xn_kernelILj128ELj8ELj64E21rocsparse_complex_numIfEEEvi20rocsparse_direction_NS_24const_host_device_scalarIT2_EEPKiS8_PKS5_SA_S6_PS5_21rocsparse_index_base_b,"axG",@progbits,_ZN9rocsparseL19gebsrmvn_4xn_kernelILj128ELj8ELj64E21rocsparse_complex_numIfEEEvi20rocsparse_direction_NS_24const_host_device_scalarIT2_EEPKiS8_PKS5_SA_S6_PS5_21rocsparse_index_base_b,comdat
.Lfunc_end108:
	.size	_ZN9rocsparseL19gebsrmvn_4xn_kernelILj128ELj8ELj64E21rocsparse_complex_numIfEEEvi20rocsparse_direction_NS_24const_host_device_scalarIT2_EEPKiS8_PKS5_SA_S6_PS5_21rocsparse_index_base_b, .Lfunc_end108-_ZN9rocsparseL19gebsrmvn_4xn_kernelILj128ELj8ELj64E21rocsparse_complex_numIfEEEvi20rocsparse_direction_NS_24const_host_device_scalarIT2_EEPKiS8_PKS5_SA_S6_PS5_21rocsparse_index_base_b
                                        ; -- End function
	.section	.AMDGPU.csdata,"",@progbits
; Kernel info:
; codeLenInByte = 2820
; NumSgprs: 19
; NumVgprs: 46
; ScratchSize: 0
; MemoryBound: 0
; FloatMode: 240
; IeeeMode: 1
; LDSByteSize: 0 bytes/workgroup (compile time only)
; SGPRBlocks: 2
; VGPRBlocks: 5
; NumSGPRsForWavesPerEU: 19
; NumVGPRsForWavesPerEU: 46
; Occupancy: 16
; WaveLimiterHint : 1
; COMPUTE_PGM_RSRC2:SCRATCH_EN: 0
; COMPUTE_PGM_RSRC2:USER_SGPR: 15
; COMPUTE_PGM_RSRC2:TRAP_HANDLER: 0
; COMPUTE_PGM_RSRC2:TGID_X_EN: 1
; COMPUTE_PGM_RSRC2:TGID_Y_EN: 0
; COMPUTE_PGM_RSRC2:TGID_Z_EN: 0
; COMPUTE_PGM_RSRC2:TIDIG_COMP_CNT: 0
	.section	.text._ZN9rocsparseL23gebsrmvn_general_kernelILj64ELj16E21rocsparse_complex_numIfEEEvi20rocsparse_direction_NS_24const_host_device_scalarIT1_EEPKiS8_PKS5_iiSA_S6_PS5_21rocsparse_index_base_b,"axG",@progbits,_ZN9rocsparseL23gebsrmvn_general_kernelILj64ELj16E21rocsparse_complex_numIfEEEvi20rocsparse_direction_NS_24const_host_device_scalarIT1_EEPKiS8_PKS5_iiSA_S6_PS5_21rocsparse_index_base_b,comdat
	.globl	_ZN9rocsparseL23gebsrmvn_general_kernelILj64ELj16E21rocsparse_complex_numIfEEEvi20rocsparse_direction_NS_24const_host_device_scalarIT1_EEPKiS8_PKS5_iiSA_S6_PS5_21rocsparse_index_base_b ; -- Begin function _ZN9rocsparseL23gebsrmvn_general_kernelILj64ELj16E21rocsparse_complex_numIfEEEvi20rocsparse_direction_NS_24const_host_device_scalarIT1_EEPKiS8_PKS5_iiSA_S6_PS5_21rocsparse_index_base_b
	.p2align	8
	.type	_ZN9rocsparseL23gebsrmvn_general_kernelILj64ELj16E21rocsparse_complex_numIfEEEvi20rocsparse_direction_NS_24const_host_device_scalarIT1_EEPKiS8_PKS5_iiSA_S6_PS5_21rocsparse_index_base_b,@function
_ZN9rocsparseL23gebsrmvn_general_kernelILj64ELj16E21rocsparse_complex_numIfEEEvi20rocsparse_direction_NS_24const_host_device_scalarIT1_EEPKiS8_PKS5_iiSA_S6_PS5_21rocsparse_index_base_b: ; @_ZN9rocsparseL23gebsrmvn_general_kernelILj64ELj16E21rocsparse_complex_numIfEEEvi20rocsparse_direction_NS_24const_host_device_scalarIT1_EEPKiS8_PKS5_iiSA_S6_PS5_21rocsparse_index_base_b
; %bb.0:
	s_clause 0x2
	s_load_b64 s[8:9], s[0:1], 0x48
	s_load_b64 s[4:5], s[0:1], 0x8
	;; [unrolled: 1-line block ×3, first 2 shown]
	s_mov_b32 s16, s15
	s_waitcnt lgkmcnt(0)
	s_bitcmp1_b32 s9, 0
	v_mov_b32_e32 v6, s4
	s_cselect_b32 s6, -1, 0
	s_delay_alu instid0(SALU_CYCLE_1)
	s_and_b32 vcc_lo, exec_lo, s6
	s_xor_b32 s6, s6, -1
	s_cbranch_vccz .LBB109_28
; %bb.1:
	v_cndmask_b32_e64 v1, 0, 1, s6
	v_mov_b32_e32 v7, s5
	s_and_not1_b32 vcc_lo, exec_lo, s6
	s_cbranch_vccz .LBB109_29
.LBB109_2:
	s_delay_alu instid0(VALU_DEP_2)
	v_cmp_ne_u32_e32 vcc_lo, 1, v1
	v_mov_b32_e32 v8, s2
	s_cbranch_vccz .LBB109_30
.LBB109_3:
	v_cmp_ne_u32_e32 vcc_lo, 1, v1
	v_mov_b32_e32 v9, s3
	s_cbranch_vccnz .LBB109_5
.LBB109_4:
	v_dual_mov_b32 v1, s2 :: v_dual_mov_b32 v2, s3
	flat_load_b32 v9, v[1:2] offset:4
.LBB109_5:
	s_waitcnt vmcnt(0) lgkmcnt(0)
	v_cmp_eq_f32_e32 vcc_lo, 0, v6
	v_cmp_eq_f32_e64 s2, 0, v7
	s_delay_alu instid0(VALU_DEP_1)
	s_and_b32 s4, vcc_lo, s2
	s_mov_b32 s2, -1
	s_and_saveexec_b32 s3, s4
; %bb.6:
	v_cmp_neq_f32_e32 vcc_lo, 1.0, v8
	v_cmp_neq_f32_e64 s2, 0, v9
	s_delay_alu instid0(VALU_DEP_1) | instskip(NEXT) | instid1(SALU_CYCLE_1)
	s_or_b32 s2, vcc_lo, s2
	s_or_not1_b32 s2, s2, exec_lo
; %bb.7:
	s_or_b32 exec_lo, exec_lo, s3
	s_and_saveexec_b32 s3, s2
	s_cbranch_execz .LBB109_27
; %bb.8:
	s_load_b64 s[10:11], s[0:1], 0x28
	v_lshrrev_b32_e32 v1, 4, v0
	s_waitcnt lgkmcnt(0)
	s_delay_alu instid0(VALU_DEP_1)
	v_cmp_gt_i32_e32 vcc_lo, s10, v1
	s_and_b32 exec_lo, exec_lo, vcc_lo
	s_cbranch_execz .LBB109_27
; %bb.9:
	s_clause 0x1
	s_load_b128 s[4:7], s[0:1], 0x10
	s_load_b32 s20, s[0:1], 0x4
	v_mbcnt_lo_u32_b32 v2, -1, 0
	s_ashr_i32 s17, s16, 31
	s_mov_b32 s9, 0
	s_lshl_b64 s[2:3], s[16:17], 2
	s_mul_i32 s16, s16, s10
	v_xor_b32_e32 v3, 8, v2
	v_xor_b32_e32 v4, 4, v2
	;; [unrolled: 1-line block ×4, first 2 shown]
	s_mul_i32 s23, s11, s10
	v_cmp_gt_i32_e32 vcc_lo, 32, v3
	v_dual_cndmask_b32 v11, v2, v3 :: v_dual_and_b32 v0, 15, v0
	v_cmp_gt_i32_e32 vcc_lo, 32, v4
	s_waitcnt lgkmcnt(0)
	s_add_u32 s2, s4, s2
	s_addc_u32 s3, s5, s3
	v_cndmask_b32_e32 v4, v2, v4, vcc_lo
	s_load_b64 s[2:3], s[2:3], 0x0
	v_cmp_gt_i32_e32 vcc_lo, 32, v5
	s_clause 0x2
	s_load_b64 s[4:5], s[0:1], 0x20
	s_load_b64 s[12:13], s[0:1], 0x30
	;; [unrolled: 1-line block ×3, first 2 shown]
	v_cmp_gt_i32_e64 s0, s11, v0
	v_cmp_eq_u32_e64 s1, 15, v0
	v_cndmask_b32_e32 v5, v2, v5, vcc_lo
	v_cmp_gt_i32_e32 vcc_lo, 32, v10
	v_cndmask_b32_e32 v13, v2, v10, vcc_lo
	v_cmp_eq_f32_e32 vcc_lo, 0, v8
	v_lshlrev_b32_e32 v10, 2, v11
	v_lshlrev_b32_e32 v12, 2, v5
	s_delay_alu instid0(VALU_DEP_4)
	v_lshlrev_b32_e32 v13, 2, v13
	v_lshlrev_b32_e32 v11, 2, v4
	s_waitcnt lgkmcnt(0)
	s_sub_i32 s17, s2, s8
	s_sub_i32 s18, s3, s8
	v_mad_u64_u32 v[2:3], null, s10, s17, v[1:2]
	s_cmp_lt_i32 s2, s3
	v_cmp_eq_f32_e64 s2, 0, v9
	s_cselect_b32 s19, -1, 0
	s_cmp_lg_u32 s20, 0
	s_cselect_b32 s20, -1, 0
	s_delay_alu instid0(VALU_DEP_2)
	v_mul_lo_u32 v14, s11, v2
	s_and_b32 s21, vcc_lo, s2
	s_lshl_b32 s22, s11, 2
	s_branch .LBB109_11
.LBB109_10:                             ;   in Loop: Header=BB109_11 Depth=1
	s_or_b32 exec_lo, exec_lo, s2
	v_add_nc_u32_e32 v1, 4, v1
	v_add_nc_u32_e32 v14, s22, v14
	s_delay_alu instid0(VALU_DEP_2) | instskip(SKIP_1) | instid1(SALU_CYCLE_1)
	v_cmp_le_i32_e32 vcc_lo, s10, v1
	s_or_b32 s9, vcc_lo, s9
	s_and_not1_b32 exec_lo, exec_lo, s9
	s_cbranch_execz .LBB109_27
.LBB109_11:                             ; =>This Loop Header: Depth=1
                                        ;     Child Loop BB109_15 Depth 2
                                        ;       Child Loop BB109_18 Depth 3
	s_waitcnt lgkmcnt(0)
	v_dual_mov_b32 v4, 0 :: v_dual_mov_b32 v5, 0
	s_and_not1_b32 vcc_lo, exec_lo, s19
	s_cbranch_vccnz .LBB109_22
; %bb.12:                               ;   in Loop: Header=BB109_11 Depth=1
	v_dual_mov_b32 v4, 0 :: v_dual_mov_b32 v15, v14
	v_mov_b32_e32 v5, 0
	s_mov_b32 s2, s17
	s_branch .LBB109_15
.LBB109_13:                             ;   in Loop: Header=BB109_15 Depth=2
	s_set_inst_prefetch_distance 0x2
	s_or_b32 exec_lo, exec_lo, s25
.LBB109_14:                             ;   in Loop: Header=BB109_15 Depth=2
	s_delay_alu instid0(SALU_CYCLE_1) | instskip(SKIP_2) | instid1(SALU_CYCLE_1)
	s_or_b32 exec_lo, exec_lo, s24
	v_add_nc_u32_e32 v15, s23, v15
	s_add_i32 s2, s2, 1
	s_cmp_ge_i32 s2, s18
	s_cbranch_scc1 .LBB109_22
.LBB109_15:                             ;   Parent Loop BB109_11 Depth=1
                                        ; =>  This Loop Header: Depth=2
                                        ;       Child Loop BB109_18 Depth 3
	s_and_saveexec_b32 s24, s0
	s_cbranch_execz .LBB109_14
; %bb.16:                               ;   in Loop: Header=BB109_15 Depth=2
	s_ashr_i32 s3, s2, 31
	v_mov_b32_e32 v16, v0
	s_lshl_b64 s[26:27], s[2:3], 2
	s_mov_b32 s25, 0
	s_add_u32 s26, s6, s26
	s_addc_u32 s27, s7, s27
	s_load_b32 s3, s[26:27], 0x0
	s_waitcnt lgkmcnt(0)
	s_sub_i32 s26, s3, s8
	s_mul_i32 s3, s2, s11
	s_mul_i32 s26, s26, s11
	s_set_inst_prefetch_distance 0x1
	s_branch .LBB109_18
	.p2align	6
.LBB109_17:                             ;   in Loop: Header=BB109_18 Depth=3
	v_add_nc_u32_e32 v17, s26, v16
	s_delay_alu instid0(VALU_DEP_2) | instskip(NEXT) | instid1(VALU_DEP_2)
	v_ashrrev_i32_e32 v3, 31, v2
	v_ashrrev_i32_e32 v18, 31, v17
	s_delay_alu instid0(VALU_DEP_2) | instskip(NEXT) | instid1(VALU_DEP_2)
	v_lshlrev_b64 v[2:3], 3, v[2:3]
	v_lshlrev_b64 v[17:18], 3, v[17:18]
	s_delay_alu instid0(VALU_DEP_2) | instskip(NEXT) | instid1(VALU_DEP_3)
	v_add_co_u32 v2, vcc_lo, s4, v2
	v_add_co_ci_u32_e32 v3, vcc_lo, s5, v3, vcc_lo
	s_delay_alu instid0(VALU_DEP_3) | instskip(NEXT) | instid1(VALU_DEP_4)
	v_add_co_u32 v17, vcc_lo, s12, v17
	v_add_co_ci_u32_e32 v18, vcc_lo, s13, v18, vcc_lo
	global_load_b64 v[2:3], v[2:3], off
	global_load_b64 v[17:18], v[17:18], off
	s_waitcnt vmcnt(0)
	v_dual_fmac_f32 v5, v2, v17 :: v_dual_add_nc_u32 v16, 16, v16
	v_fmac_f32_e32 v4, v3, v17
	s_delay_alu instid0(VALU_DEP_2) | instskip(NEXT) | instid1(VALU_DEP_3)
	v_cmp_le_i32_e32 vcc_lo, s11, v16
	v_fma_f32 v5, -v3, v18, v5
	s_delay_alu instid0(VALU_DEP_3) | instskip(SKIP_1) | instid1(SALU_CYCLE_1)
	v_fmac_f32_e32 v4, v2, v18
	s_or_b32 s25, vcc_lo, s25
	s_and_not1_b32 exec_lo, exec_lo, s25
	s_cbranch_execz .LBB109_13
.LBB109_18:                             ;   Parent Loop BB109_11 Depth=1
                                        ;     Parent Loop BB109_15 Depth=2
                                        ; =>    This Inner Loop Header: Depth=3
	s_and_b32 vcc_lo, exec_lo, s20
	s_cbranch_vccz .LBB109_20
; %bb.19:                               ;   in Loop: Header=BB109_18 Depth=3
	v_add_nc_u32_e32 v17, s3, v16
	s_delay_alu instid0(VALU_DEP_1)
	v_mad_u64_u32 v[2:3], null, v17, s10, v[1:2]
	s_cbranch_execnz .LBB109_17
	s_branch .LBB109_21
.LBB109_20:                             ;   in Loop: Header=BB109_18 Depth=3
                                        ; implicit-def: $vgpr2
.LBB109_21:                             ;   in Loop: Header=BB109_18 Depth=3
	v_add_nc_u32_e32 v2, v15, v16
	s_branch .LBB109_17
.LBB109_22:                             ;   in Loop: Header=BB109_11 Depth=1
	ds_bpermute_b32 v2, v10, v5
	ds_bpermute_b32 v3, v10, v4
	s_waitcnt lgkmcnt(0)
	v_dual_add_f32 v2, v5, v2 :: v_dual_add_f32 v3, v4, v3
	ds_bpermute_b32 v4, v11, v2
	ds_bpermute_b32 v5, v11, v3
	s_waitcnt lgkmcnt(0)
	v_dual_add_f32 v2, v2, v4 :: v_dual_add_f32 v3, v3, v5
	ds_bpermute_b32 v4, v12, v2
	ds_bpermute_b32 v5, v12, v3
	s_waitcnt lgkmcnt(1)
	v_add_f32_e32 v2, v2, v4
	s_waitcnt lgkmcnt(0)
	v_add_f32_e32 v4, v3, v5
	ds_bpermute_b32 v3, v13, v2
	ds_bpermute_b32 v5, v13, v4
	s_and_saveexec_b32 s2, s1
	s_cbranch_execz .LBB109_10
; %bb.23:                               ;   in Loop: Header=BB109_11 Depth=1
	s_waitcnt lgkmcnt(0)
	v_dual_add_f32 v4, v4, v5 :: v_dual_add_f32 v5, v2, v3
	s_delay_alu instid0(VALU_DEP_1) | instskip(SKIP_1) | instid1(VALU_DEP_2)
	v_mul_f32_e64 v2, v4, -v7
	v_dual_mul_f32 v3, v4, v6 :: v_dual_add_nc_u32 v4, s16, v1
	v_fmac_f32_e32 v2, v6, v5
	s_delay_alu instid0(VALU_DEP_2) | instskip(NEXT) | instid1(VALU_DEP_3)
	v_fmac_f32_e32 v3, v7, v5
	v_ashrrev_i32_e32 v5, 31, v4
	s_and_saveexec_b32 s3, s21
	s_delay_alu instid0(SALU_CYCLE_1)
	s_xor_b32 s3, exec_lo, s3
	s_cbranch_execz .LBB109_25
; %bb.24:                               ;   in Loop: Header=BB109_11 Depth=1
	s_delay_alu instid0(VALU_DEP_1) | instskip(NEXT) | instid1(VALU_DEP_1)
	v_lshlrev_b64 v[4:5], 3, v[4:5]
	v_add_co_u32 v4, vcc_lo, s14, v4
	s_delay_alu instid0(VALU_DEP_2)
	v_add_co_ci_u32_e32 v5, vcc_lo, s15, v5, vcc_lo
	global_store_b64 v[4:5], v[2:3], off
                                        ; implicit-def: $vgpr4
                                        ; implicit-def: $vgpr2
.LBB109_25:                             ;   in Loop: Header=BB109_11 Depth=1
	s_and_not1_saveexec_b32 s3, s3
	s_cbranch_execz .LBB109_10
; %bb.26:                               ;   in Loop: Header=BB109_11 Depth=1
	v_lshlrev_b64 v[4:5], 3, v[4:5]
	s_delay_alu instid0(VALU_DEP_1) | instskip(NEXT) | instid1(VALU_DEP_2)
	v_add_co_u32 v4, vcc_lo, s14, v4
	v_add_co_ci_u32_e32 v5, vcc_lo, s15, v5, vcc_lo
	global_load_b64 v[15:16], v[4:5], off
	s_waitcnt vmcnt(0)
	v_fmac_f32_e32 v2, v8, v15
	v_fmac_f32_e32 v3, v9, v15
	s_delay_alu instid0(VALU_DEP_2) | instskip(NEXT) | instid1(VALU_DEP_2)
	v_fma_f32 v2, -v9, v16, v2
	v_fmac_f32_e32 v3, v8, v16
	global_store_b64 v[4:5], v[2:3], off
	s_branch .LBB109_10
.LBB109_27:
	s_nop 0
	s_sendmsg sendmsg(MSG_DEALLOC_VGPRS)
	s_endpgm
.LBB109_28:
	v_dual_mov_b32 v1, s4 :: v_dual_mov_b32 v2, s5
	flat_load_b32 v6, v[1:2]
	v_cndmask_b32_e64 v1, 0, 1, s6
	v_mov_b32_e32 v7, s5
	s_and_not1_b32 vcc_lo, exec_lo, s6
	s_cbranch_vccnz .LBB109_2
.LBB109_29:
	v_dual_mov_b32 v2, s4 :: v_dual_mov_b32 v3, s5
	flat_load_b32 v7, v[2:3] offset:4
	v_cmp_ne_u32_e32 vcc_lo, 1, v1
	v_mov_b32_e32 v8, s2
	s_cbranch_vccnz .LBB109_3
.LBB109_30:
	v_dual_mov_b32 v2, s2 :: v_dual_mov_b32 v3, s3
	flat_load_b32 v8, v[2:3]
	v_cmp_ne_u32_e32 vcc_lo, 1, v1
	v_mov_b32_e32 v9, s3
	s_cbranch_vccz .LBB109_4
	s_branch .LBB109_5
	.section	.rodata,"a",@progbits
	.p2align	6, 0x0
	.amdhsa_kernel _ZN9rocsparseL23gebsrmvn_general_kernelILj64ELj16E21rocsparse_complex_numIfEEEvi20rocsparse_direction_NS_24const_host_device_scalarIT1_EEPKiS8_PKS5_iiSA_S6_PS5_21rocsparse_index_base_b
		.amdhsa_group_segment_fixed_size 0
		.amdhsa_private_segment_fixed_size 0
		.amdhsa_kernarg_size 80
		.amdhsa_user_sgpr_count 15
		.amdhsa_user_sgpr_dispatch_ptr 0
		.amdhsa_user_sgpr_queue_ptr 0
		.amdhsa_user_sgpr_kernarg_segment_ptr 1
		.amdhsa_user_sgpr_dispatch_id 0
		.amdhsa_user_sgpr_private_segment_size 0
		.amdhsa_wavefront_size32 1
		.amdhsa_uses_dynamic_stack 0
		.amdhsa_enable_private_segment 0
		.amdhsa_system_sgpr_workgroup_id_x 1
		.amdhsa_system_sgpr_workgroup_id_y 0
		.amdhsa_system_sgpr_workgroup_id_z 0
		.amdhsa_system_sgpr_workgroup_info 0
		.amdhsa_system_vgpr_workitem_id 0
		.amdhsa_next_free_vgpr 19
		.amdhsa_next_free_sgpr 28
		.amdhsa_reserve_vcc 1
		.amdhsa_float_round_mode_32 0
		.amdhsa_float_round_mode_16_64 0
		.amdhsa_float_denorm_mode_32 3
		.amdhsa_float_denorm_mode_16_64 3
		.amdhsa_dx10_clamp 1
		.amdhsa_ieee_mode 1
		.amdhsa_fp16_overflow 0
		.amdhsa_workgroup_processor_mode 1
		.amdhsa_memory_ordered 1
		.amdhsa_forward_progress 0
		.amdhsa_shared_vgpr_count 0
		.amdhsa_exception_fp_ieee_invalid_op 0
		.amdhsa_exception_fp_denorm_src 0
		.amdhsa_exception_fp_ieee_div_zero 0
		.amdhsa_exception_fp_ieee_overflow 0
		.amdhsa_exception_fp_ieee_underflow 0
		.amdhsa_exception_fp_ieee_inexact 0
		.amdhsa_exception_int_div_zero 0
	.end_amdhsa_kernel
	.section	.text._ZN9rocsparseL23gebsrmvn_general_kernelILj64ELj16E21rocsparse_complex_numIfEEEvi20rocsparse_direction_NS_24const_host_device_scalarIT1_EEPKiS8_PKS5_iiSA_S6_PS5_21rocsparse_index_base_b,"axG",@progbits,_ZN9rocsparseL23gebsrmvn_general_kernelILj64ELj16E21rocsparse_complex_numIfEEEvi20rocsparse_direction_NS_24const_host_device_scalarIT1_EEPKiS8_PKS5_iiSA_S6_PS5_21rocsparse_index_base_b,comdat
.Lfunc_end109:
	.size	_ZN9rocsparseL23gebsrmvn_general_kernelILj64ELj16E21rocsparse_complex_numIfEEEvi20rocsparse_direction_NS_24const_host_device_scalarIT1_EEPKiS8_PKS5_iiSA_S6_PS5_21rocsparse_index_base_b, .Lfunc_end109-_ZN9rocsparseL23gebsrmvn_general_kernelILj64ELj16E21rocsparse_complex_numIfEEEvi20rocsparse_direction_NS_24const_host_device_scalarIT1_EEPKiS8_PKS5_iiSA_S6_PS5_21rocsparse_index_base_b
                                        ; -- End function
	.section	.AMDGPU.csdata,"",@progbits
; Kernel info:
; codeLenInByte = 1228
; NumSgprs: 30
; NumVgprs: 19
; ScratchSize: 0
; MemoryBound: 0
; FloatMode: 240
; IeeeMode: 1
; LDSByteSize: 0 bytes/workgroup (compile time only)
; SGPRBlocks: 3
; VGPRBlocks: 2
; NumSGPRsForWavesPerEU: 30
; NumVGPRsForWavesPerEU: 19
; Occupancy: 16
; WaveLimiterHint : 1
; COMPUTE_PGM_RSRC2:SCRATCH_EN: 0
; COMPUTE_PGM_RSRC2:USER_SGPR: 15
; COMPUTE_PGM_RSRC2:TRAP_HANDLER: 0
; COMPUTE_PGM_RSRC2:TGID_X_EN: 1
; COMPUTE_PGM_RSRC2:TGID_Y_EN: 0
; COMPUTE_PGM_RSRC2:TGID_Z_EN: 0
; COMPUTE_PGM_RSRC2:TIDIG_COMP_CNT: 0
	.section	.text._ZN9rocsparseL23gebsrmvn_general_kernelILj128ELj32E21rocsparse_complex_numIfEEEvi20rocsparse_direction_NS_24const_host_device_scalarIT1_EEPKiS8_PKS5_iiSA_S6_PS5_21rocsparse_index_base_b,"axG",@progbits,_ZN9rocsparseL23gebsrmvn_general_kernelILj128ELj32E21rocsparse_complex_numIfEEEvi20rocsparse_direction_NS_24const_host_device_scalarIT1_EEPKiS8_PKS5_iiSA_S6_PS5_21rocsparse_index_base_b,comdat
	.globl	_ZN9rocsparseL23gebsrmvn_general_kernelILj128ELj32E21rocsparse_complex_numIfEEEvi20rocsparse_direction_NS_24const_host_device_scalarIT1_EEPKiS8_PKS5_iiSA_S6_PS5_21rocsparse_index_base_b ; -- Begin function _ZN9rocsparseL23gebsrmvn_general_kernelILj128ELj32E21rocsparse_complex_numIfEEEvi20rocsparse_direction_NS_24const_host_device_scalarIT1_EEPKiS8_PKS5_iiSA_S6_PS5_21rocsparse_index_base_b
	.p2align	8
	.type	_ZN9rocsparseL23gebsrmvn_general_kernelILj128ELj32E21rocsparse_complex_numIfEEEvi20rocsparse_direction_NS_24const_host_device_scalarIT1_EEPKiS8_PKS5_iiSA_S6_PS5_21rocsparse_index_base_b,@function
_ZN9rocsparseL23gebsrmvn_general_kernelILj128ELj32E21rocsparse_complex_numIfEEEvi20rocsparse_direction_NS_24const_host_device_scalarIT1_EEPKiS8_PKS5_iiSA_S6_PS5_21rocsparse_index_base_b: ; @_ZN9rocsparseL23gebsrmvn_general_kernelILj128ELj32E21rocsparse_complex_numIfEEEvi20rocsparse_direction_NS_24const_host_device_scalarIT1_EEPKiS8_PKS5_iiSA_S6_PS5_21rocsparse_index_base_b
; %bb.0:
	s_clause 0x2
	s_load_b64 s[8:9], s[0:1], 0x48
	s_load_b64 s[4:5], s[0:1], 0x8
	;; [unrolled: 1-line block ×3, first 2 shown]
	s_mov_b32 s16, s15
	s_waitcnt lgkmcnt(0)
	s_bitcmp1_b32 s9, 0
	v_mov_b32_e32 v6, s4
	s_cselect_b32 s6, -1, 0
	s_delay_alu instid0(SALU_CYCLE_1)
	s_and_b32 vcc_lo, exec_lo, s6
	s_xor_b32 s6, s6, -1
	s_cbranch_vccz .LBB110_28
; %bb.1:
	v_cndmask_b32_e64 v1, 0, 1, s6
	v_mov_b32_e32 v7, s5
	s_and_not1_b32 vcc_lo, exec_lo, s6
	s_cbranch_vccz .LBB110_29
.LBB110_2:
	s_delay_alu instid0(VALU_DEP_2)
	v_cmp_ne_u32_e32 vcc_lo, 1, v1
	v_mov_b32_e32 v8, s2
	s_cbranch_vccz .LBB110_30
.LBB110_3:
	v_cmp_ne_u32_e32 vcc_lo, 1, v1
	v_mov_b32_e32 v9, s3
	s_cbranch_vccnz .LBB110_5
.LBB110_4:
	v_dual_mov_b32 v1, s2 :: v_dual_mov_b32 v2, s3
	flat_load_b32 v9, v[1:2] offset:4
.LBB110_5:
	s_waitcnt vmcnt(0) lgkmcnt(0)
	v_cmp_eq_f32_e32 vcc_lo, 0, v6
	v_cmp_eq_f32_e64 s2, 0, v7
	s_delay_alu instid0(VALU_DEP_1)
	s_and_b32 s4, vcc_lo, s2
	s_mov_b32 s2, -1
	s_and_saveexec_b32 s3, s4
; %bb.6:
	v_cmp_neq_f32_e32 vcc_lo, 1.0, v8
	v_cmp_neq_f32_e64 s2, 0, v9
	s_delay_alu instid0(VALU_DEP_1) | instskip(NEXT) | instid1(SALU_CYCLE_1)
	s_or_b32 s2, vcc_lo, s2
	s_or_not1_b32 s2, s2, exec_lo
; %bb.7:
	s_or_b32 exec_lo, exec_lo, s3
	s_and_saveexec_b32 s3, s2
	s_cbranch_execz .LBB110_27
; %bb.8:
	s_load_b64 s[10:11], s[0:1], 0x28
	v_lshrrev_b32_e32 v1, 5, v0
	s_waitcnt lgkmcnt(0)
	s_delay_alu instid0(VALU_DEP_1)
	v_cmp_gt_i32_e32 vcc_lo, s10, v1
	s_and_b32 exec_lo, exec_lo, vcc_lo
	s_cbranch_execz .LBB110_27
; %bb.9:
	s_clause 0x1
	s_load_b128 s[4:7], s[0:1], 0x10
	s_load_b32 s20, s[0:1], 0x4
	v_mbcnt_lo_u32_b32 v2, -1, 0
	s_ashr_i32 s17, s16, 31
	s_mov_b32 s9, 0
	s_lshl_b64 s[2:3], s[16:17], 2
	s_mul_i32 s16, s16, s10
	v_xor_b32_e32 v3, 16, v2
	v_xor_b32_e32 v4, 8, v2
	;; [unrolled: 1-line block ×5, first 2 shown]
	v_cmp_gt_i32_e32 vcc_lo, 32, v3
	v_and_b32_e32 v0, 31, v0
	s_mul_i32 s23, s11, s10
	v_cndmask_b32_e32 v3, v2, v3, vcc_lo
	v_cmp_gt_i32_e32 vcc_lo, 32, v4
	s_waitcnt lgkmcnt(0)
	s_add_u32 s2, s4, s2
	s_addc_u32 s3, s5, s3
	s_load_b64 s[2:3], s[2:3], 0x0
	s_clause 0x2
	s_load_b64 s[4:5], s[0:1], 0x20
	s_load_b64 s[12:13], s[0:1], 0x30
	s_load_b64 s[14:15], s[0:1], 0x40
	v_cndmask_b32_e32 v4, v2, v4, vcc_lo
	v_cmp_gt_i32_e32 vcc_lo, 32, v5
	v_cmp_gt_i32_e64 s0, s11, v0
	v_cmp_eq_u32_e64 s1, 31, v0
	v_cndmask_b32_e32 v5, v2, v5, vcc_lo
	v_cmp_gt_i32_e32 vcc_lo, 32, v10
	v_cndmask_b32_e32 v13, v2, v10, vcc_lo
	v_cmp_gt_i32_e32 vcc_lo, 32, v11
	v_lshlrev_b32_e32 v10, 2, v3
	v_lshlrev_b32_e32 v12, 2, v5
	s_waitcnt lgkmcnt(0)
	s_sub_i32 s17, s2, s8
	v_dual_cndmask_b32 v14, v2, v11 :: v_dual_lshlrev_b32 v13, 2, v13
	v_lshlrev_b32_e32 v11, 2, v4
	v_mad_u64_u32 v[2:3], null, s10, s17, v[1:2]
	s_sub_i32 s18, s3, s8
	s_cmp_lt_i32 s2, s3
	v_cmp_eq_f32_e32 vcc_lo, 0, v8
	v_cmp_eq_f32_e64 s2, 0, v9
	v_lshlrev_b32_e32 v14, 2, v14
	s_cselect_b32 s19, -1, 0
	s_delay_alu instid0(VALU_DEP_4)
	v_mul_lo_u32 v15, s11, v2
	s_cmp_lg_u32 s20, 0
	s_cselect_b32 s20, -1, 0
	s_and_b32 s21, vcc_lo, s2
	s_lshl_b32 s22, s11, 2
	s_branch .LBB110_11
.LBB110_10:                             ;   in Loop: Header=BB110_11 Depth=1
	s_or_b32 exec_lo, exec_lo, s2
	v_add_nc_u32_e32 v1, 4, v1
	v_add_nc_u32_e32 v15, s22, v15
	s_delay_alu instid0(VALU_DEP_2) | instskip(SKIP_1) | instid1(SALU_CYCLE_1)
	v_cmp_le_i32_e32 vcc_lo, s10, v1
	s_or_b32 s9, vcc_lo, s9
	s_and_not1_b32 exec_lo, exec_lo, s9
	s_cbranch_execz .LBB110_27
.LBB110_11:                             ; =>This Loop Header: Depth=1
                                        ;     Child Loop BB110_15 Depth 2
                                        ;       Child Loop BB110_18 Depth 3
	s_waitcnt lgkmcnt(0)
	v_dual_mov_b32 v4, 0 :: v_dual_mov_b32 v5, 0
	s_and_not1_b32 vcc_lo, exec_lo, s19
	s_cbranch_vccnz .LBB110_22
; %bb.12:                               ;   in Loop: Header=BB110_11 Depth=1
	v_dual_mov_b32 v4, 0 :: v_dual_mov_b32 v5, 0
	v_mov_b32_e32 v16, v15
	s_mov_b32 s2, s17
	s_branch .LBB110_15
.LBB110_13:                             ;   in Loop: Header=BB110_15 Depth=2
	s_set_inst_prefetch_distance 0x2
	s_or_b32 exec_lo, exec_lo, s25
.LBB110_14:                             ;   in Loop: Header=BB110_15 Depth=2
	s_delay_alu instid0(SALU_CYCLE_1) | instskip(SKIP_2) | instid1(SALU_CYCLE_1)
	s_or_b32 exec_lo, exec_lo, s24
	v_add_nc_u32_e32 v16, s23, v16
	s_add_i32 s2, s2, 1
	s_cmp_ge_i32 s2, s18
	s_cbranch_scc1 .LBB110_22
.LBB110_15:                             ;   Parent Loop BB110_11 Depth=1
                                        ; =>  This Loop Header: Depth=2
                                        ;       Child Loop BB110_18 Depth 3
	s_and_saveexec_b32 s24, s0
	s_cbranch_execz .LBB110_14
; %bb.16:                               ;   in Loop: Header=BB110_15 Depth=2
	s_ashr_i32 s3, s2, 31
	v_mov_b32_e32 v17, v0
	s_lshl_b64 s[26:27], s[2:3], 2
	s_mov_b32 s25, 0
	s_add_u32 s26, s6, s26
	s_addc_u32 s27, s7, s27
	s_load_b32 s3, s[26:27], 0x0
	s_waitcnt lgkmcnt(0)
	s_sub_i32 s26, s3, s8
	s_mul_i32 s3, s2, s11
	s_mul_i32 s26, s26, s11
	s_set_inst_prefetch_distance 0x1
	s_branch .LBB110_18
	.p2align	6
.LBB110_17:                             ;   in Loop: Header=BB110_18 Depth=3
	v_add_nc_u32_e32 v18, s26, v17
	s_delay_alu instid0(VALU_DEP_2) | instskip(NEXT) | instid1(VALU_DEP_2)
	v_ashrrev_i32_e32 v3, 31, v2
	v_ashrrev_i32_e32 v19, 31, v18
	s_delay_alu instid0(VALU_DEP_2) | instskip(NEXT) | instid1(VALU_DEP_2)
	v_lshlrev_b64 v[2:3], 3, v[2:3]
	v_lshlrev_b64 v[18:19], 3, v[18:19]
	s_delay_alu instid0(VALU_DEP_2) | instskip(NEXT) | instid1(VALU_DEP_3)
	v_add_co_u32 v2, vcc_lo, s4, v2
	v_add_co_ci_u32_e32 v3, vcc_lo, s5, v3, vcc_lo
	s_delay_alu instid0(VALU_DEP_3) | instskip(NEXT) | instid1(VALU_DEP_4)
	v_add_co_u32 v18, vcc_lo, s12, v18
	v_add_co_ci_u32_e32 v19, vcc_lo, s13, v19, vcc_lo
	global_load_b64 v[2:3], v[2:3], off
	global_load_b64 v[18:19], v[18:19], off
	s_waitcnt vmcnt(0)
	v_dual_fmac_f32 v4, v3, v18 :: v_dual_add_nc_u32 v17, 32, v17
	v_fmac_f32_e32 v5, v2, v18
	s_delay_alu instid0(VALU_DEP_2) | instskip(NEXT) | instid1(VALU_DEP_3)
	v_cmp_le_i32_e32 vcc_lo, s11, v17
	v_fmac_f32_e32 v4, v2, v19
	s_delay_alu instid0(VALU_DEP_3) | instskip(SKIP_1) | instid1(SALU_CYCLE_1)
	v_fma_f32 v5, -v3, v19, v5
	s_or_b32 s25, vcc_lo, s25
	s_and_not1_b32 exec_lo, exec_lo, s25
	s_cbranch_execz .LBB110_13
.LBB110_18:                             ;   Parent Loop BB110_11 Depth=1
                                        ;     Parent Loop BB110_15 Depth=2
                                        ; =>    This Inner Loop Header: Depth=3
	s_and_b32 vcc_lo, exec_lo, s20
	s_cbranch_vccz .LBB110_20
; %bb.19:                               ;   in Loop: Header=BB110_18 Depth=3
	v_add_nc_u32_e32 v18, s3, v17
	s_delay_alu instid0(VALU_DEP_1)
	v_mad_u64_u32 v[2:3], null, v18, s10, v[1:2]
	s_cbranch_execnz .LBB110_17
	s_branch .LBB110_21
.LBB110_20:                             ;   in Loop: Header=BB110_18 Depth=3
                                        ; implicit-def: $vgpr2
.LBB110_21:                             ;   in Loop: Header=BB110_18 Depth=3
	v_add_nc_u32_e32 v2, v16, v17
	s_branch .LBB110_17
.LBB110_22:                             ;   in Loop: Header=BB110_11 Depth=1
	ds_bpermute_b32 v2, v10, v5
	ds_bpermute_b32 v3, v10, v4
	s_waitcnt lgkmcnt(0)
	v_dual_add_f32 v2, v5, v2 :: v_dual_add_f32 v3, v4, v3
	ds_bpermute_b32 v4, v11, v2
	ds_bpermute_b32 v5, v11, v3
	s_waitcnt lgkmcnt(0)
	v_dual_add_f32 v2, v2, v4 :: v_dual_add_f32 v3, v3, v5
	;; [unrolled: 4-line block ×3, first 2 shown]
	ds_bpermute_b32 v4, v13, v2
	ds_bpermute_b32 v5, v13, v3
	s_waitcnt lgkmcnt(1)
	v_add_f32_e32 v2, v2, v4
	s_waitcnt lgkmcnt(0)
	v_add_f32_e32 v4, v3, v5
	ds_bpermute_b32 v3, v14, v2
	ds_bpermute_b32 v5, v14, v4
	s_and_saveexec_b32 s2, s1
	s_cbranch_execz .LBB110_10
; %bb.23:                               ;   in Loop: Header=BB110_11 Depth=1
	s_waitcnt lgkmcnt(0)
	v_dual_add_f32 v4, v4, v5 :: v_dual_add_f32 v5, v2, v3
	s_delay_alu instid0(VALU_DEP_1) | instskip(SKIP_1) | instid1(VALU_DEP_2)
	v_mul_f32_e64 v2, v4, -v7
	v_dual_mul_f32 v3, v4, v6 :: v_dual_add_nc_u32 v4, s16, v1
	v_fmac_f32_e32 v2, v6, v5
	s_delay_alu instid0(VALU_DEP_2) | instskip(NEXT) | instid1(VALU_DEP_3)
	v_fmac_f32_e32 v3, v7, v5
	v_ashrrev_i32_e32 v5, 31, v4
	s_and_saveexec_b32 s3, s21
	s_delay_alu instid0(SALU_CYCLE_1)
	s_xor_b32 s3, exec_lo, s3
	s_cbranch_execz .LBB110_25
; %bb.24:                               ;   in Loop: Header=BB110_11 Depth=1
	s_delay_alu instid0(VALU_DEP_1) | instskip(NEXT) | instid1(VALU_DEP_1)
	v_lshlrev_b64 v[4:5], 3, v[4:5]
	v_add_co_u32 v4, vcc_lo, s14, v4
	s_delay_alu instid0(VALU_DEP_2)
	v_add_co_ci_u32_e32 v5, vcc_lo, s15, v5, vcc_lo
	global_store_b64 v[4:5], v[2:3], off
                                        ; implicit-def: $vgpr4
                                        ; implicit-def: $vgpr2
.LBB110_25:                             ;   in Loop: Header=BB110_11 Depth=1
	s_and_not1_saveexec_b32 s3, s3
	s_cbranch_execz .LBB110_10
; %bb.26:                               ;   in Loop: Header=BB110_11 Depth=1
	v_lshlrev_b64 v[4:5], 3, v[4:5]
	s_delay_alu instid0(VALU_DEP_1) | instskip(NEXT) | instid1(VALU_DEP_2)
	v_add_co_u32 v4, vcc_lo, s14, v4
	v_add_co_ci_u32_e32 v5, vcc_lo, s15, v5, vcc_lo
	global_load_b64 v[16:17], v[4:5], off
	s_waitcnt vmcnt(0)
	v_fmac_f32_e32 v2, v8, v16
	v_fmac_f32_e32 v3, v9, v16
	s_delay_alu instid0(VALU_DEP_2) | instskip(NEXT) | instid1(VALU_DEP_2)
	v_fma_f32 v2, -v9, v17, v2
	v_fmac_f32_e32 v3, v8, v17
	global_store_b64 v[4:5], v[2:3], off
	s_branch .LBB110_10
.LBB110_27:
	s_nop 0
	s_sendmsg sendmsg(MSG_DEALLOC_VGPRS)
	s_endpgm
.LBB110_28:
	v_dual_mov_b32 v1, s4 :: v_dual_mov_b32 v2, s5
	flat_load_b32 v6, v[1:2]
	v_cndmask_b32_e64 v1, 0, 1, s6
	v_mov_b32_e32 v7, s5
	s_and_not1_b32 vcc_lo, exec_lo, s6
	s_cbranch_vccnz .LBB110_2
.LBB110_29:
	v_dual_mov_b32 v2, s4 :: v_dual_mov_b32 v3, s5
	flat_load_b32 v7, v[2:3] offset:4
	v_cmp_ne_u32_e32 vcc_lo, 1, v1
	v_mov_b32_e32 v8, s2
	s_cbranch_vccnz .LBB110_3
.LBB110_30:
	v_dual_mov_b32 v2, s2 :: v_dual_mov_b32 v3, s3
	flat_load_b32 v8, v[2:3]
	v_cmp_ne_u32_e32 vcc_lo, 1, v1
	v_mov_b32_e32 v9, s3
	s_cbranch_vccz .LBB110_4
	s_branch .LBB110_5
	.section	.rodata,"a",@progbits
	.p2align	6, 0x0
	.amdhsa_kernel _ZN9rocsparseL23gebsrmvn_general_kernelILj128ELj32E21rocsparse_complex_numIfEEEvi20rocsparse_direction_NS_24const_host_device_scalarIT1_EEPKiS8_PKS5_iiSA_S6_PS5_21rocsparse_index_base_b
		.amdhsa_group_segment_fixed_size 0
		.amdhsa_private_segment_fixed_size 0
		.amdhsa_kernarg_size 80
		.amdhsa_user_sgpr_count 15
		.amdhsa_user_sgpr_dispatch_ptr 0
		.amdhsa_user_sgpr_queue_ptr 0
		.amdhsa_user_sgpr_kernarg_segment_ptr 1
		.amdhsa_user_sgpr_dispatch_id 0
		.amdhsa_user_sgpr_private_segment_size 0
		.amdhsa_wavefront_size32 1
		.amdhsa_uses_dynamic_stack 0
		.amdhsa_enable_private_segment 0
		.amdhsa_system_sgpr_workgroup_id_x 1
		.amdhsa_system_sgpr_workgroup_id_y 0
		.amdhsa_system_sgpr_workgroup_id_z 0
		.amdhsa_system_sgpr_workgroup_info 0
		.amdhsa_system_vgpr_workitem_id 0
		.amdhsa_next_free_vgpr 20
		.amdhsa_next_free_sgpr 28
		.amdhsa_reserve_vcc 1
		.amdhsa_float_round_mode_32 0
		.amdhsa_float_round_mode_16_64 0
		.amdhsa_float_denorm_mode_32 3
		.amdhsa_float_denorm_mode_16_64 3
		.amdhsa_dx10_clamp 1
		.amdhsa_ieee_mode 1
		.amdhsa_fp16_overflow 0
		.amdhsa_workgroup_processor_mode 1
		.amdhsa_memory_ordered 1
		.amdhsa_forward_progress 0
		.amdhsa_shared_vgpr_count 0
		.amdhsa_exception_fp_ieee_invalid_op 0
		.amdhsa_exception_fp_denorm_src 0
		.amdhsa_exception_fp_ieee_div_zero 0
		.amdhsa_exception_fp_ieee_overflow 0
		.amdhsa_exception_fp_ieee_underflow 0
		.amdhsa_exception_fp_ieee_inexact 0
		.amdhsa_exception_int_div_zero 0
	.end_amdhsa_kernel
	.section	.text._ZN9rocsparseL23gebsrmvn_general_kernelILj128ELj32E21rocsparse_complex_numIfEEEvi20rocsparse_direction_NS_24const_host_device_scalarIT1_EEPKiS8_PKS5_iiSA_S6_PS5_21rocsparse_index_base_b,"axG",@progbits,_ZN9rocsparseL23gebsrmvn_general_kernelILj128ELj32E21rocsparse_complex_numIfEEEvi20rocsparse_direction_NS_24const_host_device_scalarIT1_EEPKiS8_PKS5_iiSA_S6_PS5_21rocsparse_index_base_b,comdat
.Lfunc_end110:
	.size	_ZN9rocsparseL23gebsrmvn_general_kernelILj128ELj32E21rocsparse_complex_numIfEEEvi20rocsparse_direction_NS_24const_host_device_scalarIT1_EEPKiS8_PKS5_iiSA_S6_PS5_21rocsparse_index_base_b, .Lfunc_end110-_ZN9rocsparseL23gebsrmvn_general_kernelILj128ELj32E21rocsparse_complex_numIfEEEvi20rocsparse_direction_NS_24const_host_device_scalarIT1_EEPKiS8_PKS5_iiSA_S6_PS5_21rocsparse_index_base_b
                                        ; -- End function
	.section	.AMDGPU.csdata,"",@progbits
; Kernel info:
; codeLenInByte = 1268
; NumSgprs: 30
; NumVgprs: 20
; ScratchSize: 0
; MemoryBound: 0
; FloatMode: 240
; IeeeMode: 1
; LDSByteSize: 0 bytes/workgroup (compile time only)
; SGPRBlocks: 3
; VGPRBlocks: 2
; NumSGPRsForWavesPerEU: 30
; NumVGPRsForWavesPerEU: 20
; Occupancy: 16
; WaveLimiterHint : 1
; COMPUTE_PGM_RSRC2:SCRATCH_EN: 0
; COMPUTE_PGM_RSRC2:USER_SGPR: 15
; COMPUTE_PGM_RSRC2:TRAP_HANDLER: 0
; COMPUTE_PGM_RSRC2:TGID_X_EN: 1
; COMPUTE_PGM_RSRC2:TGID_Y_EN: 0
; COMPUTE_PGM_RSRC2:TGID_Z_EN: 0
; COMPUTE_PGM_RSRC2:TIDIG_COMP_CNT: 0
	.section	.text._ZN9rocsparseL19gebsrmvn_4xn_kernelILj128ELj1ELj4E21rocsparse_complex_numIdEEEvi20rocsparse_direction_NS_24const_host_device_scalarIT2_EEPKiS8_PKS5_SA_S6_PS5_21rocsparse_index_base_b,"axG",@progbits,_ZN9rocsparseL19gebsrmvn_4xn_kernelILj128ELj1ELj4E21rocsparse_complex_numIdEEEvi20rocsparse_direction_NS_24const_host_device_scalarIT2_EEPKiS8_PKS5_SA_S6_PS5_21rocsparse_index_base_b,comdat
	.globl	_ZN9rocsparseL19gebsrmvn_4xn_kernelILj128ELj1ELj4E21rocsparse_complex_numIdEEEvi20rocsparse_direction_NS_24const_host_device_scalarIT2_EEPKiS8_PKS5_SA_S6_PS5_21rocsparse_index_base_b ; -- Begin function _ZN9rocsparseL19gebsrmvn_4xn_kernelILj128ELj1ELj4E21rocsparse_complex_numIdEEEvi20rocsparse_direction_NS_24const_host_device_scalarIT2_EEPKiS8_PKS5_SA_S6_PS5_21rocsparse_index_base_b
	.p2align	8
	.type	_ZN9rocsparseL19gebsrmvn_4xn_kernelILj128ELj1ELj4E21rocsparse_complex_numIdEEEvi20rocsparse_direction_NS_24const_host_device_scalarIT2_EEPKiS8_PKS5_SA_S6_PS5_21rocsparse_index_base_b,@function
_ZN9rocsparseL19gebsrmvn_4xn_kernelILj128ELj1ELj4E21rocsparse_complex_numIdEEEvi20rocsparse_direction_NS_24const_host_device_scalarIT2_EEPKiS8_PKS5_SA_S6_PS5_21rocsparse_index_base_b: ; @_ZN9rocsparseL19gebsrmvn_4xn_kernelILj128ELj1ELj4E21rocsparse_complex_numIdEEEvi20rocsparse_direction_NS_24const_host_device_scalarIT2_EEPKiS8_PKS5_SA_S6_PS5_21rocsparse_index_base_b
; %bb.0:
	s_load_b64 s[12:13], s[2:3], 0x50
	s_load_b64 s[16:17], s[0:1], 0x4
	s_load_b128 s[8:11], s[2:3], 0x8
	v_bfe_u32 v1, v0, 10, 10
	s_mov_b64 s[0:1], src_shared_base
	s_load_b128 s[4:7], s[2:3], 0x38
	v_and_b32_e32 v10, 0x3ff, v0
	v_bfe_u32 v0, v0, 20, 10
	s_waitcnt lgkmcnt(0)
	s_bitcmp1_b32 s13, 0
	v_mul_u32_u24_e32 v1, s17, v1
	s_cselect_b32 s0, -1, 0
	s_delay_alu instid0(SALU_CYCLE_1)
	s_and_b32 vcc_lo, s0, exec_lo
	s_cselect_b32 s13, s1, s9
	s_lshr_b32 s14, s16, 16
	v_dual_mov_b32 v2, s4 :: v_dual_mov_b32 v3, s5
	s_mul_i32 s14, s14, s17
	v_mov_b32_e32 v6, s13
	v_mad_u32_u24 v1, s14, v10, v1
	s_delay_alu instid0(VALU_DEP_1) | instskip(SKIP_1) | instid1(VALU_DEP_2)
	v_add_lshl_u32 v4, v1, v0, 3
	v_dual_mov_b32 v0, s8 :: v_dual_mov_b32 v1, s9
	v_add_nc_u32_e32 v5, 0x400, v4
	ds_store_2addr_stride64_b64 v4, v[2:3], v[0:1] offset1:2
	v_dual_mov_b32 v2, s10 :: v_dual_mov_b32 v3, s11
	v_cndmask_b32_e64 v5, s8, v5, s0
	s_xor_b32 s10, s0, -1
	flat_load_b64 v[0:1], v[5:6]
	s_cbranch_vccnz .LBB111_2
; %bb.1:
	v_dual_mov_b32 v2, s8 :: v_dual_mov_b32 v3, s9
	flat_load_b64 v[2:3], v[2:3] offset:8
.LBB111_2:
	s_and_b32 s8, s0, exec_lo
	s_cselect_b32 s1, s1, s5
	v_cndmask_b32_e64 v4, s4, v4, s0
	v_dual_mov_b32 v5, s1 :: v_dual_mov_b32 v6, s6
	v_mov_b32_e32 v7, s7
	s_and_not1_b32 vcc_lo, exec_lo, s10
	flat_load_b64 v[4:5], v[4:5]
	s_cbranch_vccnz .LBB111_4
; %bb.3:
	v_dual_mov_b32 v7, s5 :: v_dual_mov_b32 v6, s4
	flat_load_b64 v[6:7], v[6:7] offset:8
.LBB111_4:
	s_waitcnt vmcnt(1) lgkmcnt(1)
	v_cmp_eq_f64_e32 vcc_lo, 0, v[0:1]
	v_cmp_eq_f64_e64 s0, 0, v[2:3]
	s_delay_alu instid0(VALU_DEP_1)
	s_and_b32 s4, vcc_lo, s0
	s_mov_b32 s0, -1
	s_and_saveexec_b32 s1, s4
	s_cbranch_execz .LBB111_6
; %bb.5:
	s_waitcnt vmcnt(0) lgkmcnt(0)
	v_cmp_neq_f64_e32 vcc_lo, 1.0, v[4:5]
	v_cmp_neq_f64_e64 s0, 0, v[6:7]
	s_delay_alu instid0(VALU_DEP_1) | instskip(NEXT) | instid1(SALU_CYCLE_1)
	s_or_b32 s0, vcc_lo, s0
	s_or_not1_b32 s0, s0, exec_lo
.LBB111_6:
	s_or_b32 exec_lo, exec_lo, s1
	s_and_saveexec_b32 s1, s0
	s_cbranch_execz .LBB111_25
; %bb.7:
	s_load_b64 s[0:1], s[2:3], 0x0
	v_lshrrev_b32_e32 v8, 2, v10
	s_delay_alu instid0(VALU_DEP_1) | instskip(SKIP_1) | instid1(VALU_DEP_1)
	v_lshl_or_b32 v8, s15, 5, v8
	s_waitcnt lgkmcnt(0)
	v_cmp_gt_i32_e32 vcc_lo, s0, v8
	s_and_b32 exec_lo, exec_lo, vcc_lo
	s_cbranch_execz .LBB111_25
; %bb.8:
	s_load_b256 s[4:11], s[2:3], 0x18
	v_ashrrev_i32_e32 v9, 31, v8
	v_and_b32_e32 v41, 3, v10
	s_cmp_lg_u32 s1, 0
	s_delay_alu instid0(VALU_DEP_2) | instskip(SKIP_1) | instid1(VALU_DEP_1)
	v_lshlrev_b64 v[11:12], 2, v[8:9]
	s_waitcnt lgkmcnt(0)
	v_add_co_u32 v11, vcc_lo, s4, v11
	s_delay_alu instid0(VALU_DEP_2) | instskip(SKIP_4) | instid1(VALU_DEP_2)
	v_add_co_ci_u32_e32 v12, vcc_lo, s5, v12, vcc_lo
	global_load_b64 v[11:12], v[11:12], off
	s_waitcnt vmcnt(0)
	v_subrev_nc_u32_e32 v9, s12, v11
	v_subrev_nc_u32_e32 v30, s12, v12
	v_add_nc_u32_e32 v25, v9, v41
	s_delay_alu instid0(VALU_DEP_1)
	v_cmp_lt_i32_e64 s0, v25, v30
	s_cbranch_scc0 .LBB111_14
; %bb.9:
	v_mov_b32_e32 v9, 0
	v_mov_b32_e32 v10, 0
	s_delay_alu instid0(VALU_DEP_1)
	v_dual_mov_b32 v16, v10 :: v_dual_mov_b32 v15, v9
	v_dual_mov_b32 v12, v10 :: v_dual_mov_b32 v11, v9
	;; [unrolled: 1-line block ×7, first 2 shown]
	s_and_saveexec_b32 s1, s0
	s_cbranch_execz .LBB111_13
; %bb.10:
	v_dual_mov_b32 v9, 0 :: v_dual_lshlrev_b32 v26, 2, v25
	v_dual_mov_b32 v10, 0 :: v_dual_mov_b32 v27, 0
	v_mov_b32_e32 v28, v25
	s_mov_b32 s4, 0
	s_delay_alu instid0(VALU_DEP_2)
	v_dual_mov_b32 v16, v10 :: v_dual_mov_b32 v15, v9
	v_dual_mov_b32 v12, v10 :: v_dual_mov_b32 v11, v9
	;; [unrolled: 1-line block ×7, first 2 shown]
.LBB111_11:                             ; =>This Inner Loop Header: Depth=1
	v_ashrrev_i32_e32 v29, 31, v28
	v_mov_b32_e32 v40, v27
	s_delay_alu instid0(VALU_DEP_2) | instskip(SKIP_1) | instid1(VALU_DEP_2)
	v_lshlrev_b64 v[31:32], 2, v[28:29]
	v_add_nc_u32_e32 v28, 4, v28
	v_add_co_u32 v31, vcc_lo, s6, v31
	s_delay_alu instid0(VALU_DEP_3) | instskip(SKIP_3) | instid1(VALU_DEP_2)
	v_add_co_ci_u32_e32 v32, vcc_lo, s7, v32, vcc_lo
	global_load_b32 v29, v[31:32], off
	v_lshlrev_b64 v[31:32], 4, v[26:27]
	v_add_nc_u32_e32 v26, 16, v26
	v_add_co_u32 v46, vcc_lo, s8, v31
	s_delay_alu instid0(VALU_DEP_3)
	v_add_co_ci_u32_e32 v47, vcc_lo, s9, v32, vcc_lo
	s_clause 0x3
	global_load_b128 v[31:34], v[46:47], off offset:48
	global_load_b128 v[35:38], v[46:47], off offset:32
	;; [unrolled: 1-line block ×3, first 2 shown]
	global_load_b128 v[46:49], v[46:47], off
	s_waitcnt vmcnt(4)
	v_subrev_nc_u32_e32 v39, s12, v29
	s_delay_alu instid0(VALU_DEP_1) | instskip(NEXT) | instid1(VALU_DEP_1)
	v_lshlrev_b64 v[39:40], 4, v[39:40]
	v_add_co_u32 v39, vcc_lo, s10, v39
	s_delay_alu instid0(VALU_DEP_2)
	v_add_co_ci_u32_e32 v40, vcc_lo, s11, v40, vcc_lo
	v_cmp_ge_i32_e32 vcc_lo, v28, v30
	global_load_b128 v[50:53], v[39:40], off
	s_or_b32 s4, vcc_lo, s4
	s_waitcnt vmcnt(0)
	v_fma_f64 v[15:16], v[46:47], v[50:51], v[15:16]
	v_fma_f64 v[9:10], v[48:49], v[50:51], v[9:10]
	;; [unrolled: 1-line block ×8, first 2 shown]
	v_fma_f64 v[15:16], -v[48:49], v[52:53], v[15:16]
	v_fma_f64 v[9:10], v[46:47], v[52:53], v[9:10]
	v_fma_f64 v[21:22], -v[44:45], v[52:53], v[21:22]
	v_fma_f64 v[23:24], v[42:43], v[52:53], v[23:24]
	;; [unrolled: 2-line block ×4, first 2 shown]
	s_and_not1_b32 exec_lo, exec_lo, s4
	s_cbranch_execnz .LBB111_11
; %bb.12:
	s_or_b32 exec_lo, exec_lo, s4
.LBB111_13:
	s_delay_alu instid0(SALU_CYCLE_1)
	s_or_b32 exec_lo, exec_lo, s1
	s_cbranch_execz .LBB111_15
	s_branch .LBB111_20
.LBB111_14:
                                        ; implicit-def: $vgpr9_vgpr10
                                        ; implicit-def: $vgpr15_vgpr16
                                        ; implicit-def: $vgpr11_vgpr12
                                        ; implicit-def: $vgpr13_vgpr14
                                        ; implicit-def: $vgpr17_vgpr18
                                        ; implicit-def: $vgpr19_vgpr20
                                        ; implicit-def: $vgpr21_vgpr22
                                        ; implicit-def: $vgpr23_vgpr24
.LBB111_15:
	v_mov_b32_e32 v9, 0
	v_mov_b32_e32 v10, 0
	s_delay_alu instid0(VALU_DEP_1)
	v_dual_mov_b32 v16, v10 :: v_dual_mov_b32 v15, v9
	v_dual_mov_b32 v12, v10 :: v_dual_mov_b32 v11, v9
	;; [unrolled: 1-line block ×7, first 2 shown]
	s_and_saveexec_b32 s1, s0
	s_cbranch_execz .LBB111_19
; %bb.16:
	v_dual_mov_b32 v9, 0 :: v_dual_mov_b32 v28, 0
	v_dual_mov_b32 v10, 0 :: v_dual_lshlrev_b32 v27, 2, v25
	s_mov_b32 s0, 0
	s_delay_alu instid0(VALU_DEP_1)
	v_dual_mov_b32 v16, v10 :: v_dual_mov_b32 v15, v9
	v_dual_mov_b32 v12, v10 :: v_dual_mov_b32 v11, v9
	;; [unrolled: 1-line block ×7, first 2 shown]
.LBB111_17:                             ; =>This Inner Loop Header: Depth=1
	v_ashrrev_i32_e32 v26, 31, v25
	v_mov_b32_e32 v40, v28
	s_delay_alu instid0(VALU_DEP_2) | instskip(SKIP_1) | instid1(VALU_DEP_2)
	v_lshlrev_b64 v[31:32], 2, v[25:26]
	v_add_nc_u32_e32 v25, 4, v25
	v_add_co_u32 v31, vcc_lo, s6, v31
	s_delay_alu instid0(VALU_DEP_3) | instskip(SKIP_3) | instid1(VALU_DEP_2)
	v_add_co_ci_u32_e32 v32, vcc_lo, s7, v32, vcc_lo
	global_load_b32 v26, v[31:32], off
	v_lshlrev_b64 v[31:32], 4, v[27:28]
	v_add_nc_u32_e32 v27, 16, v27
	v_add_co_u32 v46, vcc_lo, s8, v31
	s_delay_alu instid0(VALU_DEP_3)
	v_add_co_ci_u32_e32 v47, vcc_lo, s9, v32, vcc_lo
	s_clause 0x3
	global_load_b128 v[31:34], v[46:47], off offset:48
	global_load_b128 v[35:38], v[46:47], off offset:32
	;; [unrolled: 1-line block ×3, first 2 shown]
	global_load_b128 v[46:49], v[46:47], off
	s_waitcnt vmcnt(4)
	v_subrev_nc_u32_e32 v39, s12, v26
	s_delay_alu instid0(VALU_DEP_1) | instskip(NEXT) | instid1(VALU_DEP_1)
	v_lshlrev_b64 v[39:40], 4, v[39:40]
	v_add_co_u32 v39, vcc_lo, s10, v39
	s_delay_alu instid0(VALU_DEP_2)
	v_add_co_ci_u32_e32 v40, vcc_lo, s11, v40, vcc_lo
	v_cmp_ge_i32_e32 vcc_lo, v25, v30
	global_load_b128 v[50:53], v[39:40], off
	s_or_b32 s0, vcc_lo, s0
	s_waitcnt vmcnt(0)
	v_fma_f64 v[15:16], v[46:47], v[50:51], v[15:16]
	v_fma_f64 v[9:10], v[48:49], v[50:51], v[9:10]
	v_fma_f64 v[21:22], v[42:43], v[50:51], v[21:22]
	v_fma_f64 v[23:24], v[44:45], v[50:51], v[23:24]
	v_fma_f64 v[17:18], v[35:36], v[50:51], v[17:18]
	v_fma_f64 v[19:20], v[37:38], v[50:51], v[19:20]
	v_fma_f64 v[11:12], v[31:32], v[50:51], v[11:12]
	v_fma_f64 v[13:14], v[33:34], v[50:51], v[13:14]
	v_fma_f64 v[15:16], -v[48:49], v[52:53], v[15:16]
	v_fma_f64 v[9:10], v[46:47], v[52:53], v[9:10]
	v_fma_f64 v[21:22], -v[44:45], v[52:53], v[21:22]
	v_fma_f64 v[23:24], v[42:43], v[52:53], v[23:24]
	;; [unrolled: 2-line block ×4, first 2 shown]
	s_and_not1_b32 exec_lo, exec_lo, s0
	s_cbranch_execnz .LBB111_17
; %bb.18:
	s_or_b32 exec_lo, exec_lo, s0
.LBB111_19:
	s_delay_alu instid0(SALU_CYCLE_1)
	s_or_b32 exec_lo, exec_lo, s1
.LBB111_20:
	v_mbcnt_lo_u32_b32 v46, -1, 0
	s_delay_alu instid0(VALU_DEP_1) | instskip(NEXT) | instid1(VALU_DEP_1)
	v_xor_b32_e32 v25, 2, v46
	v_cmp_gt_i32_e32 vcc_lo, 32, v25
	v_cndmask_b32_e32 v25, v46, v25, vcc_lo
	s_delay_alu instid0(VALU_DEP_1)
	v_lshlrev_b32_e32 v29, 2, v25
	ds_bpermute_b32 v25, v29, v15
	ds_bpermute_b32 v26, v29, v16
	;; [unrolled: 1-line block ×16, first 2 shown]
	s_waitcnt lgkmcnt(14)
	v_add_f64 v[31:32], v[15:16], v[25:26]
	s_waitcnt lgkmcnt(12)
	v_add_f64 v[29:30], v[9:10], v[27:28]
	v_xor_b32_e32 v9, 1, v46
	s_waitcnt lgkmcnt(10)
	v_add_f64 v[27:28], v[21:22], v[33:34]
	s_waitcnt lgkmcnt(8)
	v_add_f64 v[21:22], v[23:24], v[35:36]
	;; [unrolled: 2-line block ×3, first 2 shown]
	v_cmp_gt_i32_e32 vcc_lo, 32, v9
	s_waitcnt lgkmcnt(4)
	v_add_f64 v[19:20], v[19:20], v[39:40]
	s_waitcnt lgkmcnt(2)
	v_add_f64 v[15:16], v[11:12], v[42:43]
	;; [unrolled: 2-line block ×3, first 2 shown]
	v_cndmask_b32_e32 v9, v46, v9, vcc_lo
	v_cmp_eq_u32_e32 vcc_lo, 3, v41
	s_delay_alu instid0(VALU_DEP_2)
	v_lshlrev_b32_e32 v36, 2, v9
	ds_bpermute_b32 v9, v36, v31
	ds_bpermute_b32 v10, v36, v32
	;; [unrolled: 1-line block ×16, first 2 shown]
	s_and_b32 exec_lo, exec_lo, vcc_lo
	s_cbranch_execz .LBB111_25
; %bb.21:
	v_cmp_eq_f64_e32 vcc_lo, 0, v[4:5]
	v_cmp_eq_f64_e64 s0, 0, v[6:7]
	s_waitcnt lgkmcnt(14)
	v_add_f64 v[9:10], v[31:32], v[9:10]
	s_waitcnt lgkmcnt(12)
	v_add_f64 v[23:24], v[29:30], v[23:24]
	s_waitcnt lgkmcnt(10)
	v_add_f64 v[11:12], v[27:28], v[11:12]
	s_waitcnt lgkmcnt(8)
	v_add_f64 v[21:22], v[21:22], v[39:40]
	s_waitcnt lgkmcnt(6)
	v_add_f64 v[13:14], v[25:26], v[13:14]
	s_waitcnt lgkmcnt(4)
	v_add_f64 v[19:20], v[19:20], v[37:38]
	s_waitcnt lgkmcnt(2)
	v_add_f64 v[15:16], v[15:16], v[33:34]
	s_waitcnt lgkmcnt(0)
	v_add_f64 v[17:18], v[17:18], v[35:36]
	s_load_b64 s[2:3], s[2:3], 0x48
	s_and_b32 s0, vcc_lo, s0
	s_delay_alu instid0(SALU_CYCLE_1) | instskip(NEXT) | instid1(SALU_CYCLE_1)
	s_and_saveexec_b32 s1, s0
	s_xor_b32 s0, exec_lo, s1
	s_cbranch_execz .LBB111_23
; %bb.22:
	v_mul_f64 v[4:5], v[23:24], -v[2:3]
	v_mul_f64 v[6:7], v[0:1], v[23:24]
	v_mul_f64 v[23:24], v[21:22], -v[2:3]
	v_mul_f64 v[21:22], v[0:1], v[21:22]
	;; [unrolled: 2-line block ×4, first 2 shown]
	v_fma_f64 v[4:5], v[0:1], v[9:10], v[4:5]
	v_fma_f64 v[6:7], v[2:3], v[9:10], v[6:7]
	;; [unrolled: 1-line block ×8, first 2 shown]
	v_lshlrev_b32_e32 v13, 2, v8
                                        ; implicit-def: $vgpr8
                                        ; implicit-def: $vgpr23_vgpr24
                                        ; implicit-def: $vgpr21_vgpr22
                                        ; implicit-def: $vgpr15_vgpr16
	s_delay_alu instid0(VALU_DEP_1) | instskip(NEXT) | instid1(VALU_DEP_1)
	v_ashrrev_i32_e32 v14, 31, v13
	v_lshlrev_b64 v[13:14], 4, v[13:14]
	s_waitcnt lgkmcnt(0)
	s_delay_alu instid0(VALU_DEP_1) | instskip(NEXT) | instid1(VALU_DEP_2)
	v_add_co_u32 v13, vcc_lo, s2, v13
	v_add_co_ci_u32_e32 v14, vcc_lo, s3, v14, vcc_lo
	s_clause 0x3
	global_store_b128 v[13:14], v[4:7], off
	global_store_b128 v[13:14], v[9:12], off offset:16
	global_store_b128 v[13:14], v[17:20], off offset:32
	;; [unrolled: 1-line block ×3, first 2 shown]
                                        ; implicit-def: $vgpr0_vgpr1
                                        ; implicit-def: $vgpr2_vgpr3
                                        ; implicit-def: $vgpr4_vgpr5
                                        ; implicit-def: $vgpr6_vgpr7
                                        ; implicit-def: $vgpr9_vgpr10
                                        ; implicit-def: $vgpr11_vgpr12
                                        ; implicit-def: $vgpr13_vgpr14
                                        ; implicit-def: $vgpr19_vgpr20
                                        ; implicit-def: $vgpr17_vgpr18
.LBB111_23:
	s_and_not1_saveexec_b32 s0, s0
	s_cbranch_execz .LBB111_25
; %bb.24:
	v_lshlrev_b32_e32 v25, 2, v8
	v_mul_f64 v[43:44], v[23:24], -v[2:3]
	v_mul_f64 v[23:24], v[0:1], v[23:24]
	v_mul_f64 v[45:46], v[21:22], -v[2:3]
	v_mul_f64 v[21:22], v[0:1], v[21:22]
	v_ashrrev_i32_e32 v26, 31, v25
	v_mul_f64 v[47:48], v[19:20], -v[2:3]
	v_mul_f64 v[19:20], v[0:1], v[19:20]
	v_mul_f64 v[49:50], v[17:18], -v[2:3]
	v_mul_f64 v[17:18], v[0:1], v[17:18]
	v_lshlrev_b64 v[25:26], 4, v[25:26]
	s_waitcnt lgkmcnt(0)
	s_delay_alu instid0(VALU_DEP_1) | instskip(NEXT) | instid1(VALU_DEP_2)
	v_add_co_u32 v41, vcc_lo, s2, v25
	v_add_co_ci_u32_e32 v42, vcc_lo, s3, v26, vcc_lo
	s_clause 0x3
	global_load_b128 v[25:28], v[41:42], off
	global_load_b128 v[29:32], v[41:42], off offset:16
	global_load_b128 v[33:36], v[41:42], off offset:32
	;; [unrolled: 1-line block ×3, first 2 shown]
	v_fma_f64 v[43:44], v[0:1], v[9:10], v[43:44]
	v_fma_f64 v[8:9], v[2:3], v[9:10], v[23:24]
	;; [unrolled: 1-line block ×8, first 2 shown]
	s_waitcnt vmcnt(3)
	v_fma_f64 v[14:15], v[4:5], v[25:26], v[43:44]
	v_fma_f64 v[8:9], v[6:7], v[25:26], v[8:9]
	s_waitcnt vmcnt(2)
	v_fma_f64 v[16:17], v[4:5], v[29:30], v[23:24]
	v_fma_f64 v[10:11], v[6:7], v[29:30], v[10:11]
	;; [unrolled: 3-line block ×4, first 2 shown]
	v_fma_f64 v[0:1], -v[6:7], v[27:28], v[14:15]
	v_fma_f64 v[2:3], v[4:5], v[27:28], v[8:9]
	v_fma_f64 v[8:9], -v[6:7], v[31:32], v[16:17]
	v_fma_f64 v[10:11], v[4:5], v[31:32], v[10:11]
	;; [unrolled: 2-line block ×4, first 2 shown]
	s_clause 0x3
	global_store_b128 v[41:42], v[0:3], off
	global_store_b128 v[41:42], v[8:11], off offset:16
	global_store_b128 v[41:42], v[12:15], off offset:32
	;; [unrolled: 1-line block ×3, first 2 shown]
.LBB111_25:
	s_nop 0
	s_sendmsg sendmsg(MSG_DEALLOC_VGPRS)
	s_endpgm
	.section	.rodata,"a",@progbits
	.p2align	6, 0x0
	.amdhsa_kernel _ZN9rocsparseL19gebsrmvn_4xn_kernelILj128ELj1ELj4E21rocsparse_complex_numIdEEEvi20rocsparse_direction_NS_24const_host_device_scalarIT2_EEPKiS8_PKS5_SA_S6_PS5_21rocsparse_index_base_b
		.amdhsa_group_segment_fixed_size 2048
		.amdhsa_private_segment_fixed_size 0
		.amdhsa_kernarg_size 88
		.amdhsa_user_sgpr_count 15
		.amdhsa_user_sgpr_dispatch_ptr 1
		.amdhsa_user_sgpr_queue_ptr 0
		.amdhsa_user_sgpr_kernarg_segment_ptr 1
		.amdhsa_user_sgpr_dispatch_id 0
		.amdhsa_user_sgpr_private_segment_size 0
		.amdhsa_wavefront_size32 1
		.amdhsa_uses_dynamic_stack 0
		.amdhsa_enable_private_segment 0
		.amdhsa_system_sgpr_workgroup_id_x 1
		.amdhsa_system_sgpr_workgroup_id_y 0
		.amdhsa_system_sgpr_workgroup_id_z 0
		.amdhsa_system_sgpr_workgroup_info 0
		.amdhsa_system_vgpr_workitem_id 2
		.amdhsa_next_free_vgpr 54
		.amdhsa_next_free_sgpr 18
		.amdhsa_reserve_vcc 1
		.amdhsa_float_round_mode_32 0
		.amdhsa_float_round_mode_16_64 0
		.amdhsa_float_denorm_mode_32 3
		.amdhsa_float_denorm_mode_16_64 3
		.amdhsa_dx10_clamp 1
		.amdhsa_ieee_mode 1
		.amdhsa_fp16_overflow 0
		.amdhsa_workgroup_processor_mode 1
		.amdhsa_memory_ordered 1
		.amdhsa_forward_progress 0
		.amdhsa_shared_vgpr_count 0
		.amdhsa_exception_fp_ieee_invalid_op 0
		.amdhsa_exception_fp_denorm_src 0
		.amdhsa_exception_fp_ieee_div_zero 0
		.amdhsa_exception_fp_ieee_overflow 0
		.amdhsa_exception_fp_ieee_underflow 0
		.amdhsa_exception_fp_ieee_inexact 0
		.amdhsa_exception_int_div_zero 0
	.end_amdhsa_kernel
	.section	.text._ZN9rocsparseL19gebsrmvn_4xn_kernelILj128ELj1ELj4E21rocsparse_complex_numIdEEEvi20rocsparse_direction_NS_24const_host_device_scalarIT2_EEPKiS8_PKS5_SA_S6_PS5_21rocsparse_index_base_b,"axG",@progbits,_ZN9rocsparseL19gebsrmvn_4xn_kernelILj128ELj1ELj4E21rocsparse_complex_numIdEEEvi20rocsparse_direction_NS_24const_host_device_scalarIT2_EEPKiS8_PKS5_SA_S6_PS5_21rocsparse_index_base_b,comdat
.Lfunc_end111:
	.size	_ZN9rocsparseL19gebsrmvn_4xn_kernelILj128ELj1ELj4E21rocsparse_complex_numIdEEEvi20rocsparse_direction_NS_24const_host_device_scalarIT2_EEPKiS8_PKS5_SA_S6_PS5_21rocsparse_index_base_b, .Lfunc_end111-_ZN9rocsparseL19gebsrmvn_4xn_kernelILj128ELj1ELj4E21rocsparse_complex_numIdEEEvi20rocsparse_direction_NS_24const_host_device_scalarIT2_EEPKiS8_PKS5_SA_S6_PS5_21rocsparse_index_base_b
                                        ; -- End function
	.section	.AMDGPU.csdata,"",@progbits
; Kernel info:
; codeLenInByte = 2580
; NumSgprs: 20
; NumVgprs: 54
; ScratchSize: 0
; MemoryBound: 0
; FloatMode: 240
; IeeeMode: 1
; LDSByteSize: 2048 bytes/workgroup (compile time only)
; SGPRBlocks: 2
; VGPRBlocks: 6
; NumSGPRsForWavesPerEU: 20
; NumVGPRsForWavesPerEU: 54
; Occupancy: 16
; WaveLimiterHint : 1
; COMPUTE_PGM_RSRC2:SCRATCH_EN: 0
; COMPUTE_PGM_RSRC2:USER_SGPR: 15
; COMPUTE_PGM_RSRC2:TRAP_HANDLER: 0
; COMPUTE_PGM_RSRC2:TGID_X_EN: 1
; COMPUTE_PGM_RSRC2:TGID_Y_EN: 0
; COMPUTE_PGM_RSRC2:TGID_Z_EN: 0
; COMPUTE_PGM_RSRC2:TIDIG_COMP_CNT: 2
	.section	.text._ZN9rocsparseL19gebsrmvn_4xn_kernelILj128ELj1ELj8E21rocsparse_complex_numIdEEEvi20rocsparse_direction_NS_24const_host_device_scalarIT2_EEPKiS8_PKS5_SA_S6_PS5_21rocsparse_index_base_b,"axG",@progbits,_ZN9rocsparseL19gebsrmvn_4xn_kernelILj128ELj1ELj8E21rocsparse_complex_numIdEEEvi20rocsparse_direction_NS_24const_host_device_scalarIT2_EEPKiS8_PKS5_SA_S6_PS5_21rocsparse_index_base_b,comdat
	.globl	_ZN9rocsparseL19gebsrmvn_4xn_kernelILj128ELj1ELj8E21rocsparse_complex_numIdEEEvi20rocsparse_direction_NS_24const_host_device_scalarIT2_EEPKiS8_PKS5_SA_S6_PS5_21rocsparse_index_base_b ; -- Begin function _ZN9rocsparseL19gebsrmvn_4xn_kernelILj128ELj1ELj8E21rocsparse_complex_numIdEEEvi20rocsparse_direction_NS_24const_host_device_scalarIT2_EEPKiS8_PKS5_SA_S6_PS5_21rocsparse_index_base_b
	.p2align	8
	.type	_ZN9rocsparseL19gebsrmvn_4xn_kernelILj128ELj1ELj8E21rocsparse_complex_numIdEEEvi20rocsparse_direction_NS_24const_host_device_scalarIT2_EEPKiS8_PKS5_SA_S6_PS5_21rocsparse_index_base_b,@function
_ZN9rocsparseL19gebsrmvn_4xn_kernelILj128ELj1ELj8E21rocsparse_complex_numIdEEEvi20rocsparse_direction_NS_24const_host_device_scalarIT2_EEPKiS8_PKS5_SA_S6_PS5_21rocsparse_index_base_b: ; @_ZN9rocsparseL19gebsrmvn_4xn_kernelILj128ELj1ELj8E21rocsparse_complex_numIdEEEvi20rocsparse_direction_NS_24const_host_device_scalarIT2_EEPKiS8_PKS5_SA_S6_PS5_21rocsparse_index_base_b
; %bb.0:
	s_load_b64 s[12:13], s[2:3], 0x50
	s_load_b64 s[16:17], s[0:1], 0x4
	s_load_b128 s[8:11], s[2:3], 0x8
	v_bfe_u32 v1, v0, 10, 10
	s_mov_b64 s[0:1], src_shared_base
	s_load_b128 s[4:7], s[2:3], 0x38
	v_and_b32_e32 v10, 0x3ff, v0
	v_bfe_u32 v0, v0, 20, 10
	s_waitcnt lgkmcnt(0)
	s_bitcmp1_b32 s13, 0
	v_mul_u32_u24_e32 v1, s17, v1
	s_cselect_b32 s0, -1, 0
	s_delay_alu instid0(SALU_CYCLE_1)
	s_and_b32 vcc_lo, s0, exec_lo
	s_cselect_b32 s13, s1, s9
	s_lshr_b32 s14, s16, 16
	v_dual_mov_b32 v2, s4 :: v_dual_mov_b32 v3, s5
	s_mul_i32 s14, s14, s17
	v_mov_b32_e32 v6, s13
	v_mad_u32_u24 v1, s14, v10, v1
	s_delay_alu instid0(VALU_DEP_1) | instskip(SKIP_1) | instid1(VALU_DEP_2)
	v_add_lshl_u32 v4, v1, v0, 3
	v_dual_mov_b32 v0, s8 :: v_dual_mov_b32 v1, s9
	v_add_nc_u32_e32 v5, 0x400, v4
	ds_store_2addr_stride64_b64 v4, v[2:3], v[0:1] offset1:2
	v_dual_mov_b32 v2, s10 :: v_dual_mov_b32 v3, s11
	v_cndmask_b32_e64 v5, s8, v5, s0
	s_xor_b32 s10, s0, -1
	flat_load_b64 v[0:1], v[5:6]
	s_cbranch_vccnz .LBB112_2
; %bb.1:
	v_dual_mov_b32 v2, s8 :: v_dual_mov_b32 v3, s9
	flat_load_b64 v[2:3], v[2:3] offset:8
.LBB112_2:
	s_and_b32 s8, s0, exec_lo
	s_cselect_b32 s1, s1, s5
	v_cndmask_b32_e64 v4, s4, v4, s0
	v_dual_mov_b32 v5, s1 :: v_dual_mov_b32 v6, s6
	v_mov_b32_e32 v7, s7
	s_and_not1_b32 vcc_lo, exec_lo, s10
	flat_load_b64 v[4:5], v[4:5]
	s_cbranch_vccnz .LBB112_4
; %bb.3:
	v_dual_mov_b32 v7, s5 :: v_dual_mov_b32 v6, s4
	flat_load_b64 v[6:7], v[6:7] offset:8
.LBB112_4:
	s_waitcnt vmcnt(1) lgkmcnt(1)
	v_cmp_eq_f64_e32 vcc_lo, 0, v[0:1]
	v_cmp_eq_f64_e64 s0, 0, v[2:3]
	s_delay_alu instid0(VALU_DEP_1)
	s_and_b32 s4, vcc_lo, s0
	s_mov_b32 s0, -1
	s_and_saveexec_b32 s1, s4
	s_cbranch_execz .LBB112_6
; %bb.5:
	s_waitcnt vmcnt(0) lgkmcnt(0)
	v_cmp_neq_f64_e32 vcc_lo, 1.0, v[4:5]
	v_cmp_neq_f64_e64 s0, 0, v[6:7]
	s_delay_alu instid0(VALU_DEP_1) | instskip(NEXT) | instid1(SALU_CYCLE_1)
	s_or_b32 s0, vcc_lo, s0
	s_or_not1_b32 s0, s0, exec_lo
.LBB112_6:
	s_or_b32 exec_lo, exec_lo, s1
	s_and_saveexec_b32 s1, s0
	s_cbranch_execz .LBB112_25
; %bb.7:
	s_load_b64 s[0:1], s[2:3], 0x0
	v_lshrrev_b32_e32 v8, 3, v10
	s_delay_alu instid0(VALU_DEP_1) | instskip(SKIP_1) | instid1(VALU_DEP_1)
	v_lshl_or_b32 v8, s15, 4, v8
	s_waitcnt lgkmcnt(0)
	v_cmp_gt_i32_e32 vcc_lo, s0, v8
	s_and_b32 exec_lo, exec_lo, vcc_lo
	s_cbranch_execz .LBB112_25
; %bb.8:
	s_load_b256 s[4:11], s[2:3], 0x18
	v_ashrrev_i32_e32 v9, 31, v8
	v_and_b32_e32 v41, 7, v10
	s_cmp_lg_u32 s1, 0
	s_delay_alu instid0(VALU_DEP_2) | instskip(SKIP_1) | instid1(VALU_DEP_1)
	v_lshlrev_b64 v[11:12], 2, v[8:9]
	s_waitcnt lgkmcnt(0)
	v_add_co_u32 v11, vcc_lo, s4, v11
	s_delay_alu instid0(VALU_DEP_2) | instskip(SKIP_4) | instid1(VALU_DEP_2)
	v_add_co_ci_u32_e32 v12, vcc_lo, s5, v12, vcc_lo
	global_load_b64 v[11:12], v[11:12], off
	s_waitcnt vmcnt(0)
	v_subrev_nc_u32_e32 v9, s12, v11
	v_subrev_nc_u32_e32 v30, s12, v12
	v_add_nc_u32_e32 v25, v9, v41
	s_delay_alu instid0(VALU_DEP_1)
	v_cmp_lt_i32_e64 s0, v25, v30
	s_cbranch_scc0 .LBB112_14
; %bb.9:
	v_mov_b32_e32 v9, 0
	v_mov_b32_e32 v10, 0
	s_delay_alu instid0(VALU_DEP_1)
	v_dual_mov_b32 v16, v10 :: v_dual_mov_b32 v15, v9
	v_dual_mov_b32 v12, v10 :: v_dual_mov_b32 v11, v9
	;; [unrolled: 1-line block ×7, first 2 shown]
	s_and_saveexec_b32 s1, s0
	s_cbranch_execz .LBB112_13
; %bb.10:
	v_dual_mov_b32 v9, 0 :: v_dual_lshlrev_b32 v26, 2, v25
	v_dual_mov_b32 v10, 0 :: v_dual_mov_b32 v27, 0
	v_mov_b32_e32 v28, v25
	s_mov_b32 s4, 0
	s_delay_alu instid0(VALU_DEP_2)
	v_dual_mov_b32 v16, v10 :: v_dual_mov_b32 v15, v9
	v_dual_mov_b32 v12, v10 :: v_dual_mov_b32 v11, v9
	;; [unrolled: 1-line block ×7, first 2 shown]
.LBB112_11:                             ; =>This Inner Loop Header: Depth=1
	v_ashrrev_i32_e32 v29, 31, v28
	v_mov_b32_e32 v40, v27
	s_delay_alu instid0(VALU_DEP_2) | instskip(SKIP_1) | instid1(VALU_DEP_2)
	v_lshlrev_b64 v[31:32], 2, v[28:29]
	v_add_nc_u32_e32 v28, 8, v28
	v_add_co_u32 v31, vcc_lo, s6, v31
	s_delay_alu instid0(VALU_DEP_3) | instskip(SKIP_3) | instid1(VALU_DEP_2)
	v_add_co_ci_u32_e32 v32, vcc_lo, s7, v32, vcc_lo
	global_load_b32 v29, v[31:32], off
	v_lshlrev_b64 v[31:32], 4, v[26:27]
	v_add_nc_u32_e32 v26, 32, v26
	v_add_co_u32 v46, vcc_lo, s8, v31
	s_delay_alu instid0(VALU_DEP_3)
	v_add_co_ci_u32_e32 v47, vcc_lo, s9, v32, vcc_lo
	s_clause 0x3
	global_load_b128 v[31:34], v[46:47], off offset:48
	global_load_b128 v[35:38], v[46:47], off offset:32
	;; [unrolled: 1-line block ×3, first 2 shown]
	global_load_b128 v[46:49], v[46:47], off
	s_waitcnt vmcnt(4)
	v_subrev_nc_u32_e32 v39, s12, v29
	s_delay_alu instid0(VALU_DEP_1) | instskip(NEXT) | instid1(VALU_DEP_1)
	v_lshlrev_b64 v[39:40], 4, v[39:40]
	v_add_co_u32 v39, vcc_lo, s10, v39
	s_delay_alu instid0(VALU_DEP_2)
	v_add_co_ci_u32_e32 v40, vcc_lo, s11, v40, vcc_lo
	v_cmp_ge_i32_e32 vcc_lo, v28, v30
	global_load_b128 v[50:53], v[39:40], off
	s_or_b32 s4, vcc_lo, s4
	s_waitcnt vmcnt(0)
	v_fma_f64 v[15:16], v[46:47], v[50:51], v[15:16]
	v_fma_f64 v[9:10], v[48:49], v[50:51], v[9:10]
	;; [unrolled: 1-line block ×8, first 2 shown]
	v_fma_f64 v[15:16], -v[48:49], v[52:53], v[15:16]
	v_fma_f64 v[9:10], v[46:47], v[52:53], v[9:10]
	v_fma_f64 v[21:22], -v[44:45], v[52:53], v[21:22]
	v_fma_f64 v[23:24], v[42:43], v[52:53], v[23:24]
	;; [unrolled: 2-line block ×4, first 2 shown]
	s_and_not1_b32 exec_lo, exec_lo, s4
	s_cbranch_execnz .LBB112_11
; %bb.12:
	s_or_b32 exec_lo, exec_lo, s4
.LBB112_13:
	s_delay_alu instid0(SALU_CYCLE_1)
	s_or_b32 exec_lo, exec_lo, s1
	s_cbranch_execz .LBB112_15
	s_branch .LBB112_20
.LBB112_14:
                                        ; implicit-def: $vgpr9_vgpr10
                                        ; implicit-def: $vgpr15_vgpr16
                                        ; implicit-def: $vgpr11_vgpr12
                                        ; implicit-def: $vgpr13_vgpr14
                                        ; implicit-def: $vgpr17_vgpr18
                                        ; implicit-def: $vgpr19_vgpr20
                                        ; implicit-def: $vgpr21_vgpr22
                                        ; implicit-def: $vgpr23_vgpr24
.LBB112_15:
	v_mov_b32_e32 v9, 0
	v_mov_b32_e32 v10, 0
	s_delay_alu instid0(VALU_DEP_1)
	v_dual_mov_b32 v16, v10 :: v_dual_mov_b32 v15, v9
	v_dual_mov_b32 v12, v10 :: v_dual_mov_b32 v11, v9
	;; [unrolled: 1-line block ×7, first 2 shown]
	s_and_saveexec_b32 s1, s0
	s_cbranch_execz .LBB112_19
; %bb.16:
	v_dual_mov_b32 v9, 0 :: v_dual_mov_b32 v28, 0
	v_dual_mov_b32 v10, 0 :: v_dual_lshlrev_b32 v27, 2, v25
	s_mov_b32 s0, 0
	s_delay_alu instid0(VALU_DEP_1)
	v_dual_mov_b32 v16, v10 :: v_dual_mov_b32 v15, v9
	v_dual_mov_b32 v12, v10 :: v_dual_mov_b32 v11, v9
	;; [unrolled: 1-line block ×7, first 2 shown]
.LBB112_17:                             ; =>This Inner Loop Header: Depth=1
	v_ashrrev_i32_e32 v26, 31, v25
	v_mov_b32_e32 v40, v28
	s_delay_alu instid0(VALU_DEP_2) | instskip(SKIP_1) | instid1(VALU_DEP_2)
	v_lshlrev_b64 v[31:32], 2, v[25:26]
	v_add_nc_u32_e32 v25, 8, v25
	v_add_co_u32 v31, vcc_lo, s6, v31
	s_delay_alu instid0(VALU_DEP_3) | instskip(SKIP_3) | instid1(VALU_DEP_2)
	v_add_co_ci_u32_e32 v32, vcc_lo, s7, v32, vcc_lo
	global_load_b32 v26, v[31:32], off
	v_lshlrev_b64 v[31:32], 4, v[27:28]
	v_add_nc_u32_e32 v27, 32, v27
	v_add_co_u32 v46, vcc_lo, s8, v31
	s_delay_alu instid0(VALU_DEP_3)
	v_add_co_ci_u32_e32 v47, vcc_lo, s9, v32, vcc_lo
	s_clause 0x3
	global_load_b128 v[31:34], v[46:47], off offset:48
	global_load_b128 v[35:38], v[46:47], off offset:32
	;; [unrolled: 1-line block ×3, first 2 shown]
	global_load_b128 v[46:49], v[46:47], off
	s_waitcnt vmcnt(4)
	v_subrev_nc_u32_e32 v39, s12, v26
	s_delay_alu instid0(VALU_DEP_1) | instskip(NEXT) | instid1(VALU_DEP_1)
	v_lshlrev_b64 v[39:40], 4, v[39:40]
	v_add_co_u32 v39, vcc_lo, s10, v39
	s_delay_alu instid0(VALU_DEP_2)
	v_add_co_ci_u32_e32 v40, vcc_lo, s11, v40, vcc_lo
	v_cmp_ge_i32_e32 vcc_lo, v25, v30
	global_load_b128 v[50:53], v[39:40], off
	s_or_b32 s0, vcc_lo, s0
	s_waitcnt vmcnt(0)
	v_fma_f64 v[15:16], v[46:47], v[50:51], v[15:16]
	v_fma_f64 v[9:10], v[48:49], v[50:51], v[9:10]
	;; [unrolled: 1-line block ×8, first 2 shown]
	v_fma_f64 v[15:16], -v[48:49], v[52:53], v[15:16]
	v_fma_f64 v[9:10], v[46:47], v[52:53], v[9:10]
	v_fma_f64 v[21:22], -v[44:45], v[52:53], v[21:22]
	v_fma_f64 v[23:24], v[42:43], v[52:53], v[23:24]
	;; [unrolled: 2-line block ×4, first 2 shown]
	s_and_not1_b32 exec_lo, exec_lo, s0
	s_cbranch_execnz .LBB112_17
; %bb.18:
	s_or_b32 exec_lo, exec_lo, s0
.LBB112_19:
	s_delay_alu instid0(SALU_CYCLE_1)
	s_or_b32 exec_lo, exec_lo, s1
.LBB112_20:
	v_mbcnt_lo_u32_b32 v44, -1, 0
	s_delay_alu instid0(VALU_DEP_1) | instskip(NEXT) | instid1(VALU_DEP_1)
	v_xor_b32_e32 v25, 4, v44
	v_cmp_gt_i32_e32 vcc_lo, 32, v25
	v_cndmask_b32_e32 v25, v44, v25, vcc_lo
	s_delay_alu instid0(VALU_DEP_1)
	v_lshlrev_b32_e32 v40, 2, v25
	ds_bpermute_b32 v25, v40, v15
	ds_bpermute_b32 v26, v40, v16
	;; [unrolled: 1-line block ×16, first 2 shown]
	s_waitcnt lgkmcnt(14)
	v_add_f64 v[15:16], v[15:16], v[25:26]
	s_waitcnt lgkmcnt(12)
	v_add_f64 v[25:26], v[9:10], v[27:28]
	v_xor_b32_e32 v9, 2, v44
	s_waitcnt lgkmcnt(10)
	v_add_f64 v[21:22], v[21:22], v[29:30]
	s_waitcnt lgkmcnt(8)
	v_add_f64 v[27:28], v[23:24], v[31:32]
	;; [unrolled: 2-line block ×3, first 2 shown]
	v_cmp_gt_i32_e32 vcc_lo, 32, v9
	s_waitcnt lgkmcnt(4)
	v_add_f64 v[19:20], v[19:20], v[35:36]
	s_waitcnt lgkmcnt(2)
	v_add_f64 v[29:30], v[11:12], v[37:38]
	;; [unrolled: 2-line block ×3, first 2 shown]
	v_cndmask_b32_e32 v9, v44, v9, vcc_lo
	s_delay_alu instid0(VALU_DEP_1)
	v_lshlrev_b32_e32 v23, 2, v9
	ds_bpermute_b32 v9, v23, v15
	ds_bpermute_b32 v10, v23, v16
	;; [unrolled: 1-line block ×16, first 2 shown]
	s_waitcnt lgkmcnt(14)
	v_add_f64 v[9:10], v[15:16], v[9:10]
	s_waitcnt lgkmcnt(12)
	v_add_f64 v[23:24], v[25:26], v[11:12]
	v_xor_b32_e32 v25, 1, v44
	s_waitcnt lgkmcnt(10)
	v_add_f64 v[11:12], v[21:22], v[13:14]
	s_waitcnt lgkmcnt(8)
	v_add_f64 v[21:22], v[27:28], v[33:34]
	;; [unrolled: 2-line block ×3, first 2 shown]
	v_cmp_gt_i32_e32 vcc_lo, 32, v25
	s_waitcnt lgkmcnt(4)
	v_add_f64 v[19:20], v[19:20], v[37:38]
	s_waitcnt lgkmcnt(2)
	v_add_f64 v[15:16], v[29:30], v[39:40]
	;; [unrolled: 2-line block ×3, first 2 shown]
	v_cndmask_b32_e32 v25, v44, v25, vcc_lo
	v_cmp_eq_u32_e32 vcc_lo, 7, v41
	s_delay_alu instid0(VALU_DEP_2)
	v_lshlrev_b32_e32 v28, 2, v25
	ds_bpermute_b32 v39, v28, v9
	ds_bpermute_b32 v40, v28, v10
	ds_bpermute_b32 v37, v28, v23
	ds_bpermute_b32 v38, v28, v24
	ds_bpermute_b32 v35, v28, v11
	ds_bpermute_b32 v36, v28, v12
	ds_bpermute_b32 v33, v28, v21
	ds_bpermute_b32 v34, v28, v22
	ds_bpermute_b32 v31, v28, v13
	ds_bpermute_b32 v32, v28, v14
	ds_bpermute_b32 v29, v28, v19
	ds_bpermute_b32 v30, v28, v20
	ds_bpermute_b32 v25, v28, v15
	ds_bpermute_b32 v26, v28, v16
	ds_bpermute_b32 v27, v28, v17
	ds_bpermute_b32 v28, v28, v18
	s_and_b32 exec_lo, exec_lo, vcc_lo
	s_cbranch_execz .LBB112_25
; %bb.21:
	v_cmp_eq_f64_e32 vcc_lo, 0, v[4:5]
	v_cmp_eq_f64_e64 s0, 0, v[6:7]
	s_waitcnt lgkmcnt(14)
	v_add_f64 v[9:10], v[9:10], v[39:40]
	s_waitcnt lgkmcnt(12)
	v_add_f64 v[23:24], v[23:24], v[37:38]
	;; [unrolled: 2-line block ×8, first 2 shown]
	s_load_b64 s[2:3], s[2:3], 0x48
	s_and_b32 s0, vcc_lo, s0
	s_delay_alu instid0(SALU_CYCLE_1) | instskip(NEXT) | instid1(SALU_CYCLE_1)
	s_and_saveexec_b32 s1, s0
	s_xor_b32 s0, exec_lo, s1
	s_cbranch_execz .LBB112_23
; %bb.22:
	v_mul_f64 v[4:5], v[23:24], -v[2:3]
	v_mul_f64 v[6:7], v[0:1], v[23:24]
	v_mul_f64 v[23:24], v[21:22], -v[2:3]
	v_mul_f64 v[21:22], v[0:1], v[21:22]
	;; [unrolled: 2-line block ×4, first 2 shown]
	v_fma_f64 v[4:5], v[0:1], v[9:10], v[4:5]
	v_fma_f64 v[6:7], v[2:3], v[9:10], v[6:7]
	;; [unrolled: 1-line block ×8, first 2 shown]
	v_lshlrev_b32_e32 v13, 2, v8
                                        ; implicit-def: $vgpr8
                                        ; implicit-def: $vgpr23_vgpr24
                                        ; implicit-def: $vgpr21_vgpr22
                                        ; implicit-def: $vgpr15_vgpr16
	s_delay_alu instid0(VALU_DEP_1) | instskip(NEXT) | instid1(VALU_DEP_1)
	v_ashrrev_i32_e32 v14, 31, v13
	v_lshlrev_b64 v[13:14], 4, v[13:14]
	s_waitcnt lgkmcnt(0)
	s_delay_alu instid0(VALU_DEP_1) | instskip(NEXT) | instid1(VALU_DEP_2)
	v_add_co_u32 v13, vcc_lo, s2, v13
	v_add_co_ci_u32_e32 v14, vcc_lo, s3, v14, vcc_lo
	s_clause 0x3
	global_store_b128 v[13:14], v[4:7], off
	global_store_b128 v[13:14], v[9:12], off offset:16
	global_store_b128 v[13:14], v[17:20], off offset:32
	;; [unrolled: 1-line block ×3, first 2 shown]
                                        ; implicit-def: $vgpr0_vgpr1
                                        ; implicit-def: $vgpr2_vgpr3
                                        ; implicit-def: $vgpr4_vgpr5
                                        ; implicit-def: $vgpr6_vgpr7
                                        ; implicit-def: $vgpr9_vgpr10
                                        ; implicit-def: $vgpr11_vgpr12
                                        ; implicit-def: $vgpr13_vgpr14
                                        ; implicit-def: $vgpr19_vgpr20
                                        ; implicit-def: $vgpr17_vgpr18
.LBB112_23:
	s_and_not1_saveexec_b32 s0, s0
	s_cbranch_execz .LBB112_25
; %bb.24:
	v_lshlrev_b32_e32 v25, 2, v8
	v_mul_f64 v[43:44], v[23:24], -v[2:3]
	v_mul_f64 v[23:24], v[0:1], v[23:24]
	v_mul_f64 v[45:46], v[21:22], -v[2:3]
	v_mul_f64 v[21:22], v[0:1], v[21:22]
	v_ashrrev_i32_e32 v26, 31, v25
	v_mul_f64 v[47:48], v[19:20], -v[2:3]
	v_mul_f64 v[19:20], v[0:1], v[19:20]
	v_mul_f64 v[49:50], v[17:18], -v[2:3]
	v_mul_f64 v[17:18], v[0:1], v[17:18]
	v_lshlrev_b64 v[25:26], 4, v[25:26]
	s_waitcnt lgkmcnt(0)
	s_delay_alu instid0(VALU_DEP_1) | instskip(NEXT) | instid1(VALU_DEP_2)
	v_add_co_u32 v41, vcc_lo, s2, v25
	v_add_co_ci_u32_e32 v42, vcc_lo, s3, v26, vcc_lo
	s_clause 0x3
	global_load_b128 v[25:28], v[41:42], off
	global_load_b128 v[29:32], v[41:42], off offset:16
	global_load_b128 v[33:36], v[41:42], off offset:32
	;; [unrolled: 1-line block ×3, first 2 shown]
	v_fma_f64 v[43:44], v[0:1], v[9:10], v[43:44]
	v_fma_f64 v[8:9], v[2:3], v[9:10], v[23:24]
	;; [unrolled: 1-line block ×8, first 2 shown]
	s_waitcnt vmcnt(3)
	v_fma_f64 v[14:15], v[4:5], v[25:26], v[43:44]
	v_fma_f64 v[8:9], v[6:7], v[25:26], v[8:9]
	s_waitcnt vmcnt(2)
	v_fma_f64 v[16:17], v[4:5], v[29:30], v[23:24]
	v_fma_f64 v[10:11], v[6:7], v[29:30], v[10:11]
	;; [unrolled: 3-line block ×4, first 2 shown]
	v_fma_f64 v[0:1], -v[6:7], v[27:28], v[14:15]
	v_fma_f64 v[2:3], v[4:5], v[27:28], v[8:9]
	v_fma_f64 v[8:9], -v[6:7], v[31:32], v[16:17]
	v_fma_f64 v[10:11], v[4:5], v[31:32], v[10:11]
	;; [unrolled: 2-line block ×4, first 2 shown]
	s_clause 0x3
	global_store_b128 v[41:42], v[0:3], off
	global_store_b128 v[41:42], v[8:11], off offset:16
	global_store_b128 v[41:42], v[12:15], off offset:32
	;; [unrolled: 1-line block ×3, first 2 shown]
.LBB112_25:
	s_nop 0
	s_sendmsg sendmsg(MSG_DEALLOC_VGPRS)
	s_endpgm
	.section	.rodata,"a",@progbits
	.p2align	6, 0x0
	.amdhsa_kernel _ZN9rocsparseL19gebsrmvn_4xn_kernelILj128ELj1ELj8E21rocsparse_complex_numIdEEEvi20rocsparse_direction_NS_24const_host_device_scalarIT2_EEPKiS8_PKS5_SA_S6_PS5_21rocsparse_index_base_b
		.amdhsa_group_segment_fixed_size 2048
		.amdhsa_private_segment_fixed_size 0
		.amdhsa_kernarg_size 88
		.amdhsa_user_sgpr_count 15
		.amdhsa_user_sgpr_dispatch_ptr 1
		.amdhsa_user_sgpr_queue_ptr 0
		.amdhsa_user_sgpr_kernarg_segment_ptr 1
		.amdhsa_user_sgpr_dispatch_id 0
		.amdhsa_user_sgpr_private_segment_size 0
		.amdhsa_wavefront_size32 1
		.amdhsa_uses_dynamic_stack 0
		.amdhsa_enable_private_segment 0
		.amdhsa_system_sgpr_workgroup_id_x 1
		.amdhsa_system_sgpr_workgroup_id_y 0
		.amdhsa_system_sgpr_workgroup_id_z 0
		.amdhsa_system_sgpr_workgroup_info 0
		.amdhsa_system_vgpr_workitem_id 2
		.amdhsa_next_free_vgpr 54
		.amdhsa_next_free_sgpr 18
		.amdhsa_reserve_vcc 1
		.amdhsa_float_round_mode_32 0
		.amdhsa_float_round_mode_16_64 0
		.amdhsa_float_denorm_mode_32 3
		.amdhsa_float_denorm_mode_16_64 3
		.amdhsa_dx10_clamp 1
		.amdhsa_ieee_mode 1
		.amdhsa_fp16_overflow 0
		.amdhsa_workgroup_processor_mode 1
		.amdhsa_memory_ordered 1
		.amdhsa_forward_progress 0
		.amdhsa_shared_vgpr_count 0
		.amdhsa_exception_fp_ieee_invalid_op 0
		.amdhsa_exception_fp_denorm_src 0
		.amdhsa_exception_fp_ieee_div_zero 0
		.amdhsa_exception_fp_ieee_overflow 0
		.amdhsa_exception_fp_ieee_underflow 0
		.amdhsa_exception_fp_ieee_inexact 0
		.amdhsa_exception_int_div_zero 0
	.end_amdhsa_kernel
	.section	.text._ZN9rocsparseL19gebsrmvn_4xn_kernelILj128ELj1ELj8E21rocsparse_complex_numIdEEEvi20rocsparse_direction_NS_24const_host_device_scalarIT2_EEPKiS8_PKS5_SA_S6_PS5_21rocsparse_index_base_b,"axG",@progbits,_ZN9rocsparseL19gebsrmvn_4xn_kernelILj128ELj1ELj8E21rocsparse_complex_numIdEEEvi20rocsparse_direction_NS_24const_host_device_scalarIT2_EEPKiS8_PKS5_SA_S6_PS5_21rocsparse_index_base_b,comdat
.Lfunc_end112:
	.size	_ZN9rocsparseL19gebsrmvn_4xn_kernelILj128ELj1ELj8E21rocsparse_complex_numIdEEEvi20rocsparse_direction_NS_24const_host_device_scalarIT2_EEPKiS8_PKS5_SA_S6_PS5_21rocsparse_index_base_b, .Lfunc_end112-_ZN9rocsparseL19gebsrmvn_4xn_kernelILj128ELj1ELj8E21rocsparse_complex_numIdEEEvi20rocsparse_direction_NS_24const_host_device_scalarIT2_EEPKiS8_PKS5_SA_S6_PS5_21rocsparse_index_base_b
                                        ; -- End function
	.section	.AMDGPU.csdata,"",@progbits
; Kernel info:
; codeLenInByte = 2824
; NumSgprs: 20
; NumVgprs: 54
; ScratchSize: 0
; MemoryBound: 0
; FloatMode: 240
; IeeeMode: 1
; LDSByteSize: 2048 bytes/workgroup (compile time only)
; SGPRBlocks: 2
; VGPRBlocks: 6
; NumSGPRsForWavesPerEU: 20
; NumVGPRsForWavesPerEU: 54
; Occupancy: 16
; WaveLimiterHint : 1
; COMPUTE_PGM_RSRC2:SCRATCH_EN: 0
; COMPUTE_PGM_RSRC2:USER_SGPR: 15
; COMPUTE_PGM_RSRC2:TRAP_HANDLER: 0
; COMPUTE_PGM_RSRC2:TGID_X_EN: 1
; COMPUTE_PGM_RSRC2:TGID_Y_EN: 0
; COMPUTE_PGM_RSRC2:TGID_Z_EN: 0
; COMPUTE_PGM_RSRC2:TIDIG_COMP_CNT: 2
	.section	.text._ZN9rocsparseL19gebsrmvn_4xn_kernelILj128ELj1ELj16E21rocsparse_complex_numIdEEEvi20rocsparse_direction_NS_24const_host_device_scalarIT2_EEPKiS8_PKS5_SA_S6_PS5_21rocsparse_index_base_b,"axG",@progbits,_ZN9rocsparseL19gebsrmvn_4xn_kernelILj128ELj1ELj16E21rocsparse_complex_numIdEEEvi20rocsparse_direction_NS_24const_host_device_scalarIT2_EEPKiS8_PKS5_SA_S6_PS5_21rocsparse_index_base_b,comdat
	.globl	_ZN9rocsparseL19gebsrmvn_4xn_kernelILj128ELj1ELj16E21rocsparse_complex_numIdEEEvi20rocsparse_direction_NS_24const_host_device_scalarIT2_EEPKiS8_PKS5_SA_S6_PS5_21rocsparse_index_base_b ; -- Begin function _ZN9rocsparseL19gebsrmvn_4xn_kernelILj128ELj1ELj16E21rocsparse_complex_numIdEEEvi20rocsparse_direction_NS_24const_host_device_scalarIT2_EEPKiS8_PKS5_SA_S6_PS5_21rocsparse_index_base_b
	.p2align	8
	.type	_ZN9rocsparseL19gebsrmvn_4xn_kernelILj128ELj1ELj16E21rocsparse_complex_numIdEEEvi20rocsparse_direction_NS_24const_host_device_scalarIT2_EEPKiS8_PKS5_SA_S6_PS5_21rocsparse_index_base_b,@function
_ZN9rocsparseL19gebsrmvn_4xn_kernelILj128ELj1ELj16E21rocsparse_complex_numIdEEEvi20rocsparse_direction_NS_24const_host_device_scalarIT2_EEPKiS8_PKS5_SA_S6_PS5_21rocsparse_index_base_b: ; @_ZN9rocsparseL19gebsrmvn_4xn_kernelILj128ELj1ELj16E21rocsparse_complex_numIdEEEvi20rocsparse_direction_NS_24const_host_device_scalarIT2_EEPKiS8_PKS5_SA_S6_PS5_21rocsparse_index_base_b
; %bb.0:
	s_load_b64 s[12:13], s[2:3], 0x50
	s_load_b64 s[16:17], s[0:1], 0x4
	s_load_b128 s[8:11], s[2:3], 0x8
	v_bfe_u32 v1, v0, 10, 10
	s_mov_b64 s[0:1], src_shared_base
	s_load_b128 s[4:7], s[2:3], 0x38
	v_and_b32_e32 v10, 0x3ff, v0
	v_bfe_u32 v0, v0, 20, 10
	s_waitcnt lgkmcnt(0)
	s_bitcmp1_b32 s13, 0
	v_mul_u32_u24_e32 v1, s17, v1
	s_cselect_b32 s0, -1, 0
	s_delay_alu instid0(SALU_CYCLE_1)
	s_and_b32 vcc_lo, s0, exec_lo
	s_cselect_b32 s13, s1, s9
	s_lshr_b32 s14, s16, 16
	v_dual_mov_b32 v2, s4 :: v_dual_mov_b32 v3, s5
	s_mul_i32 s14, s14, s17
	v_mov_b32_e32 v6, s13
	v_mad_u32_u24 v1, s14, v10, v1
	s_delay_alu instid0(VALU_DEP_1) | instskip(SKIP_1) | instid1(VALU_DEP_2)
	v_add_lshl_u32 v4, v1, v0, 3
	v_dual_mov_b32 v0, s8 :: v_dual_mov_b32 v1, s9
	v_add_nc_u32_e32 v5, 0x400, v4
	ds_store_2addr_stride64_b64 v4, v[2:3], v[0:1] offset1:2
	v_dual_mov_b32 v2, s10 :: v_dual_mov_b32 v3, s11
	v_cndmask_b32_e64 v5, s8, v5, s0
	s_xor_b32 s10, s0, -1
	flat_load_b64 v[0:1], v[5:6]
	s_cbranch_vccnz .LBB113_2
; %bb.1:
	v_dual_mov_b32 v2, s8 :: v_dual_mov_b32 v3, s9
	flat_load_b64 v[2:3], v[2:3] offset:8
.LBB113_2:
	s_and_b32 s8, s0, exec_lo
	s_cselect_b32 s1, s1, s5
	v_cndmask_b32_e64 v4, s4, v4, s0
	v_dual_mov_b32 v5, s1 :: v_dual_mov_b32 v6, s6
	v_mov_b32_e32 v7, s7
	s_and_not1_b32 vcc_lo, exec_lo, s10
	flat_load_b64 v[4:5], v[4:5]
	s_cbranch_vccnz .LBB113_4
; %bb.3:
	v_dual_mov_b32 v7, s5 :: v_dual_mov_b32 v6, s4
	flat_load_b64 v[6:7], v[6:7] offset:8
.LBB113_4:
	s_waitcnt vmcnt(1) lgkmcnt(1)
	v_cmp_eq_f64_e32 vcc_lo, 0, v[0:1]
	v_cmp_eq_f64_e64 s0, 0, v[2:3]
	s_delay_alu instid0(VALU_DEP_1)
	s_and_b32 s4, vcc_lo, s0
	s_mov_b32 s0, -1
	s_and_saveexec_b32 s1, s4
	s_cbranch_execz .LBB113_6
; %bb.5:
	s_waitcnt vmcnt(0) lgkmcnt(0)
	v_cmp_neq_f64_e32 vcc_lo, 1.0, v[4:5]
	v_cmp_neq_f64_e64 s0, 0, v[6:7]
	s_delay_alu instid0(VALU_DEP_1) | instskip(NEXT) | instid1(SALU_CYCLE_1)
	s_or_b32 s0, vcc_lo, s0
	s_or_not1_b32 s0, s0, exec_lo
.LBB113_6:
	s_or_b32 exec_lo, exec_lo, s1
	s_and_saveexec_b32 s1, s0
	s_cbranch_execz .LBB113_25
; %bb.7:
	s_load_b64 s[0:1], s[2:3], 0x0
	v_lshrrev_b32_e32 v8, 4, v10
	s_delay_alu instid0(VALU_DEP_1) | instskip(SKIP_1) | instid1(VALU_DEP_1)
	v_lshl_or_b32 v8, s15, 3, v8
	s_waitcnt lgkmcnt(0)
	v_cmp_gt_i32_e32 vcc_lo, s0, v8
	s_and_b32 exec_lo, exec_lo, vcc_lo
	s_cbranch_execz .LBB113_25
; %bb.8:
	s_load_b256 s[4:11], s[2:3], 0x18
	v_ashrrev_i32_e32 v9, 31, v8
	v_and_b32_e32 v41, 15, v10
	s_cmp_lg_u32 s1, 0
	s_delay_alu instid0(VALU_DEP_2) | instskip(SKIP_1) | instid1(VALU_DEP_1)
	v_lshlrev_b64 v[11:12], 2, v[8:9]
	s_waitcnt lgkmcnt(0)
	v_add_co_u32 v11, vcc_lo, s4, v11
	s_delay_alu instid0(VALU_DEP_2) | instskip(SKIP_4) | instid1(VALU_DEP_2)
	v_add_co_ci_u32_e32 v12, vcc_lo, s5, v12, vcc_lo
	global_load_b64 v[11:12], v[11:12], off
	s_waitcnt vmcnt(0)
	v_subrev_nc_u32_e32 v9, s12, v11
	v_subrev_nc_u32_e32 v30, s12, v12
	v_add_nc_u32_e32 v25, v9, v41
	s_delay_alu instid0(VALU_DEP_1)
	v_cmp_lt_i32_e64 s0, v25, v30
	s_cbranch_scc0 .LBB113_14
; %bb.9:
	v_mov_b32_e32 v9, 0
	v_mov_b32_e32 v10, 0
	s_delay_alu instid0(VALU_DEP_1)
	v_dual_mov_b32 v16, v10 :: v_dual_mov_b32 v15, v9
	v_dual_mov_b32 v12, v10 :: v_dual_mov_b32 v11, v9
	;; [unrolled: 1-line block ×7, first 2 shown]
	s_and_saveexec_b32 s1, s0
	s_cbranch_execz .LBB113_13
; %bb.10:
	v_dual_mov_b32 v9, 0 :: v_dual_lshlrev_b32 v26, 2, v25
	v_dual_mov_b32 v10, 0 :: v_dual_mov_b32 v27, 0
	v_mov_b32_e32 v28, v25
	s_mov_b32 s4, 0
	s_delay_alu instid0(VALU_DEP_2)
	v_dual_mov_b32 v16, v10 :: v_dual_mov_b32 v15, v9
	v_dual_mov_b32 v12, v10 :: v_dual_mov_b32 v11, v9
	;; [unrolled: 1-line block ×7, first 2 shown]
.LBB113_11:                             ; =>This Inner Loop Header: Depth=1
	v_ashrrev_i32_e32 v29, 31, v28
	v_mov_b32_e32 v40, v27
	s_delay_alu instid0(VALU_DEP_2) | instskip(SKIP_1) | instid1(VALU_DEP_2)
	v_lshlrev_b64 v[31:32], 2, v[28:29]
	v_add_nc_u32_e32 v28, 16, v28
	v_add_co_u32 v31, vcc_lo, s6, v31
	s_delay_alu instid0(VALU_DEP_3) | instskip(SKIP_3) | instid1(VALU_DEP_2)
	v_add_co_ci_u32_e32 v32, vcc_lo, s7, v32, vcc_lo
	global_load_b32 v29, v[31:32], off
	v_lshlrev_b64 v[31:32], 4, v[26:27]
	v_add_nc_u32_e32 v26, 64, v26
	v_add_co_u32 v46, vcc_lo, s8, v31
	s_delay_alu instid0(VALU_DEP_3)
	v_add_co_ci_u32_e32 v47, vcc_lo, s9, v32, vcc_lo
	s_clause 0x3
	global_load_b128 v[31:34], v[46:47], off offset:48
	global_load_b128 v[35:38], v[46:47], off offset:32
	;; [unrolled: 1-line block ×3, first 2 shown]
	global_load_b128 v[46:49], v[46:47], off
	s_waitcnt vmcnt(4)
	v_subrev_nc_u32_e32 v39, s12, v29
	s_delay_alu instid0(VALU_DEP_1) | instskip(NEXT) | instid1(VALU_DEP_1)
	v_lshlrev_b64 v[39:40], 4, v[39:40]
	v_add_co_u32 v39, vcc_lo, s10, v39
	s_delay_alu instid0(VALU_DEP_2)
	v_add_co_ci_u32_e32 v40, vcc_lo, s11, v40, vcc_lo
	v_cmp_ge_i32_e32 vcc_lo, v28, v30
	global_load_b128 v[50:53], v[39:40], off
	s_or_b32 s4, vcc_lo, s4
	s_waitcnt vmcnt(0)
	v_fma_f64 v[15:16], v[46:47], v[50:51], v[15:16]
	v_fma_f64 v[9:10], v[48:49], v[50:51], v[9:10]
	v_fma_f64 v[21:22], v[42:43], v[50:51], v[21:22]
	v_fma_f64 v[23:24], v[44:45], v[50:51], v[23:24]
	v_fma_f64 v[17:18], v[35:36], v[50:51], v[17:18]
	v_fma_f64 v[19:20], v[37:38], v[50:51], v[19:20]
	v_fma_f64 v[11:12], v[31:32], v[50:51], v[11:12]
	v_fma_f64 v[13:14], v[33:34], v[50:51], v[13:14]
	v_fma_f64 v[15:16], -v[48:49], v[52:53], v[15:16]
	v_fma_f64 v[9:10], v[46:47], v[52:53], v[9:10]
	v_fma_f64 v[21:22], -v[44:45], v[52:53], v[21:22]
	v_fma_f64 v[23:24], v[42:43], v[52:53], v[23:24]
	;; [unrolled: 2-line block ×4, first 2 shown]
	s_and_not1_b32 exec_lo, exec_lo, s4
	s_cbranch_execnz .LBB113_11
; %bb.12:
	s_or_b32 exec_lo, exec_lo, s4
.LBB113_13:
	s_delay_alu instid0(SALU_CYCLE_1)
	s_or_b32 exec_lo, exec_lo, s1
	s_cbranch_execz .LBB113_15
	s_branch .LBB113_20
.LBB113_14:
                                        ; implicit-def: $vgpr9_vgpr10
                                        ; implicit-def: $vgpr15_vgpr16
                                        ; implicit-def: $vgpr11_vgpr12
                                        ; implicit-def: $vgpr13_vgpr14
                                        ; implicit-def: $vgpr17_vgpr18
                                        ; implicit-def: $vgpr19_vgpr20
                                        ; implicit-def: $vgpr21_vgpr22
                                        ; implicit-def: $vgpr23_vgpr24
.LBB113_15:
	v_mov_b32_e32 v9, 0
	v_mov_b32_e32 v10, 0
	s_delay_alu instid0(VALU_DEP_1)
	v_dual_mov_b32 v16, v10 :: v_dual_mov_b32 v15, v9
	v_dual_mov_b32 v12, v10 :: v_dual_mov_b32 v11, v9
	;; [unrolled: 1-line block ×7, first 2 shown]
	s_and_saveexec_b32 s1, s0
	s_cbranch_execz .LBB113_19
; %bb.16:
	v_dual_mov_b32 v9, 0 :: v_dual_mov_b32 v28, 0
	v_dual_mov_b32 v10, 0 :: v_dual_lshlrev_b32 v27, 2, v25
	s_mov_b32 s0, 0
	s_delay_alu instid0(VALU_DEP_1)
	v_dual_mov_b32 v16, v10 :: v_dual_mov_b32 v15, v9
	v_dual_mov_b32 v12, v10 :: v_dual_mov_b32 v11, v9
	;; [unrolled: 1-line block ×7, first 2 shown]
.LBB113_17:                             ; =>This Inner Loop Header: Depth=1
	v_ashrrev_i32_e32 v26, 31, v25
	v_mov_b32_e32 v40, v28
	s_delay_alu instid0(VALU_DEP_2) | instskip(SKIP_1) | instid1(VALU_DEP_2)
	v_lshlrev_b64 v[31:32], 2, v[25:26]
	v_add_nc_u32_e32 v25, 16, v25
	v_add_co_u32 v31, vcc_lo, s6, v31
	s_delay_alu instid0(VALU_DEP_3) | instskip(SKIP_3) | instid1(VALU_DEP_2)
	v_add_co_ci_u32_e32 v32, vcc_lo, s7, v32, vcc_lo
	global_load_b32 v26, v[31:32], off
	v_lshlrev_b64 v[31:32], 4, v[27:28]
	v_add_nc_u32_e32 v27, 64, v27
	v_add_co_u32 v46, vcc_lo, s8, v31
	s_delay_alu instid0(VALU_DEP_3)
	v_add_co_ci_u32_e32 v47, vcc_lo, s9, v32, vcc_lo
	s_clause 0x3
	global_load_b128 v[31:34], v[46:47], off offset:48
	global_load_b128 v[35:38], v[46:47], off offset:32
	;; [unrolled: 1-line block ×3, first 2 shown]
	global_load_b128 v[46:49], v[46:47], off
	s_waitcnt vmcnt(4)
	v_subrev_nc_u32_e32 v39, s12, v26
	s_delay_alu instid0(VALU_DEP_1) | instskip(NEXT) | instid1(VALU_DEP_1)
	v_lshlrev_b64 v[39:40], 4, v[39:40]
	v_add_co_u32 v39, vcc_lo, s10, v39
	s_delay_alu instid0(VALU_DEP_2)
	v_add_co_ci_u32_e32 v40, vcc_lo, s11, v40, vcc_lo
	v_cmp_ge_i32_e32 vcc_lo, v25, v30
	global_load_b128 v[50:53], v[39:40], off
	s_or_b32 s0, vcc_lo, s0
	s_waitcnt vmcnt(0)
	v_fma_f64 v[15:16], v[46:47], v[50:51], v[15:16]
	v_fma_f64 v[9:10], v[48:49], v[50:51], v[9:10]
	;; [unrolled: 1-line block ×8, first 2 shown]
	v_fma_f64 v[15:16], -v[48:49], v[52:53], v[15:16]
	v_fma_f64 v[9:10], v[46:47], v[52:53], v[9:10]
	v_fma_f64 v[21:22], -v[44:45], v[52:53], v[21:22]
	v_fma_f64 v[23:24], v[42:43], v[52:53], v[23:24]
	;; [unrolled: 2-line block ×4, first 2 shown]
	s_and_not1_b32 exec_lo, exec_lo, s0
	s_cbranch_execnz .LBB113_17
; %bb.18:
	s_or_b32 exec_lo, exec_lo, s0
.LBB113_19:
	s_delay_alu instid0(SALU_CYCLE_1)
	s_or_b32 exec_lo, exec_lo, s1
.LBB113_20:
	v_mbcnt_lo_u32_b32 v44, -1, 0
	s_delay_alu instid0(VALU_DEP_1) | instskip(NEXT) | instid1(VALU_DEP_1)
	v_xor_b32_e32 v25, 8, v44
	v_cmp_gt_i32_e32 vcc_lo, 32, v25
	v_cndmask_b32_e32 v25, v44, v25, vcc_lo
	s_delay_alu instid0(VALU_DEP_1)
	v_lshlrev_b32_e32 v40, 2, v25
	ds_bpermute_b32 v25, v40, v15
	ds_bpermute_b32 v26, v40, v16
	;; [unrolled: 1-line block ×16, first 2 shown]
	s_waitcnt lgkmcnt(14)
	v_add_f64 v[15:16], v[15:16], v[25:26]
	v_xor_b32_e32 v25, 4, v44
	s_waitcnt lgkmcnt(12)
	v_add_f64 v[9:10], v[9:10], v[27:28]
	s_waitcnt lgkmcnt(10)
	v_add_f64 v[21:22], v[21:22], v[29:30]
	;; [unrolled: 2-line block ×3, first 2 shown]
	v_cmp_gt_i32_e32 vcc_lo, 32, v25
	s_waitcnt lgkmcnt(6)
	v_add_f64 v[17:18], v[17:18], v[33:34]
	s_waitcnt lgkmcnt(4)
	v_add_f64 v[19:20], v[19:20], v[35:36]
	;; [unrolled: 2-line block ×3, first 2 shown]
	v_cndmask_b32_e32 v25, v44, v25, vcc_lo
	s_waitcnt lgkmcnt(0)
	v_add_f64 v[13:14], v[13:14], v[39:40]
	s_delay_alu instid0(VALU_DEP_2)
	v_lshlrev_b32_e32 v40, 2, v25
	ds_bpermute_b32 v25, v40, v15
	ds_bpermute_b32 v26, v40, v16
	ds_bpermute_b32 v27, v40, v9
	ds_bpermute_b32 v28, v40, v10
	ds_bpermute_b32 v29, v40, v21
	ds_bpermute_b32 v30, v40, v22
	ds_bpermute_b32 v31, v40, v23
	ds_bpermute_b32 v32, v40, v24
	ds_bpermute_b32 v33, v40, v17
	ds_bpermute_b32 v34, v40, v18
	ds_bpermute_b32 v35, v40, v19
	ds_bpermute_b32 v36, v40, v20
	ds_bpermute_b32 v37, v40, v11
	ds_bpermute_b32 v38, v40, v12
	ds_bpermute_b32 v39, v40, v13
	ds_bpermute_b32 v40, v40, v14
	s_waitcnt lgkmcnt(14)
	v_add_f64 v[15:16], v[15:16], v[25:26]
	s_waitcnt lgkmcnt(12)
	v_add_f64 v[25:26], v[9:10], v[27:28]
	v_xor_b32_e32 v9, 2, v44
	s_waitcnt lgkmcnt(10)
	v_add_f64 v[21:22], v[21:22], v[29:30]
	s_waitcnt lgkmcnt(8)
	v_add_f64 v[27:28], v[23:24], v[31:32]
	;; [unrolled: 2-line block ×3, first 2 shown]
	v_cmp_gt_i32_e32 vcc_lo, 32, v9
	s_waitcnt lgkmcnt(4)
	v_add_f64 v[19:20], v[19:20], v[35:36]
	s_waitcnt lgkmcnt(2)
	v_add_f64 v[29:30], v[11:12], v[37:38]
	;; [unrolled: 2-line block ×3, first 2 shown]
	v_cndmask_b32_e32 v9, v44, v9, vcc_lo
	s_delay_alu instid0(VALU_DEP_1)
	v_lshlrev_b32_e32 v23, 2, v9
	ds_bpermute_b32 v9, v23, v15
	ds_bpermute_b32 v10, v23, v16
	;; [unrolled: 1-line block ×16, first 2 shown]
	s_waitcnt lgkmcnt(14)
	v_add_f64 v[9:10], v[15:16], v[9:10]
	s_waitcnt lgkmcnt(12)
	v_add_f64 v[23:24], v[25:26], v[11:12]
	v_xor_b32_e32 v25, 1, v44
	s_waitcnt lgkmcnt(10)
	v_add_f64 v[11:12], v[21:22], v[13:14]
	s_waitcnt lgkmcnt(8)
	v_add_f64 v[21:22], v[27:28], v[33:34]
	;; [unrolled: 2-line block ×3, first 2 shown]
	v_cmp_gt_i32_e32 vcc_lo, 32, v25
	s_waitcnt lgkmcnt(4)
	v_add_f64 v[19:20], v[19:20], v[37:38]
	s_waitcnt lgkmcnt(2)
	v_add_f64 v[15:16], v[29:30], v[39:40]
	;; [unrolled: 2-line block ×3, first 2 shown]
	v_cndmask_b32_e32 v25, v44, v25, vcc_lo
	v_cmp_eq_u32_e32 vcc_lo, 15, v41
	s_delay_alu instid0(VALU_DEP_2)
	v_lshlrev_b32_e32 v28, 2, v25
	ds_bpermute_b32 v39, v28, v9
	ds_bpermute_b32 v40, v28, v10
	ds_bpermute_b32 v37, v28, v23
	ds_bpermute_b32 v38, v28, v24
	ds_bpermute_b32 v35, v28, v11
	ds_bpermute_b32 v36, v28, v12
	ds_bpermute_b32 v33, v28, v21
	ds_bpermute_b32 v34, v28, v22
	ds_bpermute_b32 v31, v28, v13
	ds_bpermute_b32 v32, v28, v14
	ds_bpermute_b32 v29, v28, v19
	ds_bpermute_b32 v30, v28, v20
	ds_bpermute_b32 v25, v28, v15
	ds_bpermute_b32 v26, v28, v16
	ds_bpermute_b32 v27, v28, v17
	ds_bpermute_b32 v28, v28, v18
	s_and_b32 exec_lo, exec_lo, vcc_lo
	s_cbranch_execz .LBB113_25
; %bb.21:
	v_cmp_eq_f64_e32 vcc_lo, 0, v[4:5]
	v_cmp_eq_f64_e64 s0, 0, v[6:7]
	s_waitcnt lgkmcnt(14)
	v_add_f64 v[9:10], v[9:10], v[39:40]
	s_waitcnt lgkmcnt(12)
	v_add_f64 v[23:24], v[23:24], v[37:38]
	;; [unrolled: 2-line block ×8, first 2 shown]
	s_load_b64 s[2:3], s[2:3], 0x48
	s_and_b32 s0, vcc_lo, s0
	s_delay_alu instid0(SALU_CYCLE_1) | instskip(NEXT) | instid1(SALU_CYCLE_1)
	s_and_saveexec_b32 s1, s0
	s_xor_b32 s0, exec_lo, s1
	s_cbranch_execz .LBB113_23
; %bb.22:
	v_mul_f64 v[4:5], v[23:24], -v[2:3]
	v_mul_f64 v[6:7], v[0:1], v[23:24]
	v_mul_f64 v[23:24], v[21:22], -v[2:3]
	v_mul_f64 v[21:22], v[0:1], v[21:22]
	v_mul_f64 v[25:26], v[19:20], -v[2:3]
	v_mul_f64 v[19:20], v[0:1], v[19:20]
	v_mul_f64 v[27:28], v[17:18], -v[2:3]
	v_mul_f64 v[29:30], v[0:1], v[17:18]
	v_fma_f64 v[4:5], v[0:1], v[9:10], v[4:5]
	v_fma_f64 v[6:7], v[2:3], v[9:10], v[6:7]
	v_fma_f64 v[9:10], v[0:1], v[11:12], v[23:24]
	v_fma_f64 v[11:12], v[2:3], v[11:12], v[21:22]
	v_fma_f64 v[17:18], v[0:1], v[13:14], v[25:26]
	v_fma_f64 v[19:20], v[2:3], v[13:14], v[19:20]
	v_fma_f64 v[0:1], v[0:1], v[15:16], v[27:28]
	v_fma_f64 v[2:3], v[2:3], v[15:16], v[29:30]
	v_lshlrev_b32_e32 v13, 2, v8
                                        ; implicit-def: $vgpr8
                                        ; implicit-def: $vgpr23_vgpr24
                                        ; implicit-def: $vgpr21_vgpr22
                                        ; implicit-def: $vgpr15_vgpr16
	s_delay_alu instid0(VALU_DEP_1) | instskip(NEXT) | instid1(VALU_DEP_1)
	v_ashrrev_i32_e32 v14, 31, v13
	v_lshlrev_b64 v[13:14], 4, v[13:14]
	s_waitcnt lgkmcnt(0)
	s_delay_alu instid0(VALU_DEP_1) | instskip(NEXT) | instid1(VALU_DEP_2)
	v_add_co_u32 v13, vcc_lo, s2, v13
	v_add_co_ci_u32_e32 v14, vcc_lo, s3, v14, vcc_lo
	s_clause 0x3
	global_store_b128 v[13:14], v[4:7], off
	global_store_b128 v[13:14], v[9:12], off offset:16
	global_store_b128 v[13:14], v[17:20], off offset:32
	;; [unrolled: 1-line block ×3, first 2 shown]
                                        ; implicit-def: $vgpr0_vgpr1
                                        ; implicit-def: $vgpr2_vgpr3
                                        ; implicit-def: $vgpr4_vgpr5
                                        ; implicit-def: $vgpr6_vgpr7
                                        ; implicit-def: $vgpr9_vgpr10
                                        ; implicit-def: $vgpr11_vgpr12
                                        ; implicit-def: $vgpr13_vgpr14
                                        ; implicit-def: $vgpr19_vgpr20
                                        ; implicit-def: $vgpr17_vgpr18
.LBB113_23:
	s_and_not1_saveexec_b32 s0, s0
	s_cbranch_execz .LBB113_25
; %bb.24:
	v_lshlrev_b32_e32 v25, 2, v8
	v_mul_f64 v[43:44], v[23:24], -v[2:3]
	v_mul_f64 v[23:24], v[0:1], v[23:24]
	v_mul_f64 v[45:46], v[21:22], -v[2:3]
	v_mul_f64 v[21:22], v[0:1], v[21:22]
	v_ashrrev_i32_e32 v26, 31, v25
	v_mul_f64 v[47:48], v[19:20], -v[2:3]
	v_mul_f64 v[19:20], v[0:1], v[19:20]
	v_mul_f64 v[49:50], v[17:18], -v[2:3]
	v_mul_f64 v[17:18], v[0:1], v[17:18]
	v_lshlrev_b64 v[25:26], 4, v[25:26]
	s_waitcnt lgkmcnt(0)
	s_delay_alu instid0(VALU_DEP_1) | instskip(NEXT) | instid1(VALU_DEP_2)
	v_add_co_u32 v41, vcc_lo, s2, v25
	v_add_co_ci_u32_e32 v42, vcc_lo, s3, v26, vcc_lo
	s_clause 0x3
	global_load_b128 v[25:28], v[41:42], off
	global_load_b128 v[29:32], v[41:42], off offset:16
	global_load_b128 v[33:36], v[41:42], off offset:32
	;; [unrolled: 1-line block ×3, first 2 shown]
	v_fma_f64 v[43:44], v[0:1], v[9:10], v[43:44]
	v_fma_f64 v[8:9], v[2:3], v[9:10], v[23:24]
	v_fma_f64 v[23:24], v[0:1], v[11:12], v[45:46]
	v_fma_f64 v[10:11], v[2:3], v[11:12], v[21:22]
	v_fma_f64 v[21:22], v[0:1], v[13:14], v[47:48]
	v_fma_f64 v[12:13], v[2:3], v[13:14], v[19:20]
	v_fma_f64 v[0:1], v[0:1], v[15:16], v[49:50]
	v_fma_f64 v[2:3], v[2:3], v[15:16], v[17:18]
	s_waitcnt vmcnt(3)
	v_fma_f64 v[14:15], v[4:5], v[25:26], v[43:44]
	v_fma_f64 v[8:9], v[6:7], v[25:26], v[8:9]
	s_waitcnt vmcnt(2)
	v_fma_f64 v[16:17], v[4:5], v[29:30], v[23:24]
	v_fma_f64 v[10:11], v[6:7], v[29:30], v[10:11]
	;; [unrolled: 3-line block ×4, first 2 shown]
	v_fma_f64 v[0:1], -v[6:7], v[27:28], v[14:15]
	v_fma_f64 v[2:3], v[4:5], v[27:28], v[8:9]
	v_fma_f64 v[8:9], -v[6:7], v[31:32], v[16:17]
	v_fma_f64 v[10:11], v[4:5], v[31:32], v[10:11]
	;; [unrolled: 2-line block ×4, first 2 shown]
	s_clause 0x3
	global_store_b128 v[41:42], v[0:3], off
	global_store_b128 v[41:42], v[8:11], off offset:16
	global_store_b128 v[41:42], v[12:15], off offset:32
	;; [unrolled: 1-line block ×3, first 2 shown]
.LBB113_25:
	s_nop 0
	s_sendmsg sendmsg(MSG_DEALLOC_VGPRS)
	s_endpgm
	.section	.rodata,"a",@progbits
	.p2align	6, 0x0
	.amdhsa_kernel _ZN9rocsparseL19gebsrmvn_4xn_kernelILj128ELj1ELj16E21rocsparse_complex_numIdEEEvi20rocsparse_direction_NS_24const_host_device_scalarIT2_EEPKiS8_PKS5_SA_S6_PS5_21rocsparse_index_base_b
		.amdhsa_group_segment_fixed_size 2048
		.amdhsa_private_segment_fixed_size 0
		.amdhsa_kernarg_size 88
		.amdhsa_user_sgpr_count 15
		.amdhsa_user_sgpr_dispatch_ptr 1
		.amdhsa_user_sgpr_queue_ptr 0
		.amdhsa_user_sgpr_kernarg_segment_ptr 1
		.amdhsa_user_sgpr_dispatch_id 0
		.amdhsa_user_sgpr_private_segment_size 0
		.amdhsa_wavefront_size32 1
		.amdhsa_uses_dynamic_stack 0
		.amdhsa_enable_private_segment 0
		.amdhsa_system_sgpr_workgroup_id_x 1
		.amdhsa_system_sgpr_workgroup_id_y 0
		.amdhsa_system_sgpr_workgroup_id_z 0
		.amdhsa_system_sgpr_workgroup_info 0
		.amdhsa_system_vgpr_workitem_id 2
		.amdhsa_next_free_vgpr 54
		.amdhsa_next_free_sgpr 18
		.amdhsa_reserve_vcc 1
		.amdhsa_float_round_mode_32 0
		.amdhsa_float_round_mode_16_64 0
		.amdhsa_float_denorm_mode_32 3
		.amdhsa_float_denorm_mode_16_64 3
		.amdhsa_dx10_clamp 1
		.amdhsa_ieee_mode 1
		.amdhsa_fp16_overflow 0
		.amdhsa_workgroup_processor_mode 1
		.amdhsa_memory_ordered 1
		.amdhsa_forward_progress 0
		.amdhsa_shared_vgpr_count 0
		.amdhsa_exception_fp_ieee_invalid_op 0
		.amdhsa_exception_fp_denorm_src 0
		.amdhsa_exception_fp_ieee_div_zero 0
		.amdhsa_exception_fp_ieee_overflow 0
		.amdhsa_exception_fp_ieee_underflow 0
		.amdhsa_exception_fp_ieee_inexact 0
		.amdhsa_exception_int_div_zero 0
	.end_amdhsa_kernel
	.section	.text._ZN9rocsparseL19gebsrmvn_4xn_kernelILj128ELj1ELj16E21rocsparse_complex_numIdEEEvi20rocsparse_direction_NS_24const_host_device_scalarIT2_EEPKiS8_PKS5_SA_S6_PS5_21rocsparse_index_base_b,"axG",@progbits,_ZN9rocsparseL19gebsrmvn_4xn_kernelILj128ELj1ELj16E21rocsparse_complex_numIdEEEvi20rocsparse_direction_NS_24const_host_device_scalarIT2_EEPKiS8_PKS5_SA_S6_PS5_21rocsparse_index_base_b,comdat
.Lfunc_end113:
	.size	_ZN9rocsparseL19gebsrmvn_4xn_kernelILj128ELj1ELj16E21rocsparse_complex_numIdEEEvi20rocsparse_direction_NS_24const_host_device_scalarIT2_EEPKiS8_PKS5_SA_S6_PS5_21rocsparse_index_base_b, .Lfunc_end113-_ZN9rocsparseL19gebsrmvn_4xn_kernelILj128ELj1ELj16E21rocsparse_complex_numIdEEEvi20rocsparse_direction_NS_24const_host_device_scalarIT2_EEPKiS8_PKS5_SA_S6_PS5_21rocsparse_index_base_b
                                        ; -- End function
	.section	.AMDGPU.csdata,"",@progbits
; Kernel info:
; codeLenInByte = 3068
; NumSgprs: 20
; NumVgprs: 54
; ScratchSize: 0
; MemoryBound: 0
; FloatMode: 240
; IeeeMode: 1
; LDSByteSize: 2048 bytes/workgroup (compile time only)
; SGPRBlocks: 2
; VGPRBlocks: 6
; NumSGPRsForWavesPerEU: 20
; NumVGPRsForWavesPerEU: 54
; Occupancy: 16
; WaveLimiterHint : 1
; COMPUTE_PGM_RSRC2:SCRATCH_EN: 0
; COMPUTE_PGM_RSRC2:USER_SGPR: 15
; COMPUTE_PGM_RSRC2:TRAP_HANDLER: 0
; COMPUTE_PGM_RSRC2:TGID_X_EN: 1
; COMPUTE_PGM_RSRC2:TGID_Y_EN: 0
; COMPUTE_PGM_RSRC2:TGID_Z_EN: 0
; COMPUTE_PGM_RSRC2:TIDIG_COMP_CNT: 2
	.section	.text._ZN9rocsparseL19gebsrmvn_4xn_kernelILj128ELj1ELj32E21rocsparse_complex_numIdEEEvi20rocsparse_direction_NS_24const_host_device_scalarIT2_EEPKiS8_PKS5_SA_S6_PS5_21rocsparse_index_base_b,"axG",@progbits,_ZN9rocsparseL19gebsrmvn_4xn_kernelILj128ELj1ELj32E21rocsparse_complex_numIdEEEvi20rocsparse_direction_NS_24const_host_device_scalarIT2_EEPKiS8_PKS5_SA_S6_PS5_21rocsparse_index_base_b,comdat
	.globl	_ZN9rocsparseL19gebsrmvn_4xn_kernelILj128ELj1ELj32E21rocsparse_complex_numIdEEEvi20rocsparse_direction_NS_24const_host_device_scalarIT2_EEPKiS8_PKS5_SA_S6_PS5_21rocsparse_index_base_b ; -- Begin function _ZN9rocsparseL19gebsrmvn_4xn_kernelILj128ELj1ELj32E21rocsparse_complex_numIdEEEvi20rocsparse_direction_NS_24const_host_device_scalarIT2_EEPKiS8_PKS5_SA_S6_PS5_21rocsparse_index_base_b
	.p2align	8
	.type	_ZN9rocsparseL19gebsrmvn_4xn_kernelILj128ELj1ELj32E21rocsparse_complex_numIdEEEvi20rocsparse_direction_NS_24const_host_device_scalarIT2_EEPKiS8_PKS5_SA_S6_PS5_21rocsparse_index_base_b,@function
_ZN9rocsparseL19gebsrmvn_4xn_kernelILj128ELj1ELj32E21rocsparse_complex_numIdEEEvi20rocsparse_direction_NS_24const_host_device_scalarIT2_EEPKiS8_PKS5_SA_S6_PS5_21rocsparse_index_base_b: ; @_ZN9rocsparseL19gebsrmvn_4xn_kernelILj128ELj1ELj32E21rocsparse_complex_numIdEEEvi20rocsparse_direction_NS_24const_host_device_scalarIT2_EEPKiS8_PKS5_SA_S6_PS5_21rocsparse_index_base_b
; %bb.0:
	s_load_b64 s[12:13], s[2:3], 0x50
	s_load_b64 s[16:17], s[0:1], 0x4
	s_load_b128 s[8:11], s[2:3], 0x8
	v_bfe_u32 v1, v0, 10, 10
	s_mov_b64 s[0:1], src_shared_base
	s_load_b128 s[4:7], s[2:3], 0x38
	v_and_b32_e32 v10, 0x3ff, v0
	v_bfe_u32 v0, v0, 20, 10
	s_waitcnt lgkmcnt(0)
	s_bitcmp1_b32 s13, 0
	v_mul_u32_u24_e32 v1, s17, v1
	s_cselect_b32 s0, -1, 0
	s_delay_alu instid0(SALU_CYCLE_1)
	s_and_b32 vcc_lo, s0, exec_lo
	s_cselect_b32 s13, s1, s9
	s_lshr_b32 s14, s16, 16
	v_dual_mov_b32 v2, s4 :: v_dual_mov_b32 v3, s5
	s_mul_i32 s14, s14, s17
	v_mov_b32_e32 v6, s13
	v_mad_u32_u24 v1, s14, v10, v1
	s_delay_alu instid0(VALU_DEP_1) | instskip(SKIP_1) | instid1(VALU_DEP_2)
	v_add_lshl_u32 v4, v1, v0, 3
	v_dual_mov_b32 v0, s8 :: v_dual_mov_b32 v1, s9
	v_add_nc_u32_e32 v5, 0x400, v4
	ds_store_2addr_stride64_b64 v4, v[2:3], v[0:1] offset1:2
	v_dual_mov_b32 v2, s10 :: v_dual_mov_b32 v3, s11
	v_cndmask_b32_e64 v5, s8, v5, s0
	s_xor_b32 s10, s0, -1
	flat_load_b64 v[0:1], v[5:6]
	s_cbranch_vccnz .LBB114_2
; %bb.1:
	v_dual_mov_b32 v2, s8 :: v_dual_mov_b32 v3, s9
	flat_load_b64 v[2:3], v[2:3] offset:8
.LBB114_2:
	s_and_b32 s8, s0, exec_lo
	s_cselect_b32 s1, s1, s5
	v_cndmask_b32_e64 v4, s4, v4, s0
	v_dual_mov_b32 v5, s1 :: v_dual_mov_b32 v6, s6
	v_mov_b32_e32 v7, s7
	s_and_not1_b32 vcc_lo, exec_lo, s10
	flat_load_b64 v[4:5], v[4:5]
	s_cbranch_vccnz .LBB114_4
; %bb.3:
	v_dual_mov_b32 v7, s5 :: v_dual_mov_b32 v6, s4
	flat_load_b64 v[6:7], v[6:7] offset:8
.LBB114_4:
	s_waitcnt vmcnt(1) lgkmcnt(1)
	v_cmp_eq_f64_e32 vcc_lo, 0, v[0:1]
	v_cmp_eq_f64_e64 s0, 0, v[2:3]
	s_delay_alu instid0(VALU_DEP_1)
	s_and_b32 s4, vcc_lo, s0
	s_mov_b32 s0, -1
	s_and_saveexec_b32 s1, s4
	s_cbranch_execz .LBB114_6
; %bb.5:
	s_waitcnt vmcnt(0) lgkmcnt(0)
	v_cmp_neq_f64_e32 vcc_lo, 1.0, v[4:5]
	v_cmp_neq_f64_e64 s0, 0, v[6:7]
	s_delay_alu instid0(VALU_DEP_1) | instskip(NEXT) | instid1(SALU_CYCLE_1)
	s_or_b32 s0, vcc_lo, s0
	s_or_not1_b32 s0, s0, exec_lo
.LBB114_6:
	s_or_b32 exec_lo, exec_lo, s1
	s_and_saveexec_b32 s1, s0
	s_cbranch_execz .LBB114_25
; %bb.7:
	s_load_b64 s[0:1], s[2:3], 0x0
	v_lshrrev_b32_e32 v8, 5, v10
	s_delay_alu instid0(VALU_DEP_1) | instskip(SKIP_1) | instid1(VALU_DEP_1)
	v_lshl_or_b32 v8, s15, 2, v8
	s_waitcnt lgkmcnt(0)
	v_cmp_gt_i32_e32 vcc_lo, s0, v8
	s_and_b32 exec_lo, exec_lo, vcc_lo
	s_cbranch_execz .LBB114_25
; %bb.8:
	s_load_b256 s[4:11], s[2:3], 0x18
	v_ashrrev_i32_e32 v9, 31, v8
	v_and_b32_e32 v41, 31, v10
	s_cmp_lg_u32 s1, 0
	s_delay_alu instid0(VALU_DEP_2) | instskip(SKIP_1) | instid1(VALU_DEP_1)
	v_lshlrev_b64 v[11:12], 2, v[8:9]
	s_waitcnt lgkmcnt(0)
	v_add_co_u32 v11, vcc_lo, s4, v11
	s_delay_alu instid0(VALU_DEP_2) | instskip(SKIP_4) | instid1(VALU_DEP_2)
	v_add_co_ci_u32_e32 v12, vcc_lo, s5, v12, vcc_lo
	global_load_b64 v[11:12], v[11:12], off
	s_waitcnt vmcnt(0)
	v_subrev_nc_u32_e32 v9, s12, v11
	v_subrev_nc_u32_e32 v30, s12, v12
	v_add_nc_u32_e32 v25, v9, v41
	s_delay_alu instid0(VALU_DEP_1)
	v_cmp_lt_i32_e64 s0, v25, v30
	s_cbranch_scc0 .LBB114_14
; %bb.9:
	v_mov_b32_e32 v9, 0
	v_mov_b32_e32 v10, 0
	s_delay_alu instid0(VALU_DEP_1)
	v_dual_mov_b32 v16, v10 :: v_dual_mov_b32 v15, v9
	v_dual_mov_b32 v12, v10 :: v_dual_mov_b32 v11, v9
	;; [unrolled: 1-line block ×7, first 2 shown]
	s_and_saveexec_b32 s1, s0
	s_cbranch_execz .LBB114_13
; %bb.10:
	v_dual_mov_b32 v9, 0 :: v_dual_lshlrev_b32 v26, 2, v25
	v_dual_mov_b32 v10, 0 :: v_dual_mov_b32 v27, 0
	v_mov_b32_e32 v28, v25
	s_mov_b32 s4, 0
	s_delay_alu instid0(VALU_DEP_2)
	v_dual_mov_b32 v16, v10 :: v_dual_mov_b32 v15, v9
	v_dual_mov_b32 v12, v10 :: v_dual_mov_b32 v11, v9
	;; [unrolled: 1-line block ×7, first 2 shown]
.LBB114_11:                             ; =>This Inner Loop Header: Depth=1
	v_ashrrev_i32_e32 v29, 31, v28
	v_mov_b32_e32 v40, v27
	s_delay_alu instid0(VALU_DEP_2) | instskip(SKIP_1) | instid1(VALU_DEP_2)
	v_lshlrev_b64 v[31:32], 2, v[28:29]
	v_add_nc_u32_e32 v28, 32, v28
	v_add_co_u32 v31, vcc_lo, s6, v31
	s_delay_alu instid0(VALU_DEP_3) | instskip(SKIP_3) | instid1(VALU_DEP_2)
	v_add_co_ci_u32_e32 v32, vcc_lo, s7, v32, vcc_lo
	global_load_b32 v29, v[31:32], off
	v_lshlrev_b64 v[31:32], 4, v[26:27]
	v_add_nc_u32_e32 v26, 0x80, v26
	v_add_co_u32 v46, vcc_lo, s8, v31
	s_delay_alu instid0(VALU_DEP_3)
	v_add_co_ci_u32_e32 v47, vcc_lo, s9, v32, vcc_lo
	s_clause 0x3
	global_load_b128 v[31:34], v[46:47], off offset:48
	global_load_b128 v[35:38], v[46:47], off offset:32
	;; [unrolled: 1-line block ×3, first 2 shown]
	global_load_b128 v[46:49], v[46:47], off
	s_waitcnt vmcnt(4)
	v_subrev_nc_u32_e32 v39, s12, v29
	s_delay_alu instid0(VALU_DEP_1) | instskip(NEXT) | instid1(VALU_DEP_1)
	v_lshlrev_b64 v[39:40], 4, v[39:40]
	v_add_co_u32 v39, vcc_lo, s10, v39
	s_delay_alu instid0(VALU_DEP_2)
	v_add_co_ci_u32_e32 v40, vcc_lo, s11, v40, vcc_lo
	v_cmp_ge_i32_e32 vcc_lo, v28, v30
	global_load_b128 v[50:53], v[39:40], off
	s_or_b32 s4, vcc_lo, s4
	s_waitcnt vmcnt(0)
	v_fma_f64 v[15:16], v[46:47], v[50:51], v[15:16]
	v_fma_f64 v[9:10], v[48:49], v[50:51], v[9:10]
	;; [unrolled: 1-line block ×8, first 2 shown]
	v_fma_f64 v[15:16], -v[48:49], v[52:53], v[15:16]
	v_fma_f64 v[9:10], v[46:47], v[52:53], v[9:10]
	v_fma_f64 v[21:22], -v[44:45], v[52:53], v[21:22]
	v_fma_f64 v[23:24], v[42:43], v[52:53], v[23:24]
	;; [unrolled: 2-line block ×4, first 2 shown]
	s_and_not1_b32 exec_lo, exec_lo, s4
	s_cbranch_execnz .LBB114_11
; %bb.12:
	s_or_b32 exec_lo, exec_lo, s4
.LBB114_13:
	s_delay_alu instid0(SALU_CYCLE_1)
	s_or_b32 exec_lo, exec_lo, s1
	s_cbranch_execz .LBB114_15
	s_branch .LBB114_20
.LBB114_14:
                                        ; implicit-def: $vgpr9_vgpr10
                                        ; implicit-def: $vgpr15_vgpr16
                                        ; implicit-def: $vgpr11_vgpr12
                                        ; implicit-def: $vgpr13_vgpr14
                                        ; implicit-def: $vgpr17_vgpr18
                                        ; implicit-def: $vgpr19_vgpr20
                                        ; implicit-def: $vgpr21_vgpr22
                                        ; implicit-def: $vgpr23_vgpr24
.LBB114_15:
	v_mov_b32_e32 v9, 0
	v_mov_b32_e32 v10, 0
	s_delay_alu instid0(VALU_DEP_1)
	v_dual_mov_b32 v16, v10 :: v_dual_mov_b32 v15, v9
	v_dual_mov_b32 v12, v10 :: v_dual_mov_b32 v11, v9
	;; [unrolled: 1-line block ×7, first 2 shown]
	s_and_saveexec_b32 s1, s0
	s_cbranch_execz .LBB114_19
; %bb.16:
	v_dual_mov_b32 v9, 0 :: v_dual_mov_b32 v28, 0
	v_dual_mov_b32 v10, 0 :: v_dual_lshlrev_b32 v27, 2, v25
	s_mov_b32 s0, 0
	s_delay_alu instid0(VALU_DEP_1)
	v_dual_mov_b32 v16, v10 :: v_dual_mov_b32 v15, v9
	v_dual_mov_b32 v12, v10 :: v_dual_mov_b32 v11, v9
	;; [unrolled: 1-line block ×7, first 2 shown]
.LBB114_17:                             ; =>This Inner Loop Header: Depth=1
	v_ashrrev_i32_e32 v26, 31, v25
	v_mov_b32_e32 v40, v28
	s_delay_alu instid0(VALU_DEP_2) | instskip(SKIP_1) | instid1(VALU_DEP_2)
	v_lshlrev_b64 v[31:32], 2, v[25:26]
	v_add_nc_u32_e32 v25, 32, v25
	v_add_co_u32 v31, vcc_lo, s6, v31
	s_delay_alu instid0(VALU_DEP_3) | instskip(SKIP_3) | instid1(VALU_DEP_2)
	v_add_co_ci_u32_e32 v32, vcc_lo, s7, v32, vcc_lo
	global_load_b32 v26, v[31:32], off
	v_lshlrev_b64 v[31:32], 4, v[27:28]
	v_add_nc_u32_e32 v27, 0x80, v27
	v_add_co_u32 v46, vcc_lo, s8, v31
	s_delay_alu instid0(VALU_DEP_3)
	v_add_co_ci_u32_e32 v47, vcc_lo, s9, v32, vcc_lo
	s_clause 0x3
	global_load_b128 v[31:34], v[46:47], off offset:48
	global_load_b128 v[35:38], v[46:47], off offset:32
	;; [unrolled: 1-line block ×3, first 2 shown]
	global_load_b128 v[46:49], v[46:47], off
	s_waitcnt vmcnt(4)
	v_subrev_nc_u32_e32 v39, s12, v26
	s_delay_alu instid0(VALU_DEP_1) | instskip(NEXT) | instid1(VALU_DEP_1)
	v_lshlrev_b64 v[39:40], 4, v[39:40]
	v_add_co_u32 v39, vcc_lo, s10, v39
	s_delay_alu instid0(VALU_DEP_2)
	v_add_co_ci_u32_e32 v40, vcc_lo, s11, v40, vcc_lo
	v_cmp_ge_i32_e32 vcc_lo, v25, v30
	global_load_b128 v[50:53], v[39:40], off
	s_or_b32 s0, vcc_lo, s0
	s_waitcnt vmcnt(0)
	v_fma_f64 v[15:16], v[46:47], v[50:51], v[15:16]
	v_fma_f64 v[9:10], v[48:49], v[50:51], v[9:10]
	;; [unrolled: 1-line block ×8, first 2 shown]
	v_fma_f64 v[15:16], -v[48:49], v[52:53], v[15:16]
	v_fma_f64 v[9:10], v[46:47], v[52:53], v[9:10]
	v_fma_f64 v[21:22], -v[44:45], v[52:53], v[21:22]
	v_fma_f64 v[23:24], v[42:43], v[52:53], v[23:24]
	;; [unrolled: 2-line block ×4, first 2 shown]
	s_and_not1_b32 exec_lo, exec_lo, s0
	s_cbranch_execnz .LBB114_17
; %bb.18:
	s_or_b32 exec_lo, exec_lo, s0
.LBB114_19:
	s_delay_alu instid0(SALU_CYCLE_1)
	s_or_b32 exec_lo, exec_lo, s1
.LBB114_20:
	v_mbcnt_lo_u32_b32 v44, -1, 0
	s_delay_alu instid0(VALU_DEP_1) | instskip(NEXT) | instid1(VALU_DEP_1)
	v_xor_b32_e32 v25, 16, v44
	v_cmp_gt_i32_e32 vcc_lo, 32, v25
	v_cndmask_b32_e32 v25, v44, v25, vcc_lo
	s_delay_alu instid0(VALU_DEP_1)
	v_lshlrev_b32_e32 v40, 2, v25
	ds_bpermute_b32 v25, v40, v15
	ds_bpermute_b32 v26, v40, v16
	;; [unrolled: 1-line block ×16, first 2 shown]
	s_waitcnt lgkmcnt(14)
	v_add_f64 v[15:16], v[15:16], v[25:26]
	v_xor_b32_e32 v25, 8, v44
	s_waitcnt lgkmcnt(12)
	v_add_f64 v[9:10], v[9:10], v[27:28]
	s_waitcnt lgkmcnt(10)
	v_add_f64 v[21:22], v[21:22], v[29:30]
	s_waitcnt lgkmcnt(8)
	v_add_f64 v[23:24], v[23:24], v[31:32]
	v_cmp_gt_i32_e32 vcc_lo, 32, v25
	s_waitcnt lgkmcnt(6)
	v_add_f64 v[17:18], v[17:18], v[33:34]
	s_waitcnt lgkmcnt(4)
	v_add_f64 v[19:20], v[19:20], v[35:36]
	;; [unrolled: 2-line block ×3, first 2 shown]
	v_cndmask_b32_e32 v25, v44, v25, vcc_lo
	s_waitcnt lgkmcnt(0)
	v_add_f64 v[13:14], v[13:14], v[39:40]
	s_delay_alu instid0(VALU_DEP_2)
	v_lshlrev_b32_e32 v40, 2, v25
	ds_bpermute_b32 v25, v40, v15
	ds_bpermute_b32 v26, v40, v16
	;; [unrolled: 1-line block ×16, first 2 shown]
	s_waitcnt lgkmcnt(14)
	v_add_f64 v[15:16], v[15:16], v[25:26]
	v_xor_b32_e32 v25, 4, v44
	s_waitcnt lgkmcnt(12)
	v_add_f64 v[9:10], v[9:10], v[27:28]
	s_waitcnt lgkmcnt(10)
	v_add_f64 v[21:22], v[21:22], v[29:30]
	;; [unrolled: 2-line block ×3, first 2 shown]
	v_cmp_gt_i32_e32 vcc_lo, 32, v25
	s_waitcnt lgkmcnt(6)
	v_add_f64 v[17:18], v[17:18], v[33:34]
	s_waitcnt lgkmcnt(4)
	v_add_f64 v[19:20], v[19:20], v[35:36]
	;; [unrolled: 2-line block ×3, first 2 shown]
	v_cndmask_b32_e32 v25, v44, v25, vcc_lo
	s_waitcnt lgkmcnt(0)
	v_add_f64 v[13:14], v[13:14], v[39:40]
	s_delay_alu instid0(VALU_DEP_2)
	v_lshlrev_b32_e32 v40, 2, v25
	ds_bpermute_b32 v25, v40, v15
	ds_bpermute_b32 v26, v40, v16
	;; [unrolled: 1-line block ×16, first 2 shown]
	s_waitcnt lgkmcnt(14)
	v_add_f64 v[15:16], v[15:16], v[25:26]
	s_waitcnt lgkmcnt(12)
	v_add_f64 v[25:26], v[9:10], v[27:28]
	v_xor_b32_e32 v9, 2, v44
	s_waitcnt lgkmcnt(10)
	v_add_f64 v[21:22], v[21:22], v[29:30]
	s_waitcnt lgkmcnt(8)
	v_add_f64 v[27:28], v[23:24], v[31:32]
	;; [unrolled: 2-line block ×3, first 2 shown]
	v_cmp_gt_i32_e32 vcc_lo, 32, v9
	s_waitcnt lgkmcnt(4)
	v_add_f64 v[19:20], v[19:20], v[35:36]
	s_waitcnt lgkmcnt(2)
	v_add_f64 v[29:30], v[11:12], v[37:38]
	;; [unrolled: 2-line block ×3, first 2 shown]
	v_cndmask_b32_e32 v9, v44, v9, vcc_lo
	s_delay_alu instid0(VALU_DEP_1)
	v_lshlrev_b32_e32 v23, 2, v9
	ds_bpermute_b32 v9, v23, v15
	ds_bpermute_b32 v10, v23, v16
	;; [unrolled: 1-line block ×16, first 2 shown]
	s_waitcnt lgkmcnt(14)
	v_add_f64 v[9:10], v[15:16], v[9:10]
	s_waitcnt lgkmcnt(12)
	v_add_f64 v[23:24], v[25:26], v[11:12]
	v_xor_b32_e32 v25, 1, v44
	s_waitcnt lgkmcnt(10)
	v_add_f64 v[11:12], v[21:22], v[13:14]
	s_waitcnt lgkmcnt(8)
	v_add_f64 v[21:22], v[27:28], v[33:34]
	;; [unrolled: 2-line block ×3, first 2 shown]
	v_cmp_gt_i32_e32 vcc_lo, 32, v25
	s_waitcnt lgkmcnt(4)
	v_add_f64 v[19:20], v[19:20], v[37:38]
	s_waitcnt lgkmcnt(2)
	v_add_f64 v[15:16], v[29:30], v[39:40]
	s_waitcnt lgkmcnt(0)
	v_add_f64 v[17:18], v[31:32], v[42:43]
	v_cndmask_b32_e32 v25, v44, v25, vcc_lo
	v_cmp_eq_u32_e32 vcc_lo, 31, v41
	s_delay_alu instid0(VALU_DEP_2)
	v_lshlrev_b32_e32 v28, 2, v25
	ds_bpermute_b32 v39, v28, v9
	ds_bpermute_b32 v40, v28, v10
	;; [unrolled: 1-line block ×16, first 2 shown]
	s_and_b32 exec_lo, exec_lo, vcc_lo
	s_cbranch_execz .LBB114_25
; %bb.21:
	v_cmp_eq_f64_e32 vcc_lo, 0, v[4:5]
	v_cmp_eq_f64_e64 s0, 0, v[6:7]
	s_waitcnt lgkmcnt(14)
	v_add_f64 v[9:10], v[9:10], v[39:40]
	s_waitcnt lgkmcnt(12)
	v_add_f64 v[23:24], v[23:24], v[37:38]
	;; [unrolled: 2-line block ×8, first 2 shown]
	s_load_b64 s[2:3], s[2:3], 0x48
	s_and_b32 s0, vcc_lo, s0
	s_delay_alu instid0(SALU_CYCLE_1) | instskip(NEXT) | instid1(SALU_CYCLE_1)
	s_and_saveexec_b32 s1, s0
	s_xor_b32 s0, exec_lo, s1
	s_cbranch_execz .LBB114_23
; %bb.22:
	v_mul_f64 v[4:5], v[23:24], -v[2:3]
	v_mul_f64 v[6:7], v[0:1], v[23:24]
	v_mul_f64 v[23:24], v[21:22], -v[2:3]
	v_mul_f64 v[21:22], v[0:1], v[21:22]
	;; [unrolled: 2-line block ×4, first 2 shown]
	v_fma_f64 v[4:5], v[0:1], v[9:10], v[4:5]
	v_fma_f64 v[6:7], v[2:3], v[9:10], v[6:7]
	;; [unrolled: 1-line block ×8, first 2 shown]
	v_lshlrev_b32_e32 v13, 2, v8
                                        ; implicit-def: $vgpr8
                                        ; implicit-def: $vgpr23_vgpr24
                                        ; implicit-def: $vgpr21_vgpr22
                                        ; implicit-def: $vgpr15_vgpr16
	s_delay_alu instid0(VALU_DEP_1) | instskip(NEXT) | instid1(VALU_DEP_1)
	v_ashrrev_i32_e32 v14, 31, v13
	v_lshlrev_b64 v[13:14], 4, v[13:14]
	s_waitcnt lgkmcnt(0)
	s_delay_alu instid0(VALU_DEP_1) | instskip(NEXT) | instid1(VALU_DEP_2)
	v_add_co_u32 v13, vcc_lo, s2, v13
	v_add_co_ci_u32_e32 v14, vcc_lo, s3, v14, vcc_lo
	s_clause 0x3
	global_store_b128 v[13:14], v[4:7], off
	global_store_b128 v[13:14], v[9:12], off offset:16
	global_store_b128 v[13:14], v[17:20], off offset:32
	;; [unrolled: 1-line block ×3, first 2 shown]
                                        ; implicit-def: $vgpr0_vgpr1
                                        ; implicit-def: $vgpr2_vgpr3
                                        ; implicit-def: $vgpr4_vgpr5
                                        ; implicit-def: $vgpr6_vgpr7
                                        ; implicit-def: $vgpr9_vgpr10
                                        ; implicit-def: $vgpr11_vgpr12
                                        ; implicit-def: $vgpr13_vgpr14
                                        ; implicit-def: $vgpr19_vgpr20
                                        ; implicit-def: $vgpr17_vgpr18
.LBB114_23:
	s_and_not1_saveexec_b32 s0, s0
	s_cbranch_execz .LBB114_25
; %bb.24:
	v_lshlrev_b32_e32 v25, 2, v8
	v_mul_f64 v[43:44], v[23:24], -v[2:3]
	v_mul_f64 v[23:24], v[0:1], v[23:24]
	v_mul_f64 v[45:46], v[21:22], -v[2:3]
	v_mul_f64 v[21:22], v[0:1], v[21:22]
	v_ashrrev_i32_e32 v26, 31, v25
	v_mul_f64 v[47:48], v[19:20], -v[2:3]
	v_mul_f64 v[19:20], v[0:1], v[19:20]
	v_mul_f64 v[49:50], v[17:18], -v[2:3]
	v_mul_f64 v[17:18], v[0:1], v[17:18]
	v_lshlrev_b64 v[25:26], 4, v[25:26]
	s_waitcnt lgkmcnt(0)
	s_delay_alu instid0(VALU_DEP_1) | instskip(NEXT) | instid1(VALU_DEP_2)
	v_add_co_u32 v41, vcc_lo, s2, v25
	v_add_co_ci_u32_e32 v42, vcc_lo, s3, v26, vcc_lo
	s_clause 0x3
	global_load_b128 v[25:28], v[41:42], off
	global_load_b128 v[29:32], v[41:42], off offset:16
	global_load_b128 v[33:36], v[41:42], off offset:32
	;; [unrolled: 1-line block ×3, first 2 shown]
	v_fma_f64 v[43:44], v[0:1], v[9:10], v[43:44]
	v_fma_f64 v[8:9], v[2:3], v[9:10], v[23:24]
	;; [unrolled: 1-line block ×8, first 2 shown]
	s_waitcnt vmcnt(3)
	v_fma_f64 v[14:15], v[4:5], v[25:26], v[43:44]
	v_fma_f64 v[8:9], v[6:7], v[25:26], v[8:9]
	s_waitcnt vmcnt(2)
	v_fma_f64 v[16:17], v[4:5], v[29:30], v[23:24]
	v_fma_f64 v[10:11], v[6:7], v[29:30], v[10:11]
	;; [unrolled: 3-line block ×4, first 2 shown]
	v_fma_f64 v[0:1], -v[6:7], v[27:28], v[14:15]
	v_fma_f64 v[2:3], v[4:5], v[27:28], v[8:9]
	v_fma_f64 v[8:9], -v[6:7], v[31:32], v[16:17]
	v_fma_f64 v[10:11], v[4:5], v[31:32], v[10:11]
	;; [unrolled: 2-line block ×4, first 2 shown]
	s_clause 0x3
	global_store_b128 v[41:42], v[0:3], off
	global_store_b128 v[41:42], v[8:11], off offset:16
	global_store_b128 v[41:42], v[12:15], off offset:32
	;; [unrolled: 1-line block ×3, first 2 shown]
.LBB114_25:
	s_nop 0
	s_sendmsg sendmsg(MSG_DEALLOC_VGPRS)
	s_endpgm
	.section	.rodata,"a",@progbits
	.p2align	6, 0x0
	.amdhsa_kernel _ZN9rocsparseL19gebsrmvn_4xn_kernelILj128ELj1ELj32E21rocsparse_complex_numIdEEEvi20rocsparse_direction_NS_24const_host_device_scalarIT2_EEPKiS8_PKS5_SA_S6_PS5_21rocsparse_index_base_b
		.amdhsa_group_segment_fixed_size 2048
		.amdhsa_private_segment_fixed_size 0
		.amdhsa_kernarg_size 88
		.amdhsa_user_sgpr_count 15
		.amdhsa_user_sgpr_dispatch_ptr 1
		.amdhsa_user_sgpr_queue_ptr 0
		.amdhsa_user_sgpr_kernarg_segment_ptr 1
		.amdhsa_user_sgpr_dispatch_id 0
		.amdhsa_user_sgpr_private_segment_size 0
		.amdhsa_wavefront_size32 1
		.amdhsa_uses_dynamic_stack 0
		.amdhsa_enable_private_segment 0
		.amdhsa_system_sgpr_workgroup_id_x 1
		.amdhsa_system_sgpr_workgroup_id_y 0
		.amdhsa_system_sgpr_workgroup_id_z 0
		.amdhsa_system_sgpr_workgroup_info 0
		.amdhsa_system_vgpr_workitem_id 2
		.amdhsa_next_free_vgpr 54
		.amdhsa_next_free_sgpr 18
		.amdhsa_reserve_vcc 1
		.amdhsa_float_round_mode_32 0
		.amdhsa_float_round_mode_16_64 0
		.amdhsa_float_denorm_mode_32 3
		.amdhsa_float_denorm_mode_16_64 3
		.amdhsa_dx10_clamp 1
		.amdhsa_ieee_mode 1
		.amdhsa_fp16_overflow 0
		.amdhsa_workgroup_processor_mode 1
		.amdhsa_memory_ordered 1
		.amdhsa_forward_progress 0
		.amdhsa_shared_vgpr_count 0
		.amdhsa_exception_fp_ieee_invalid_op 0
		.amdhsa_exception_fp_denorm_src 0
		.amdhsa_exception_fp_ieee_div_zero 0
		.amdhsa_exception_fp_ieee_overflow 0
		.amdhsa_exception_fp_ieee_underflow 0
		.amdhsa_exception_fp_ieee_inexact 0
		.amdhsa_exception_int_div_zero 0
	.end_amdhsa_kernel
	.section	.text._ZN9rocsparseL19gebsrmvn_4xn_kernelILj128ELj1ELj32E21rocsparse_complex_numIdEEEvi20rocsparse_direction_NS_24const_host_device_scalarIT2_EEPKiS8_PKS5_SA_S6_PS5_21rocsparse_index_base_b,"axG",@progbits,_ZN9rocsparseL19gebsrmvn_4xn_kernelILj128ELj1ELj32E21rocsparse_complex_numIdEEEvi20rocsparse_direction_NS_24const_host_device_scalarIT2_EEPKiS8_PKS5_SA_S6_PS5_21rocsparse_index_base_b,comdat
.Lfunc_end114:
	.size	_ZN9rocsparseL19gebsrmvn_4xn_kernelILj128ELj1ELj32E21rocsparse_complex_numIdEEEvi20rocsparse_direction_NS_24const_host_device_scalarIT2_EEPKiS8_PKS5_SA_S6_PS5_21rocsparse_index_base_b, .Lfunc_end114-_ZN9rocsparseL19gebsrmvn_4xn_kernelILj128ELj1ELj32E21rocsparse_complex_numIdEEEvi20rocsparse_direction_NS_24const_host_device_scalarIT2_EEPKiS8_PKS5_SA_S6_PS5_21rocsparse_index_base_b
                                        ; -- End function
	.section	.AMDGPU.csdata,"",@progbits
; Kernel info:
; codeLenInByte = 3320
; NumSgprs: 20
; NumVgprs: 54
; ScratchSize: 0
; MemoryBound: 0
; FloatMode: 240
; IeeeMode: 1
; LDSByteSize: 2048 bytes/workgroup (compile time only)
; SGPRBlocks: 2
; VGPRBlocks: 6
; NumSGPRsForWavesPerEU: 20
; NumVGPRsForWavesPerEU: 54
; Occupancy: 16
; WaveLimiterHint : 1
; COMPUTE_PGM_RSRC2:SCRATCH_EN: 0
; COMPUTE_PGM_RSRC2:USER_SGPR: 15
; COMPUTE_PGM_RSRC2:TRAP_HANDLER: 0
; COMPUTE_PGM_RSRC2:TGID_X_EN: 1
; COMPUTE_PGM_RSRC2:TGID_Y_EN: 0
; COMPUTE_PGM_RSRC2:TGID_Z_EN: 0
; COMPUTE_PGM_RSRC2:TIDIG_COMP_CNT: 2
	.section	.text._ZN9rocsparseL19gebsrmvn_4xn_kernelILj128ELj1ELj64E21rocsparse_complex_numIdEEEvi20rocsparse_direction_NS_24const_host_device_scalarIT2_EEPKiS8_PKS5_SA_S6_PS5_21rocsparse_index_base_b,"axG",@progbits,_ZN9rocsparseL19gebsrmvn_4xn_kernelILj128ELj1ELj64E21rocsparse_complex_numIdEEEvi20rocsparse_direction_NS_24const_host_device_scalarIT2_EEPKiS8_PKS5_SA_S6_PS5_21rocsparse_index_base_b,comdat
	.globl	_ZN9rocsparseL19gebsrmvn_4xn_kernelILj128ELj1ELj64E21rocsparse_complex_numIdEEEvi20rocsparse_direction_NS_24const_host_device_scalarIT2_EEPKiS8_PKS5_SA_S6_PS5_21rocsparse_index_base_b ; -- Begin function _ZN9rocsparseL19gebsrmvn_4xn_kernelILj128ELj1ELj64E21rocsparse_complex_numIdEEEvi20rocsparse_direction_NS_24const_host_device_scalarIT2_EEPKiS8_PKS5_SA_S6_PS5_21rocsparse_index_base_b
	.p2align	8
	.type	_ZN9rocsparseL19gebsrmvn_4xn_kernelILj128ELj1ELj64E21rocsparse_complex_numIdEEEvi20rocsparse_direction_NS_24const_host_device_scalarIT2_EEPKiS8_PKS5_SA_S6_PS5_21rocsparse_index_base_b,@function
_ZN9rocsparseL19gebsrmvn_4xn_kernelILj128ELj1ELj64E21rocsparse_complex_numIdEEEvi20rocsparse_direction_NS_24const_host_device_scalarIT2_EEPKiS8_PKS5_SA_S6_PS5_21rocsparse_index_base_b: ; @_ZN9rocsparseL19gebsrmvn_4xn_kernelILj128ELj1ELj64E21rocsparse_complex_numIdEEEvi20rocsparse_direction_NS_24const_host_device_scalarIT2_EEPKiS8_PKS5_SA_S6_PS5_21rocsparse_index_base_b
; %bb.0:
	s_load_b64 s[12:13], s[2:3], 0x50
	s_load_b64 s[16:17], s[0:1], 0x4
	s_load_b128 s[8:11], s[2:3], 0x8
	v_bfe_u32 v1, v0, 10, 10
	s_mov_b64 s[0:1], src_shared_base
	s_load_b128 s[4:7], s[2:3], 0x38
	v_and_b32_e32 v10, 0x3ff, v0
	v_bfe_u32 v0, v0, 20, 10
	s_waitcnt lgkmcnt(0)
	s_bitcmp1_b32 s13, 0
	v_mul_u32_u24_e32 v1, s17, v1
	s_cselect_b32 s0, -1, 0
	s_delay_alu instid0(SALU_CYCLE_1)
	s_and_b32 vcc_lo, s0, exec_lo
	s_cselect_b32 s13, s1, s9
	s_lshr_b32 s14, s16, 16
	v_dual_mov_b32 v2, s4 :: v_dual_mov_b32 v3, s5
	s_mul_i32 s14, s14, s17
	v_mov_b32_e32 v6, s13
	v_mad_u32_u24 v1, s14, v10, v1
	s_delay_alu instid0(VALU_DEP_1) | instskip(SKIP_1) | instid1(VALU_DEP_2)
	v_add_lshl_u32 v4, v1, v0, 3
	v_dual_mov_b32 v0, s8 :: v_dual_mov_b32 v1, s9
	v_add_nc_u32_e32 v5, 0x400, v4
	ds_store_2addr_stride64_b64 v4, v[2:3], v[0:1] offset1:2
	v_dual_mov_b32 v2, s10 :: v_dual_mov_b32 v3, s11
	v_cndmask_b32_e64 v5, s8, v5, s0
	s_xor_b32 s10, s0, -1
	flat_load_b64 v[0:1], v[5:6]
	s_cbranch_vccnz .LBB115_2
; %bb.1:
	v_dual_mov_b32 v2, s8 :: v_dual_mov_b32 v3, s9
	flat_load_b64 v[2:3], v[2:3] offset:8
.LBB115_2:
	s_and_b32 s8, s0, exec_lo
	s_cselect_b32 s1, s1, s5
	v_cndmask_b32_e64 v4, s4, v4, s0
	v_dual_mov_b32 v5, s1 :: v_dual_mov_b32 v6, s6
	v_mov_b32_e32 v7, s7
	s_and_not1_b32 vcc_lo, exec_lo, s10
	flat_load_b64 v[4:5], v[4:5]
	s_cbranch_vccnz .LBB115_4
; %bb.3:
	v_dual_mov_b32 v7, s5 :: v_dual_mov_b32 v6, s4
	flat_load_b64 v[6:7], v[6:7] offset:8
.LBB115_4:
	s_waitcnt vmcnt(1) lgkmcnt(1)
	v_cmp_eq_f64_e32 vcc_lo, 0, v[0:1]
	v_cmp_eq_f64_e64 s0, 0, v[2:3]
	s_delay_alu instid0(VALU_DEP_1)
	s_and_b32 s4, vcc_lo, s0
	s_mov_b32 s0, -1
	s_and_saveexec_b32 s1, s4
	s_cbranch_execz .LBB115_6
; %bb.5:
	s_waitcnt vmcnt(0) lgkmcnt(0)
	v_cmp_neq_f64_e32 vcc_lo, 1.0, v[4:5]
	v_cmp_neq_f64_e64 s0, 0, v[6:7]
	s_delay_alu instid0(VALU_DEP_1) | instskip(NEXT) | instid1(SALU_CYCLE_1)
	s_or_b32 s0, vcc_lo, s0
	s_or_not1_b32 s0, s0, exec_lo
.LBB115_6:
	s_or_b32 exec_lo, exec_lo, s1
	s_and_saveexec_b32 s1, s0
	s_cbranch_execz .LBB115_25
; %bb.7:
	s_load_b64 s[0:1], s[2:3], 0x0
	v_lshrrev_b32_e32 v8, 6, v10
	s_delay_alu instid0(VALU_DEP_1) | instskip(SKIP_1) | instid1(VALU_DEP_1)
	v_lshl_or_b32 v8, s15, 1, v8
	s_waitcnt lgkmcnt(0)
	v_cmp_gt_i32_e32 vcc_lo, s0, v8
	s_and_b32 exec_lo, exec_lo, vcc_lo
	s_cbranch_execz .LBB115_25
; %bb.8:
	s_load_b256 s[4:11], s[2:3], 0x18
	v_ashrrev_i32_e32 v9, 31, v8
	v_and_b32_e32 v41, 63, v10
	s_cmp_lg_u32 s1, 0
	s_delay_alu instid0(VALU_DEP_2) | instskip(SKIP_1) | instid1(VALU_DEP_1)
	v_lshlrev_b64 v[11:12], 2, v[8:9]
	s_waitcnt lgkmcnt(0)
	v_add_co_u32 v11, vcc_lo, s4, v11
	s_delay_alu instid0(VALU_DEP_2) | instskip(SKIP_4) | instid1(VALU_DEP_2)
	v_add_co_ci_u32_e32 v12, vcc_lo, s5, v12, vcc_lo
	global_load_b64 v[11:12], v[11:12], off
	s_waitcnt vmcnt(0)
	v_subrev_nc_u32_e32 v9, s12, v11
	v_subrev_nc_u32_e32 v30, s12, v12
	v_add_nc_u32_e32 v25, v9, v41
	s_delay_alu instid0(VALU_DEP_1)
	v_cmp_lt_i32_e64 s0, v25, v30
	s_cbranch_scc0 .LBB115_14
; %bb.9:
	v_mov_b32_e32 v9, 0
	v_mov_b32_e32 v10, 0
	s_delay_alu instid0(VALU_DEP_1)
	v_dual_mov_b32 v16, v10 :: v_dual_mov_b32 v15, v9
	v_dual_mov_b32 v12, v10 :: v_dual_mov_b32 v11, v9
	;; [unrolled: 1-line block ×7, first 2 shown]
	s_and_saveexec_b32 s1, s0
	s_cbranch_execz .LBB115_13
; %bb.10:
	v_dual_mov_b32 v9, 0 :: v_dual_lshlrev_b32 v26, 2, v25
	v_dual_mov_b32 v10, 0 :: v_dual_mov_b32 v27, 0
	v_mov_b32_e32 v28, v25
	s_mov_b32 s4, 0
	s_delay_alu instid0(VALU_DEP_2)
	v_dual_mov_b32 v16, v10 :: v_dual_mov_b32 v15, v9
	v_dual_mov_b32 v12, v10 :: v_dual_mov_b32 v11, v9
	;; [unrolled: 1-line block ×7, first 2 shown]
.LBB115_11:                             ; =>This Inner Loop Header: Depth=1
	v_ashrrev_i32_e32 v29, 31, v28
	v_mov_b32_e32 v40, v27
	s_delay_alu instid0(VALU_DEP_2) | instskip(SKIP_1) | instid1(VALU_DEP_2)
	v_lshlrev_b64 v[31:32], 2, v[28:29]
	v_add_nc_u32_e32 v28, 64, v28
	v_add_co_u32 v31, vcc_lo, s6, v31
	s_delay_alu instid0(VALU_DEP_3) | instskip(SKIP_3) | instid1(VALU_DEP_2)
	v_add_co_ci_u32_e32 v32, vcc_lo, s7, v32, vcc_lo
	global_load_b32 v29, v[31:32], off
	v_lshlrev_b64 v[31:32], 4, v[26:27]
	v_add_nc_u32_e32 v26, 0x100, v26
	v_add_co_u32 v46, vcc_lo, s8, v31
	s_delay_alu instid0(VALU_DEP_3)
	v_add_co_ci_u32_e32 v47, vcc_lo, s9, v32, vcc_lo
	s_clause 0x3
	global_load_b128 v[31:34], v[46:47], off offset:48
	global_load_b128 v[35:38], v[46:47], off offset:32
	;; [unrolled: 1-line block ×3, first 2 shown]
	global_load_b128 v[46:49], v[46:47], off
	s_waitcnt vmcnt(4)
	v_subrev_nc_u32_e32 v39, s12, v29
	s_delay_alu instid0(VALU_DEP_1) | instskip(NEXT) | instid1(VALU_DEP_1)
	v_lshlrev_b64 v[39:40], 4, v[39:40]
	v_add_co_u32 v39, vcc_lo, s10, v39
	s_delay_alu instid0(VALU_DEP_2)
	v_add_co_ci_u32_e32 v40, vcc_lo, s11, v40, vcc_lo
	v_cmp_ge_i32_e32 vcc_lo, v28, v30
	global_load_b128 v[50:53], v[39:40], off
	s_or_b32 s4, vcc_lo, s4
	s_waitcnt vmcnt(0)
	v_fma_f64 v[15:16], v[46:47], v[50:51], v[15:16]
	v_fma_f64 v[9:10], v[48:49], v[50:51], v[9:10]
	v_fma_f64 v[21:22], v[42:43], v[50:51], v[21:22]
	v_fma_f64 v[23:24], v[44:45], v[50:51], v[23:24]
	v_fma_f64 v[17:18], v[35:36], v[50:51], v[17:18]
	v_fma_f64 v[19:20], v[37:38], v[50:51], v[19:20]
	v_fma_f64 v[11:12], v[31:32], v[50:51], v[11:12]
	v_fma_f64 v[13:14], v[33:34], v[50:51], v[13:14]
	v_fma_f64 v[15:16], -v[48:49], v[52:53], v[15:16]
	v_fma_f64 v[9:10], v[46:47], v[52:53], v[9:10]
	v_fma_f64 v[21:22], -v[44:45], v[52:53], v[21:22]
	v_fma_f64 v[23:24], v[42:43], v[52:53], v[23:24]
	;; [unrolled: 2-line block ×4, first 2 shown]
	s_and_not1_b32 exec_lo, exec_lo, s4
	s_cbranch_execnz .LBB115_11
; %bb.12:
	s_or_b32 exec_lo, exec_lo, s4
.LBB115_13:
	s_delay_alu instid0(SALU_CYCLE_1)
	s_or_b32 exec_lo, exec_lo, s1
	s_cbranch_execz .LBB115_15
	s_branch .LBB115_20
.LBB115_14:
                                        ; implicit-def: $vgpr9_vgpr10
                                        ; implicit-def: $vgpr15_vgpr16
                                        ; implicit-def: $vgpr11_vgpr12
                                        ; implicit-def: $vgpr13_vgpr14
                                        ; implicit-def: $vgpr17_vgpr18
                                        ; implicit-def: $vgpr19_vgpr20
                                        ; implicit-def: $vgpr21_vgpr22
                                        ; implicit-def: $vgpr23_vgpr24
.LBB115_15:
	v_mov_b32_e32 v9, 0
	v_mov_b32_e32 v10, 0
	s_delay_alu instid0(VALU_DEP_1)
	v_dual_mov_b32 v16, v10 :: v_dual_mov_b32 v15, v9
	v_dual_mov_b32 v12, v10 :: v_dual_mov_b32 v11, v9
	;; [unrolled: 1-line block ×7, first 2 shown]
	s_and_saveexec_b32 s1, s0
	s_cbranch_execz .LBB115_19
; %bb.16:
	v_dual_mov_b32 v9, 0 :: v_dual_mov_b32 v28, 0
	v_dual_mov_b32 v10, 0 :: v_dual_lshlrev_b32 v27, 2, v25
	s_mov_b32 s0, 0
	s_delay_alu instid0(VALU_DEP_1)
	v_dual_mov_b32 v16, v10 :: v_dual_mov_b32 v15, v9
	v_dual_mov_b32 v12, v10 :: v_dual_mov_b32 v11, v9
	;; [unrolled: 1-line block ×7, first 2 shown]
.LBB115_17:                             ; =>This Inner Loop Header: Depth=1
	v_ashrrev_i32_e32 v26, 31, v25
	v_mov_b32_e32 v40, v28
	s_delay_alu instid0(VALU_DEP_2) | instskip(SKIP_1) | instid1(VALU_DEP_2)
	v_lshlrev_b64 v[31:32], 2, v[25:26]
	v_add_nc_u32_e32 v25, 64, v25
	v_add_co_u32 v31, vcc_lo, s6, v31
	s_delay_alu instid0(VALU_DEP_3) | instskip(SKIP_3) | instid1(VALU_DEP_2)
	v_add_co_ci_u32_e32 v32, vcc_lo, s7, v32, vcc_lo
	global_load_b32 v26, v[31:32], off
	v_lshlrev_b64 v[31:32], 4, v[27:28]
	v_add_nc_u32_e32 v27, 0x100, v27
	v_add_co_u32 v46, vcc_lo, s8, v31
	s_delay_alu instid0(VALU_DEP_3)
	v_add_co_ci_u32_e32 v47, vcc_lo, s9, v32, vcc_lo
	s_clause 0x3
	global_load_b128 v[31:34], v[46:47], off offset:48
	global_load_b128 v[35:38], v[46:47], off offset:32
	;; [unrolled: 1-line block ×3, first 2 shown]
	global_load_b128 v[46:49], v[46:47], off
	s_waitcnt vmcnt(4)
	v_subrev_nc_u32_e32 v39, s12, v26
	s_delay_alu instid0(VALU_DEP_1) | instskip(NEXT) | instid1(VALU_DEP_1)
	v_lshlrev_b64 v[39:40], 4, v[39:40]
	v_add_co_u32 v39, vcc_lo, s10, v39
	s_delay_alu instid0(VALU_DEP_2)
	v_add_co_ci_u32_e32 v40, vcc_lo, s11, v40, vcc_lo
	v_cmp_ge_i32_e32 vcc_lo, v25, v30
	global_load_b128 v[50:53], v[39:40], off
	s_or_b32 s0, vcc_lo, s0
	s_waitcnt vmcnt(0)
	v_fma_f64 v[15:16], v[46:47], v[50:51], v[15:16]
	v_fma_f64 v[9:10], v[48:49], v[50:51], v[9:10]
	;; [unrolled: 1-line block ×8, first 2 shown]
	v_fma_f64 v[15:16], -v[48:49], v[52:53], v[15:16]
	v_fma_f64 v[9:10], v[46:47], v[52:53], v[9:10]
	v_fma_f64 v[21:22], -v[44:45], v[52:53], v[21:22]
	v_fma_f64 v[23:24], v[42:43], v[52:53], v[23:24]
	;; [unrolled: 2-line block ×4, first 2 shown]
	s_and_not1_b32 exec_lo, exec_lo, s0
	s_cbranch_execnz .LBB115_17
; %bb.18:
	s_or_b32 exec_lo, exec_lo, s0
.LBB115_19:
	s_delay_alu instid0(SALU_CYCLE_1)
	s_or_b32 exec_lo, exec_lo, s1
.LBB115_20:
	v_mbcnt_lo_u32_b32 v44, -1, 0
	s_delay_alu instid0(VALU_DEP_1) | instskip(NEXT) | instid1(VALU_DEP_1)
	v_or_b32_e32 v25, 32, v44
	v_cmp_gt_i32_e32 vcc_lo, 32, v25
	v_cndmask_b32_e32 v25, v44, v25, vcc_lo
	s_delay_alu instid0(VALU_DEP_1)
	v_lshlrev_b32_e32 v40, 2, v25
	ds_bpermute_b32 v25, v40, v15
	ds_bpermute_b32 v26, v40, v16
	ds_bpermute_b32 v27, v40, v9
	ds_bpermute_b32 v28, v40, v10
	ds_bpermute_b32 v29, v40, v21
	ds_bpermute_b32 v30, v40, v22
	ds_bpermute_b32 v31, v40, v23
	ds_bpermute_b32 v32, v40, v24
	ds_bpermute_b32 v33, v40, v17
	ds_bpermute_b32 v34, v40, v18
	ds_bpermute_b32 v35, v40, v19
	ds_bpermute_b32 v36, v40, v20
	ds_bpermute_b32 v37, v40, v11
	ds_bpermute_b32 v38, v40, v12
	ds_bpermute_b32 v39, v40, v13
	ds_bpermute_b32 v40, v40, v14
	s_waitcnt lgkmcnt(14)
	v_add_f64 v[15:16], v[15:16], v[25:26]
	v_xor_b32_e32 v25, 16, v44
	s_waitcnt lgkmcnt(12)
	v_add_f64 v[9:10], v[9:10], v[27:28]
	s_waitcnt lgkmcnt(10)
	v_add_f64 v[21:22], v[21:22], v[29:30]
	s_waitcnt lgkmcnt(8)
	v_add_f64 v[23:24], v[23:24], v[31:32]
	v_cmp_gt_i32_e32 vcc_lo, 32, v25
	s_waitcnt lgkmcnt(6)
	v_add_f64 v[17:18], v[17:18], v[33:34]
	s_waitcnt lgkmcnt(4)
	v_add_f64 v[19:20], v[19:20], v[35:36]
	s_waitcnt lgkmcnt(2)
	v_add_f64 v[11:12], v[11:12], v[37:38]
	v_cndmask_b32_e32 v25, v44, v25, vcc_lo
	s_waitcnt lgkmcnt(0)
	v_add_f64 v[13:14], v[13:14], v[39:40]
	s_delay_alu instid0(VALU_DEP_2)
	v_lshlrev_b32_e32 v40, 2, v25
	ds_bpermute_b32 v25, v40, v15
	ds_bpermute_b32 v26, v40, v16
	ds_bpermute_b32 v27, v40, v9
	ds_bpermute_b32 v28, v40, v10
	ds_bpermute_b32 v29, v40, v21
	ds_bpermute_b32 v30, v40, v22
	ds_bpermute_b32 v31, v40, v23
	ds_bpermute_b32 v32, v40, v24
	ds_bpermute_b32 v33, v40, v17
	ds_bpermute_b32 v34, v40, v18
	ds_bpermute_b32 v35, v40, v19
	ds_bpermute_b32 v36, v40, v20
	ds_bpermute_b32 v37, v40, v11
	ds_bpermute_b32 v38, v40, v12
	ds_bpermute_b32 v39, v40, v13
	ds_bpermute_b32 v40, v40, v14
	s_waitcnt lgkmcnt(14)
	v_add_f64 v[15:16], v[15:16], v[25:26]
	v_xor_b32_e32 v25, 8, v44
	s_waitcnt lgkmcnt(12)
	v_add_f64 v[9:10], v[9:10], v[27:28]
	s_waitcnt lgkmcnt(10)
	v_add_f64 v[21:22], v[21:22], v[29:30]
	s_waitcnt lgkmcnt(8)
	v_add_f64 v[23:24], v[23:24], v[31:32]
	v_cmp_gt_i32_e32 vcc_lo, 32, v25
	s_waitcnt lgkmcnt(6)
	v_add_f64 v[17:18], v[17:18], v[33:34]
	s_waitcnt lgkmcnt(4)
	v_add_f64 v[19:20], v[19:20], v[35:36]
	s_waitcnt lgkmcnt(2)
	v_add_f64 v[11:12], v[11:12], v[37:38]
	v_cndmask_b32_e32 v25, v44, v25, vcc_lo
	s_waitcnt lgkmcnt(0)
	v_add_f64 v[13:14], v[13:14], v[39:40]
	s_delay_alu instid0(VALU_DEP_2)
	v_lshlrev_b32_e32 v40, 2, v25
	ds_bpermute_b32 v25, v40, v15
	ds_bpermute_b32 v26, v40, v16
	ds_bpermute_b32 v27, v40, v9
	ds_bpermute_b32 v28, v40, v10
	ds_bpermute_b32 v29, v40, v21
	ds_bpermute_b32 v30, v40, v22
	ds_bpermute_b32 v31, v40, v23
	ds_bpermute_b32 v32, v40, v24
	ds_bpermute_b32 v33, v40, v17
	ds_bpermute_b32 v34, v40, v18
	ds_bpermute_b32 v35, v40, v19
	ds_bpermute_b32 v36, v40, v20
	ds_bpermute_b32 v37, v40, v11
	ds_bpermute_b32 v38, v40, v12
	ds_bpermute_b32 v39, v40, v13
	ds_bpermute_b32 v40, v40, v14
	s_waitcnt lgkmcnt(14)
	v_add_f64 v[15:16], v[15:16], v[25:26]
	v_xor_b32_e32 v25, 4, v44
	s_waitcnt lgkmcnt(12)
	v_add_f64 v[9:10], v[9:10], v[27:28]
	s_waitcnt lgkmcnt(10)
	v_add_f64 v[21:22], v[21:22], v[29:30]
	s_waitcnt lgkmcnt(8)
	v_add_f64 v[23:24], v[23:24], v[31:32]
	v_cmp_gt_i32_e32 vcc_lo, 32, v25
	s_waitcnt lgkmcnt(6)
	v_add_f64 v[17:18], v[17:18], v[33:34]
	s_waitcnt lgkmcnt(4)
	v_add_f64 v[19:20], v[19:20], v[35:36]
	s_waitcnt lgkmcnt(2)
	v_add_f64 v[11:12], v[11:12], v[37:38]
	v_cndmask_b32_e32 v25, v44, v25, vcc_lo
	s_waitcnt lgkmcnt(0)
	v_add_f64 v[13:14], v[13:14], v[39:40]
	s_delay_alu instid0(VALU_DEP_2)
	v_lshlrev_b32_e32 v40, 2, v25
	ds_bpermute_b32 v25, v40, v15
	ds_bpermute_b32 v26, v40, v16
	;; [unrolled: 1-line block ×16, first 2 shown]
	s_waitcnt lgkmcnt(14)
	v_add_f64 v[15:16], v[15:16], v[25:26]
	s_waitcnt lgkmcnt(12)
	v_add_f64 v[25:26], v[9:10], v[27:28]
	v_xor_b32_e32 v9, 2, v44
	s_waitcnt lgkmcnt(10)
	v_add_f64 v[21:22], v[21:22], v[29:30]
	s_waitcnt lgkmcnt(8)
	v_add_f64 v[27:28], v[23:24], v[31:32]
	;; [unrolled: 2-line block ×3, first 2 shown]
	v_cmp_gt_i32_e32 vcc_lo, 32, v9
	s_waitcnt lgkmcnt(4)
	v_add_f64 v[19:20], v[19:20], v[35:36]
	s_waitcnt lgkmcnt(2)
	v_add_f64 v[29:30], v[11:12], v[37:38]
	s_waitcnt lgkmcnt(0)
	v_add_f64 v[31:32], v[13:14], v[39:40]
	v_cndmask_b32_e32 v9, v44, v9, vcc_lo
	s_delay_alu instid0(VALU_DEP_1)
	v_lshlrev_b32_e32 v23, 2, v9
	ds_bpermute_b32 v9, v23, v15
	ds_bpermute_b32 v10, v23, v16
	;; [unrolled: 1-line block ×16, first 2 shown]
	s_waitcnt lgkmcnt(14)
	v_add_f64 v[9:10], v[15:16], v[9:10]
	s_waitcnt lgkmcnt(12)
	v_add_f64 v[23:24], v[25:26], v[11:12]
	v_xor_b32_e32 v25, 1, v44
	s_waitcnt lgkmcnt(10)
	v_add_f64 v[11:12], v[21:22], v[13:14]
	s_waitcnt lgkmcnt(8)
	v_add_f64 v[21:22], v[27:28], v[33:34]
	;; [unrolled: 2-line block ×3, first 2 shown]
	v_cmp_gt_i32_e32 vcc_lo, 32, v25
	s_waitcnt lgkmcnt(4)
	v_add_f64 v[19:20], v[19:20], v[37:38]
	s_waitcnt lgkmcnt(2)
	v_add_f64 v[15:16], v[29:30], v[39:40]
	;; [unrolled: 2-line block ×3, first 2 shown]
	v_cndmask_b32_e32 v25, v44, v25, vcc_lo
	v_cmp_eq_u32_e32 vcc_lo, 63, v41
	s_delay_alu instid0(VALU_DEP_2)
	v_lshlrev_b32_e32 v28, 2, v25
	ds_bpermute_b32 v39, v28, v9
	ds_bpermute_b32 v40, v28, v10
	;; [unrolled: 1-line block ×16, first 2 shown]
	s_and_b32 exec_lo, exec_lo, vcc_lo
	s_cbranch_execz .LBB115_25
; %bb.21:
	v_cmp_eq_f64_e32 vcc_lo, 0, v[4:5]
	v_cmp_eq_f64_e64 s0, 0, v[6:7]
	s_waitcnt lgkmcnt(14)
	v_add_f64 v[9:10], v[9:10], v[39:40]
	s_waitcnt lgkmcnt(12)
	v_add_f64 v[23:24], v[23:24], v[37:38]
	;; [unrolled: 2-line block ×8, first 2 shown]
	s_load_b64 s[2:3], s[2:3], 0x48
	s_and_b32 s0, vcc_lo, s0
	s_delay_alu instid0(SALU_CYCLE_1) | instskip(NEXT) | instid1(SALU_CYCLE_1)
	s_and_saveexec_b32 s1, s0
	s_xor_b32 s0, exec_lo, s1
	s_cbranch_execz .LBB115_23
; %bb.22:
	v_mul_f64 v[4:5], v[23:24], -v[2:3]
	v_mul_f64 v[6:7], v[0:1], v[23:24]
	v_mul_f64 v[23:24], v[21:22], -v[2:3]
	v_mul_f64 v[21:22], v[0:1], v[21:22]
	;; [unrolled: 2-line block ×4, first 2 shown]
	v_fma_f64 v[4:5], v[0:1], v[9:10], v[4:5]
	v_fma_f64 v[6:7], v[2:3], v[9:10], v[6:7]
	;; [unrolled: 1-line block ×8, first 2 shown]
	v_lshlrev_b32_e32 v13, 2, v8
                                        ; implicit-def: $vgpr8
                                        ; implicit-def: $vgpr23_vgpr24
                                        ; implicit-def: $vgpr21_vgpr22
                                        ; implicit-def: $vgpr15_vgpr16
	s_delay_alu instid0(VALU_DEP_1) | instskip(NEXT) | instid1(VALU_DEP_1)
	v_ashrrev_i32_e32 v14, 31, v13
	v_lshlrev_b64 v[13:14], 4, v[13:14]
	s_waitcnt lgkmcnt(0)
	s_delay_alu instid0(VALU_DEP_1) | instskip(NEXT) | instid1(VALU_DEP_2)
	v_add_co_u32 v13, vcc_lo, s2, v13
	v_add_co_ci_u32_e32 v14, vcc_lo, s3, v14, vcc_lo
	s_clause 0x3
	global_store_b128 v[13:14], v[4:7], off
	global_store_b128 v[13:14], v[9:12], off offset:16
	global_store_b128 v[13:14], v[17:20], off offset:32
	;; [unrolled: 1-line block ×3, first 2 shown]
                                        ; implicit-def: $vgpr0_vgpr1
                                        ; implicit-def: $vgpr2_vgpr3
                                        ; implicit-def: $vgpr4_vgpr5
                                        ; implicit-def: $vgpr6_vgpr7
                                        ; implicit-def: $vgpr9_vgpr10
                                        ; implicit-def: $vgpr11_vgpr12
                                        ; implicit-def: $vgpr13_vgpr14
                                        ; implicit-def: $vgpr19_vgpr20
                                        ; implicit-def: $vgpr17_vgpr18
.LBB115_23:
	s_and_not1_saveexec_b32 s0, s0
	s_cbranch_execz .LBB115_25
; %bb.24:
	v_lshlrev_b32_e32 v25, 2, v8
	v_mul_f64 v[43:44], v[23:24], -v[2:3]
	v_mul_f64 v[23:24], v[0:1], v[23:24]
	v_mul_f64 v[45:46], v[21:22], -v[2:3]
	v_mul_f64 v[21:22], v[0:1], v[21:22]
	v_ashrrev_i32_e32 v26, 31, v25
	v_mul_f64 v[47:48], v[19:20], -v[2:3]
	v_mul_f64 v[19:20], v[0:1], v[19:20]
	v_mul_f64 v[49:50], v[17:18], -v[2:3]
	v_mul_f64 v[17:18], v[0:1], v[17:18]
	v_lshlrev_b64 v[25:26], 4, v[25:26]
	s_waitcnt lgkmcnt(0)
	s_delay_alu instid0(VALU_DEP_1) | instskip(NEXT) | instid1(VALU_DEP_2)
	v_add_co_u32 v41, vcc_lo, s2, v25
	v_add_co_ci_u32_e32 v42, vcc_lo, s3, v26, vcc_lo
	s_clause 0x3
	global_load_b128 v[25:28], v[41:42], off
	global_load_b128 v[29:32], v[41:42], off offset:16
	global_load_b128 v[33:36], v[41:42], off offset:32
	global_load_b128 v[37:40], v[41:42], off offset:48
	v_fma_f64 v[43:44], v[0:1], v[9:10], v[43:44]
	v_fma_f64 v[8:9], v[2:3], v[9:10], v[23:24]
	;; [unrolled: 1-line block ×8, first 2 shown]
	s_waitcnt vmcnt(3)
	v_fma_f64 v[14:15], v[4:5], v[25:26], v[43:44]
	v_fma_f64 v[8:9], v[6:7], v[25:26], v[8:9]
	s_waitcnt vmcnt(2)
	v_fma_f64 v[16:17], v[4:5], v[29:30], v[23:24]
	v_fma_f64 v[10:11], v[6:7], v[29:30], v[10:11]
	;; [unrolled: 3-line block ×4, first 2 shown]
	v_fma_f64 v[0:1], -v[6:7], v[27:28], v[14:15]
	v_fma_f64 v[2:3], v[4:5], v[27:28], v[8:9]
	v_fma_f64 v[8:9], -v[6:7], v[31:32], v[16:17]
	v_fma_f64 v[10:11], v[4:5], v[31:32], v[10:11]
	;; [unrolled: 2-line block ×4, first 2 shown]
	s_clause 0x3
	global_store_b128 v[41:42], v[0:3], off
	global_store_b128 v[41:42], v[8:11], off offset:16
	global_store_b128 v[41:42], v[12:15], off offset:32
	;; [unrolled: 1-line block ×3, first 2 shown]
.LBB115_25:
	s_nop 0
	s_sendmsg sendmsg(MSG_DEALLOC_VGPRS)
	s_endpgm
	.section	.rodata,"a",@progbits
	.p2align	6, 0x0
	.amdhsa_kernel _ZN9rocsparseL19gebsrmvn_4xn_kernelILj128ELj1ELj64E21rocsparse_complex_numIdEEEvi20rocsparse_direction_NS_24const_host_device_scalarIT2_EEPKiS8_PKS5_SA_S6_PS5_21rocsparse_index_base_b
		.amdhsa_group_segment_fixed_size 2048
		.amdhsa_private_segment_fixed_size 0
		.amdhsa_kernarg_size 88
		.amdhsa_user_sgpr_count 15
		.amdhsa_user_sgpr_dispatch_ptr 1
		.amdhsa_user_sgpr_queue_ptr 0
		.amdhsa_user_sgpr_kernarg_segment_ptr 1
		.amdhsa_user_sgpr_dispatch_id 0
		.amdhsa_user_sgpr_private_segment_size 0
		.amdhsa_wavefront_size32 1
		.amdhsa_uses_dynamic_stack 0
		.amdhsa_enable_private_segment 0
		.amdhsa_system_sgpr_workgroup_id_x 1
		.amdhsa_system_sgpr_workgroup_id_y 0
		.amdhsa_system_sgpr_workgroup_id_z 0
		.amdhsa_system_sgpr_workgroup_info 0
		.amdhsa_system_vgpr_workitem_id 2
		.amdhsa_next_free_vgpr 54
		.amdhsa_next_free_sgpr 18
		.amdhsa_reserve_vcc 1
		.amdhsa_float_round_mode_32 0
		.amdhsa_float_round_mode_16_64 0
		.amdhsa_float_denorm_mode_32 3
		.amdhsa_float_denorm_mode_16_64 3
		.amdhsa_dx10_clamp 1
		.amdhsa_ieee_mode 1
		.amdhsa_fp16_overflow 0
		.amdhsa_workgroup_processor_mode 1
		.amdhsa_memory_ordered 1
		.amdhsa_forward_progress 0
		.amdhsa_shared_vgpr_count 0
		.amdhsa_exception_fp_ieee_invalid_op 0
		.amdhsa_exception_fp_denorm_src 0
		.amdhsa_exception_fp_ieee_div_zero 0
		.amdhsa_exception_fp_ieee_overflow 0
		.amdhsa_exception_fp_ieee_underflow 0
		.amdhsa_exception_fp_ieee_inexact 0
		.amdhsa_exception_int_div_zero 0
	.end_amdhsa_kernel
	.section	.text._ZN9rocsparseL19gebsrmvn_4xn_kernelILj128ELj1ELj64E21rocsparse_complex_numIdEEEvi20rocsparse_direction_NS_24const_host_device_scalarIT2_EEPKiS8_PKS5_SA_S6_PS5_21rocsparse_index_base_b,"axG",@progbits,_ZN9rocsparseL19gebsrmvn_4xn_kernelILj128ELj1ELj64E21rocsparse_complex_numIdEEEvi20rocsparse_direction_NS_24const_host_device_scalarIT2_EEPKiS8_PKS5_SA_S6_PS5_21rocsparse_index_base_b,comdat
.Lfunc_end115:
	.size	_ZN9rocsparseL19gebsrmvn_4xn_kernelILj128ELj1ELj64E21rocsparse_complex_numIdEEEvi20rocsparse_direction_NS_24const_host_device_scalarIT2_EEPKiS8_PKS5_SA_S6_PS5_21rocsparse_index_base_b, .Lfunc_end115-_ZN9rocsparseL19gebsrmvn_4xn_kernelILj128ELj1ELj64E21rocsparse_complex_numIdEEEvi20rocsparse_direction_NS_24const_host_device_scalarIT2_EEPKiS8_PKS5_SA_S6_PS5_21rocsparse_index_base_b
                                        ; -- End function
	.section	.AMDGPU.csdata,"",@progbits
; Kernel info:
; codeLenInByte = 3564
; NumSgprs: 20
; NumVgprs: 54
; ScratchSize: 0
; MemoryBound: 0
; FloatMode: 240
; IeeeMode: 1
; LDSByteSize: 2048 bytes/workgroup (compile time only)
; SGPRBlocks: 2
; VGPRBlocks: 6
; NumSGPRsForWavesPerEU: 20
; NumVGPRsForWavesPerEU: 54
; Occupancy: 16
; WaveLimiterHint : 1
; COMPUTE_PGM_RSRC2:SCRATCH_EN: 0
; COMPUTE_PGM_RSRC2:USER_SGPR: 15
; COMPUTE_PGM_RSRC2:TRAP_HANDLER: 0
; COMPUTE_PGM_RSRC2:TGID_X_EN: 1
; COMPUTE_PGM_RSRC2:TGID_Y_EN: 0
; COMPUTE_PGM_RSRC2:TGID_Z_EN: 0
; COMPUTE_PGM_RSRC2:TIDIG_COMP_CNT: 2
	.section	.text._ZN9rocsparseL19gebsrmvn_4xn_kernelILj128ELj2ELj4E21rocsparse_complex_numIdEEEvi20rocsparse_direction_NS_24const_host_device_scalarIT2_EEPKiS8_PKS5_SA_S6_PS5_21rocsparse_index_base_b,"axG",@progbits,_ZN9rocsparseL19gebsrmvn_4xn_kernelILj128ELj2ELj4E21rocsparse_complex_numIdEEEvi20rocsparse_direction_NS_24const_host_device_scalarIT2_EEPKiS8_PKS5_SA_S6_PS5_21rocsparse_index_base_b,comdat
	.globl	_ZN9rocsparseL19gebsrmvn_4xn_kernelILj128ELj2ELj4E21rocsparse_complex_numIdEEEvi20rocsparse_direction_NS_24const_host_device_scalarIT2_EEPKiS8_PKS5_SA_S6_PS5_21rocsparse_index_base_b ; -- Begin function _ZN9rocsparseL19gebsrmvn_4xn_kernelILj128ELj2ELj4E21rocsparse_complex_numIdEEEvi20rocsparse_direction_NS_24const_host_device_scalarIT2_EEPKiS8_PKS5_SA_S6_PS5_21rocsparse_index_base_b
	.p2align	8
	.type	_ZN9rocsparseL19gebsrmvn_4xn_kernelILj128ELj2ELj4E21rocsparse_complex_numIdEEEvi20rocsparse_direction_NS_24const_host_device_scalarIT2_EEPKiS8_PKS5_SA_S6_PS5_21rocsparse_index_base_b,@function
_ZN9rocsparseL19gebsrmvn_4xn_kernelILj128ELj2ELj4E21rocsparse_complex_numIdEEEvi20rocsparse_direction_NS_24const_host_device_scalarIT2_EEPKiS8_PKS5_SA_S6_PS5_21rocsparse_index_base_b: ; @_ZN9rocsparseL19gebsrmvn_4xn_kernelILj128ELj2ELj4E21rocsparse_complex_numIdEEEvi20rocsparse_direction_NS_24const_host_device_scalarIT2_EEPKiS8_PKS5_SA_S6_PS5_21rocsparse_index_base_b
; %bb.0:
	s_load_b64 s[12:13], s[2:3], 0x50
	s_load_b64 s[16:17], s[0:1], 0x4
	s_load_b128 s[8:11], s[2:3], 0x8
	v_bfe_u32 v1, v0, 10, 10
	s_mov_b64 s[0:1], src_shared_base
	s_load_b128 s[4:7], s[2:3], 0x38
	v_and_b32_e32 v10, 0x3ff, v0
	v_bfe_u32 v0, v0, 20, 10
	s_waitcnt lgkmcnt(0)
	s_bitcmp1_b32 s13, 0
	v_mul_u32_u24_e32 v1, s17, v1
	s_cselect_b32 s0, -1, 0
	s_delay_alu instid0(SALU_CYCLE_1)
	s_and_b32 vcc_lo, s0, exec_lo
	s_cselect_b32 s13, s1, s9
	s_lshr_b32 s14, s16, 16
	v_dual_mov_b32 v2, s4 :: v_dual_mov_b32 v3, s5
	s_mul_i32 s14, s14, s17
	v_mov_b32_e32 v6, s13
	v_mad_u32_u24 v1, s14, v10, v1
	s_delay_alu instid0(VALU_DEP_1) | instskip(SKIP_1) | instid1(VALU_DEP_2)
	v_add_lshl_u32 v4, v1, v0, 3
	v_dual_mov_b32 v0, s8 :: v_dual_mov_b32 v1, s9
	v_add_nc_u32_e32 v5, 0x400, v4
	ds_store_2addr_stride64_b64 v4, v[2:3], v[0:1] offset1:2
	v_dual_mov_b32 v2, s10 :: v_dual_mov_b32 v3, s11
	v_cndmask_b32_e64 v5, s8, v5, s0
	s_xor_b32 s10, s0, -1
	flat_load_b64 v[0:1], v[5:6]
	s_cbranch_vccnz .LBB116_2
; %bb.1:
	v_dual_mov_b32 v2, s8 :: v_dual_mov_b32 v3, s9
	flat_load_b64 v[2:3], v[2:3] offset:8
.LBB116_2:
	s_and_b32 s8, s0, exec_lo
	s_cselect_b32 s1, s1, s5
	v_cndmask_b32_e64 v4, s4, v4, s0
	v_dual_mov_b32 v5, s1 :: v_dual_mov_b32 v6, s6
	v_mov_b32_e32 v7, s7
	s_and_not1_b32 vcc_lo, exec_lo, s10
	flat_load_b64 v[4:5], v[4:5]
	s_cbranch_vccnz .LBB116_4
; %bb.3:
	v_dual_mov_b32 v7, s5 :: v_dual_mov_b32 v6, s4
	flat_load_b64 v[6:7], v[6:7] offset:8
.LBB116_4:
	s_waitcnt vmcnt(1) lgkmcnt(1)
	v_cmp_eq_f64_e32 vcc_lo, 0, v[0:1]
	v_cmp_eq_f64_e64 s0, 0, v[2:3]
	s_delay_alu instid0(VALU_DEP_1)
	s_and_b32 s4, vcc_lo, s0
	s_mov_b32 s0, -1
	s_and_saveexec_b32 s1, s4
	s_cbranch_execz .LBB116_6
; %bb.5:
	s_waitcnt vmcnt(0) lgkmcnt(0)
	v_cmp_neq_f64_e32 vcc_lo, 1.0, v[4:5]
	v_cmp_neq_f64_e64 s0, 0, v[6:7]
	s_delay_alu instid0(VALU_DEP_1) | instskip(NEXT) | instid1(SALU_CYCLE_1)
	s_or_b32 s0, vcc_lo, s0
	s_or_not1_b32 s0, s0, exec_lo
.LBB116_6:
	s_or_b32 exec_lo, exec_lo, s1
	s_and_saveexec_b32 s1, s0
	s_cbranch_execz .LBB116_25
; %bb.7:
	s_load_b64 s[0:1], s[2:3], 0x0
	v_lshrrev_b32_e32 v8, 2, v10
	s_delay_alu instid0(VALU_DEP_1) | instskip(SKIP_1) | instid1(VALU_DEP_1)
	v_lshl_or_b32 v8, s15, 5, v8
	s_waitcnt lgkmcnt(0)
	v_cmp_gt_i32_e32 vcc_lo, s0, v8
	s_and_b32 exec_lo, exec_lo, vcc_lo
	s_cbranch_execz .LBB116_25
; %bb.8:
	s_load_b256 s[4:11], s[2:3], 0x18
	v_ashrrev_i32_e32 v9, 31, v8
	v_and_b32_e32 v41, 3, v10
	s_cmp_lg_u32 s1, 0
	s_delay_alu instid0(VALU_DEP_2) | instskip(SKIP_1) | instid1(VALU_DEP_1)
	v_lshlrev_b64 v[11:12], 2, v[8:9]
	s_waitcnt lgkmcnt(0)
	v_add_co_u32 v11, vcc_lo, s4, v11
	s_delay_alu instid0(VALU_DEP_2) | instskip(SKIP_4) | instid1(VALU_DEP_2)
	v_add_co_ci_u32_e32 v12, vcc_lo, s5, v12, vcc_lo
	global_load_b64 v[11:12], v[11:12], off
	s_waitcnt vmcnt(0)
	v_subrev_nc_u32_e32 v9, s12, v11
	v_subrev_nc_u32_e32 v31, s12, v12
	v_add_nc_u32_e32 v9, v9, v41
	s_delay_alu instid0(VALU_DEP_1)
	v_cmp_lt_i32_e64 s0, v9, v31
	s_cbranch_scc0 .LBB116_14
; %bb.9:
	v_mov_b32_e32 v15, 0
	v_mov_b32_e32 v16, 0
	s_delay_alu instid0(VALU_DEP_2) | instskip(NEXT) | instid1(VALU_DEP_2)
	v_mov_b32_e32 v11, v15
	v_dual_mov_b32 v13, v15 :: v_dual_mov_b32 v14, v16
	v_dual_mov_b32 v22, v16 :: v_dual_mov_b32 v21, v15
	v_mov_b32_e32 v12, v16
	v_dual_mov_b32 v18, v16 :: v_dual_mov_b32 v17, v15
	v_dual_mov_b32 v20, v16 :: v_dual_mov_b32 v19, v15
	;; [unrolled: 1-line block ×4, first 2 shown]
	s_and_saveexec_b32 s1, s0
	s_cbranch_execz .LBB116_13
; %bb.10:
	v_dual_mov_b32 v15, 0 :: v_dual_mov_b32 v28, 0
	v_dual_mov_b32 v16, 0 :: v_dual_lshlrev_b32 v27, 3, v9
	s_delay_alu instid0(VALU_DEP_2) | instskip(SKIP_1) | instid1(VALU_DEP_3)
	v_mov_b32_e32 v13, v15
	v_mov_b32_e32 v29, v9
	v_dual_mov_b32 v11, v15 :: v_dual_mov_b32 v14, v16
	v_dual_mov_b32 v18, v16 :: v_dual_mov_b32 v17, v15
	;; [unrolled: 1-line block ×3, first 2 shown]
	v_mov_b32_e32 v24, v16
	v_dual_mov_b32 v22, v16 :: v_dual_mov_b32 v23, v15
	v_dual_mov_b32 v26, v16 :: v_dual_mov_b32 v21, v15
	;; [unrolled: 1-line block ×3, first 2 shown]
	s_mov_b32 s4, 0
.LBB116_11:                             ; =>This Inner Loop Header: Depth=1
	v_ashrrev_i32_e32 v30, 31, v29
	s_delay_alu instid0(VALU_DEP_1) | instskip(SKIP_1) | instid1(VALU_DEP_2)
	v_lshlrev_b64 v[32:33], 2, v[29:30]
	v_add_nc_u32_e32 v29, 4, v29
	v_add_co_u32 v32, vcc_lo, s6, v32
	s_delay_alu instid0(VALU_DEP_3) | instskip(SKIP_3) | instid1(VALU_DEP_2)
	v_add_co_ci_u32_e32 v33, vcc_lo, s7, v33, vcc_lo
	global_load_b32 v10, v[32:33], off
	v_lshlrev_b64 v[32:33], 4, v[27:28]
	v_add_nc_u32_e32 v27, 32, v27
	v_add_co_u32 v70, vcc_lo, s8, v32
	s_delay_alu instid0(VALU_DEP_3)
	v_add_co_ci_u32_e32 v71, vcc_lo, s9, v33, vcc_lo
	s_clause 0x3
	global_load_b128 v[32:35], v[70:71], off offset:48
	global_load_b128 v[36:39], v[70:71], off offset:32
	;; [unrolled: 1-line block ×3, first 2 shown]
	global_load_b128 v[46:49], v[70:71], off
	s_waitcnt vmcnt(4)
	v_subrev_nc_u32_e32 v10, s12, v10
	s_delay_alu instid0(VALU_DEP_1) | instskip(NEXT) | instid1(VALU_DEP_1)
	v_dual_mov_b32 v51, v28 :: v_dual_lshlrev_b32 v50, 1, v10
	v_lshlrev_b64 v[50:51], 4, v[50:51]
	s_delay_alu instid0(VALU_DEP_1) | instskip(NEXT) | instid1(VALU_DEP_2)
	v_add_co_u32 v54, vcc_lo, s10, v50
	v_add_co_ci_u32_e32 v55, vcc_lo, s11, v51, vcc_lo
	v_cmp_ge_i32_e32 vcc_lo, v29, v31
	s_clause 0x1
	global_load_b128 v[50:53], v[54:55], off
	global_load_b128 v[54:57], v[54:55], off offset:16
	s_clause 0x3
	global_load_b128 v[58:61], v[70:71], off offset:64
	global_load_b128 v[62:65], v[70:71], off offset:80
	;; [unrolled: 1-line block ×4, first 2 shown]
	s_or_b32 s4, vcc_lo, s4
	s_waitcnt vmcnt(5)
	v_fma_f64 v[21:22], v[46:47], v[50:51], v[21:22]
	v_fma_f64 v[15:16], v[48:49], v[50:51], v[15:16]
	;; [unrolled: 1-line block ×8, first 2 shown]
	v_fma_f64 v[21:22], -v[48:49], v[52:53], v[21:22]
	v_fma_f64 v[14:15], v[46:47], v[52:53], v[15:16]
	v_fma_f64 v[23:24], -v[44:45], v[52:53], v[23:24]
	v_fma_f64 v[25:26], v[42:43], v[52:53], v[25:26]
	v_fma_f64 v[16:17], -v[38:39], v[52:53], v[17:18]
	v_fma_f64 v[18:19], v[36:37], v[52:53], v[19:20]
	v_fma_f64 v[10:11], -v[34:35], v[52:53], v[10:11]
	v_fma_f64 v[12:13], v[32:33], v[52:53], v[12:13]
	s_waitcnt vmcnt(3)
	v_fma_f64 v[20:21], v[58:59], v[54:55], v[21:22]
	v_fma_f64 v[14:15], v[60:61], v[54:55], v[14:15]
	s_waitcnt vmcnt(2)
	v_fma_f64 v[23:24], v[62:63], v[54:55], v[23:24]
	v_fma_f64 v[25:26], v[64:65], v[54:55], v[25:26]
	;; [unrolled: 3-line block ×4, first 2 shown]
	v_fma_f64 v[21:22], -v[60:61], v[56:57], v[20:21]
	v_fma_f64 v[15:16], v[58:59], v[56:57], v[14:15]
	v_fma_f64 v[23:24], -v[64:65], v[56:57], v[23:24]
	v_fma_f64 v[25:26], v[62:63], v[56:57], v[25:26]
	;; [unrolled: 2-line block ×4, first 2 shown]
	s_and_not1_b32 exec_lo, exec_lo, s4
	s_cbranch_execnz .LBB116_11
; %bb.12:
	s_or_b32 exec_lo, exec_lo, s4
.LBB116_13:
	s_delay_alu instid0(SALU_CYCLE_1)
	s_or_b32 exec_lo, exec_lo, s1
	s_cbranch_execz .LBB116_15
	s_branch .LBB116_20
.LBB116_14:
                                        ; implicit-def: $vgpr15_vgpr16
                                        ; implicit-def: $vgpr21_vgpr22
                                        ; implicit-def: $vgpr11_vgpr12
                                        ; implicit-def: $vgpr13_vgpr14
                                        ; implicit-def: $vgpr17_vgpr18
                                        ; implicit-def: $vgpr19_vgpr20
                                        ; implicit-def: $vgpr23_vgpr24
                                        ; implicit-def: $vgpr25_vgpr26
.LBB116_15:
	v_mov_b32_e32 v15, 0
	v_mov_b32_e32 v16, 0
	s_delay_alu instid0(VALU_DEP_2) | instskip(NEXT) | instid1(VALU_DEP_2)
	v_mov_b32_e32 v11, v15
	v_dual_mov_b32 v13, v15 :: v_dual_mov_b32 v14, v16
	v_dual_mov_b32 v22, v16 :: v_dual_mov_b32 v21, v15
	v_mov_b32_e32 v12, v16
	v_dual_mov_b32 v18, v16 :: v_dual_mov_b32 v17, v15
	v_dual_mov_b32 v20, v16 :: v_dual_mov_b32 v19, v15
	;; [unrolled: 1-line block ×4, first 2 shown]
	s_and_saveexec_b32 s1, s0
	s_cbranch_execz .LBB116_19
; %bb.16:
	v_dual_mov_b32 v15, 0 :: v_dual_mov_b32 v28, 0
	v_dual_mov_b32 v16, 0 :: v_dual_lshlrev_b32 v27, 3, v9
	s_delay_alu instid0(VALU_DEP_2) | instskip(SKIP_2) | instid1(VALU_DEP_3)
	v_mov_b32_e32 v11, v15
	v_mov_b32_e32 v13, v15
	s_mov_b32 s0, 0
	v_mov_b32_e32 v14, v16
	v_dual_mov_b32 v22, v16 :: v_dual_mov_b32 v21, v15
	v_mov_b32_e32 v12, v16
	v_dual_mov_b32 v18, v16 :: v_dual_mov_b32 v17, v15
	v_dual_mov_b32 v20, v16 :: v_dual_mov_b32 v19, v15
	v_dual_mov_b32 v24, v16 :: v_dual_mov_b32 v23, v15
	v_dual_mov_b32 v26, v16 :: v_dual_mov_b32 v25, v15
.LBB116_17:                             ; =>This Inner Loop Header: Depth=1
	v_ashrrev_i32_e32 v10, 31, v9
	s_delay_alu instid0(VALU_DEP_1) | instskip(SKIP_1) | instid1(VALU_DEP_2)
	v_lshlrev_b64 v[29:30], 2, v[9:10]
	v_add_nc_u32_e32 v9, 4, v9
	v_add_co_u32 v29, vcc_lo, s6, v29
	s_delay_alu instid0(VALU_DEP_3) | instskip(SKIP_3) | instid1(VALU_DEP_2)
	v_add_co_ci_u32_e32 v30, vcc_lo, s7, v30, vcc_lo
	global_load_b32 v10, v[29:30], off
	v_lshlrev_b64 v[29:30], 4, v[27:28]
	v_add_nc_u32_e32 v27, 32, v27
	v_add_co_u32 v29, vcc_lo, s8, v29
	s_delay_alu instid0(VALU_DEP_3)
	v_add_co_ci_u32_e32 v30, vcc_lo, s9, v30, vcc_lo
	s_clause 0x7
	global_load_b128 v[32:35], v[29:30], off offset:48
	global_load_b128 v[36:39], v[29:30], off offset:32
	;; [unrolled: 1-line block ×3, first 2 shown]
	global_load_b128 v[46:49], v[29:30], off
	global_load_b128 v[50:53], v[29:30], off offset:112
	global_load_b128 v[54:57], v[29:30], off offset:96
	;; [unrolled: 1-line block ×4, first 2 shown]
	s_waitcnt vmcnt(8)
	v_subrev_nc_u32_e32 v10, s12, v10
	s_delay_alu instid0(VALU_DEP_1) | instskip(NEXT) | instid1(VALU_DEP_1)
	v_dual_mov_b32 v67, v28 :: v_dual_lshlrev_b32 v66, 1, v10
	v_lshlrev_b64 v[29:30], 4, v[66:67]
	s_delay_alu instid0(VALU_DEP_1) | instskip(NEXT) | instid1(VALU_DEP_2)
	v_add_co_u32 v29, vcc_lo, s10, v29
	v_add_co_ci_u32_e32 v30, vcc_lo, s11, v30, vcc_lo
	v_cmp_ge_i32_e32 vcc_lo, v9, v31
	s_clause 0x1
	global_load_b128 v[66:69], v[29:30], off
	global_load_b128 v[70:73], v[29:30], off offset:16
	s_or_b32 s0, vcc_lo, s0
	s_waitcnt vmcnt(1)
	v_fma_f64 v[21:22], v[46:47], v[66:67], v[21:22]
	v_fma_f64 v[15:16], v[48:49], v[66:67], v[15:16]
	;; [unrolled: 1-line block ×8, first 2 shown]
	v_fma_f64 v[21:22], -v[48:49], v[68:69], v[21:22]
	v_fma_f64 v[14:15], v[46:47], v[68:69], v[15:16]
	v_fma_f64 v[23:24], -v[38:39], v[68:69], v[23:24]
	v_fma_f64 v[25:26], v[36:37], v[68:69], v[25:26]
	;; [unrolled: 2-line block ×4, first 2 shown]
	s_waitcnt vmcnt(0)
	v_fma_f64 v[20:21], v[42:43], v[70:71], v[21:22]
	v_fma_f64 v[14:15], v[44:45], v[70:71], v[14:15]
	;; [unrolled: 1-line block ×8, first 2 shown]
	v_fma_f64 v[21:22], -v[44:45], v[72:73], v[20:21]
	v_fma_f64 v[15:16], v[42:43], v[72:73], v[14:15]
	v_fma_f64 v[23:24], -v[34:35], v[72:73], v[23:24]
	v_fma_f64 v[25:26], v[32:33], v[72:73], v[25:26]
	;; [unrolled: 2-line block ×4, first 2 shown]
	s_and_not1_b32 exec_lo, exec_lo, s0
	s_cbranch_execnz .LBB116_17
; %bb.18:
	s_or_b32 exec_lo, exec_lo, s0
.LBB116_19:
	s_delay_alu instid0(SALU_CYCLE_1)
	s_or_b32 exec_lo, exec_lo, s1
.LBB116_20:
	v_mbcnt_lo_u32_b32 v44, -1, 0
	s_delay_alu instid0(VALU_DEP_1) | instskip(NEXT) | instid1(VALU_DEP_1)
	v_xor_b32_e32 v9, 2, v44
	v_cmp_gt_i32_e32 vcc_lo, 32, v9
	v_cndmask_b32_e32 v9, v44, v9, vcc_lo
	s_delay_alu instid0(VALU_DEP_1)
	v_lshlrev_b32_e32 v29, 2, v9
	ds_bpermute_b32 v9, v29, v21
	ds_bpermute_b32 v10, v29, v22
	;; [unrolled: 1-line block ×16, first 2 shown]
	s_waitcnt lgkmcnt(14)
	v_add_f64 v[9:10], v[21:22], v[9:10]
	s_waitcnt lgkmcnt(12)
	v_add_f64 v[29:30], v[15:16], v[27:28]
	s_waitcnt lgkmcnt(10)
	v_add_f64 v[27:28], v[23:24], v[31:32]
	s_waitcnt lgkmcnt(8)
	v_add_f64 v[21:22], v[25:26], v[33:34]
	s_waitcnt lgkmcnt(6)
	v_add_f64 v[25:26], v[17:18], v[35:36]
	s_waitcnt lgkmcnt(4)
	v_add_f64 v[19:20], v[19:20], v[37:38]
	s_waitcnt lgkmcnt(2)
	v_add_f64 v[15:16], v[11:12], v[39:40]
	v_xor_b32_e32 v11, 1, v44
	s_waitcnt lgkmcnt(0)
	v_add_f64 v[17:18], v[13:14], v[42:43]
	s_delay_alu instid0(VALU_DEP_2) | instskip(SKIP_2) | instid1(VALU_DEP_2)
	v_cmp_gt_i32_e32 vcc_lo, 32, v11
	v_cndmask_b32_e32 v11, v44, v11, vcc_lo
	v_cmp_eq_u32_e32 vcc_lo, 3, v41
	v_lshlrev_b32_e32 v34, 2, v11
	ds_bpermute_b32 v39, v34, v9
	ds_bpermute_b32 v40, v34, v10
	;; [unrolled: 1-line block ×16, first 2 shown]
	s_and_b32 exec_lo, exec_lo, vcc_lo
	s_cbranch_execz .LBB116_25
; %bb.21:
	v_cmp_eq_f64_e32 vcc_lo, 0, v[4:5]
	v_cmp_eq_f64_e64 s0, 0, v[6:7]
	s_waitcnt lgkmcnt(14)
	v_add_f64 v[9:10], v[9:10], v[39:40]
	s_waitcnt lgkmcnt(12)
	v_add_f64 v[23:24], v[29:30], v[23:24]
	;; [unrolled: 2-line block ×8, first 2 shown]
	s_load_b64 s[2:3], s[2:3], 0x48
	s_and_b32 s0, vcc_lo, s0
	s_delay_alu instid0(SALU_CYCLE_1) | instskip(NEXT) | instid1(SALU_CYCLE_1)
	s_and_saveexec_b32 s1, s0
	s_xor_b32 s0, exec_lo, s1
	s_cbranch_execz .LBB116_23
; %bb.22:
	v_mul_f64 v[4:5], v[23:24], -v[2:3]
	v_mul_f64 v[6:7], v[0:1], v[23:24]
	v_mul_f64 v[23:24], v[21:22], -v[2:3]
	v_mul_f64 v[21:22], v[0:1], v[21:22]
	;; [unrolled: 2-line block ×4, first 2 shown]
	v_fma_f64 v[4:5], v[0:1], v[9:10], v[4:5]
	v_fma_f64 v[6:7], v[2:3], v[9:10], v[6:7]
	;; [unrolled: 1-line block ×8, first 2 shown]
	v_lshlrev_b32_e32 v13, 2, v8
                                        ; implicit-def: $vgpr8
                                        ; implicit-def: $vgpr23_vgpr24
                                        ; implicit-def: $vgpr21_vgpr22
                                        ; implicit-def: $vgpr15_vgpr16
	s_delay_alu instid0(VALU_DEP_1) | instskip(NEXT) | instid1(VALU_DEP_1)
	v_ashrrev_i32_e32 v14, 31, v13
	v_lshlrev_b64 v[13:14], 4, v[13:14]
	s_waitcnt lgkmcnt(0)
	s_delay_alu instid0(VALU_DEP_1) | instskip(NEXT) | instid1(VALU_DEP_2)
	v_add_co_u32 v13, vcc_lo, s2, v13
	v_add_co_ci_u32_e32 v14, vcc_lo, s3, v14, vcc_lo
	s_clause 0x3
	global_store_b128 v[13:14], v[4:7], off
	global_store_b128 v[13:14], v[9:12], off offset:16
	global_store_b128 v[13:14], v[17:20], off offset:32
	;; [unrolled: 1-line block ×3, first 2 shown]
                                        ; implicit-def: $vgpr0_vgpr1
                                        ; implicit-def: $vgpr2_vgpr3
                                        ; implicit-def: $vgpr4_vgpr5
                                        ; implicit-def: $vgpr6_vgpr7
                                        ; implicit-def: $vgpr9_vgpr10
                                        ; implicit-def: $vgpr11_vgpr12
                                        ; implicit-def: $vgpr13_vgpr14
                                        ; implicit-def: $vgpr19_vgpr20
                                        ; implicit-def: $vgpr17_vgpr18
.LBB116_23:
	s_and_not1_saveexec_b32 s0, s0
	s_cbranch_execz .LBB116_25
; %bb.24:
	v_lshlrev_b32_e32 v25, 2, v8
	v_mul_f64 v[43:44], v[23:24], -v[2:3]
	v_mul_f64 v[23:24], v[0:1], v[23:24]
	v_mul_f64 v[45:46], v[21:22], -v[2:3]
	v_mul_f64 v[21:22], v[0:1], v[21:22]
	v_ashrrev_i32_e32 v26, 31, v25
	v_mul_f64 v[47:48], v[19:20], -v[2:3]
	v_mul_f64 v[19:20], v[0:1], v[19:20]
	v_mul_f64 v[49:50], v[17:18], -v[2:3]
	v_mul_f64 v[17:18], v[0:1], v[17:18]
	v_lshlrev_b64 v[25:26], 4, v[25:26]
	s_waitcnt lgkmcnt(0)
	s_delay_alu instid0(VALU_DEP_1) | instskip(NEXT) | instid1(VALU_DEP_2)
	v_add_co_u32 v41, vcc_lo, s2, v25
	v_add_co_ci_u32_e32 v42, vcc_lo, s3, v26, vcc_lo
	s_clause 0x3
	global_load_b128 v[25:28], v[41:42], off
	global_load_b128 v[29:32], v[41:42], off offset:16
	global_load_b128 v[33:36], v[41:42], off offset:32
	global_load_b128 v[37:40], v[41:42], off offset:48
	v_fma_f64 v[43:44], v[0:1], v[9:10], v[43:44]
	v_fma_f64 v[8:9], v[2:3], v[9:10], v[23:24]
	;; [unrolled: 1-line block ×8, first 2 shown]
	s_waitcnt vmcnt(3)
	v_fma_f64 v[14:15], v[4:5], v[25:26], v[43:44]
	v_fma_f64 v[8:9], v[6:7], v[25:26], v[8:9]
	s_waitcnt vmcnt(2)
	v_fma_f64 v[16:17], v[4:5], v[29:30], v[23:24]
	v_fma_f64 v[10:11], v[6:7], v[29:30], v[10:11]
	;; [unrolled: 3-line block ×4, first 2 shown]
	v_fma_f64 v[0:1], -v[6:7], v[27:28], v[14:15]
	v_fma_f64 v[2:3], v[4:5], v[27:28], v[8:9]
	v_fma_f64 v[8:9], -v[6:7], v[31:32], v[16:17]
	v_fma_f64 v[10:11], v[4:5], v[31:32], v[10:11]
	;; [unrolled: 2-line block ×4, first 2 shown]
	s_clause 0x3
	global_store_b128 v[41:42], v[0:3], off
	global_store_b128 v[41:42], v[8:11], off offset:16
	global_store_b128 v[41:42], v[12:15], off offset:32
	;; [unrolled: 1-line block ×3, first 2 shown]
.LBB116_25:
	s_nop 0
	s_sendmsg sendmsg(MSG_DEALLOC_VGPRS)
	s_endpgm
	.section	.rodata,"a",@progbits
	.p2align	6, 0x0
	.amdhsa_kernel _ZN9rocsparseL19gebsrmvn_4xn_kernelILj128ELj2ELj4E21rocsparse_complex_numIdEEEvi20rocsparse_direction_NS_24const_host_device_scalarIT2_EEPKiS8_PKS5_SA_S6_PS5_21rocsparse_index_base_b
		.amdhsa_group_segment_fixed_size 2048
		.amdhsa_private_segment_fixed_size 0
		.amdhsa_kernarg_size 88
		.amdhsa_user_sgpr_count 15
		.amdhsa_user_sgpr_dispatch_ptr 1
		.amdhsa_user_sgpr_queue_ptr 0
		.amdhsa_user_sgpr_kernarg_segment_ptr 1
		.amdhsa_user_sgpr_dispatch_id 0
		.amdhsa_user_sgpr_private_segment_size 0
		.amdhsa_wavefront_size32 1
		.amdhsa_uses_dynamic_stack 0
		.amdhsa_enable_private_segment 0
		.amdhsa_system_sgpr_workgroup_id_x 1
		.amdhsa_system_sgpr_workgroup_id_y 0
		.amdhsa_system_sgpr_workgroup_id_z 0
		.amdhsa_system_sgpr_workgroup_info 0
		.amdhsa_system_vgpr_workitem_id 2
		.amdhsa_next_free_vgpr 74
		.amdhsa_next_free_sgpr 18
		.amdhsa_reserve_vcc 1
		.amdhsa_float_round_mode_32 0
		.amdhsa_float_round_mode_16_64 0
		.amdhsa_float_denorm_mode_32 3
		.amdhsa_float_denorm_mode_16_64 3
		.amdhsa_dx10_clamp 1
		.amdhsa_ieee_mode 1
		.amdhsa_fp16_overflow 0
		.amdhsa_workgroup_processor_mode 1
		.amdhsa_memory_ordered 1
		.amdhsa_forward_progress 0
		.amdhsa_shared_vgpr_count 0
		.amdhsa_exception_fp_ieee_invalid_op 0
		.amdhsa_exception_fp_denorm_src 0
		.amdhsa_exception_fp_ieee_div_zero 0
		.amdhsa_exception_fp_ieee_overflow 0
		.amdhsa_exception_fp_ieee_underflow 0
		.amdhsa_exception_fp_ieee_inexact 0
		.amdhsa_exception_int_div_zero 0
	.end_amdhsa_kernel
	.section	.text._ZN9rocsparseL19gebsrmvn_4xn_kernelILj128ELj2ELj4E21rocsparse_complex_numIdEEEvi20rocsparse_direction_NS_24const_host_device_scalarIT2_EEPKiS8_PKS5_SA_S6_PS5_21rocsparse_index_base_b,"axG",@progbits,_ZN9rocsparseL19gebsrmvn_4xn_kernelILj128ELj2ELj4E21rocsparse_complex_numIdEEEvi20rocsparse_direction_NS_24const_host_device_scalarIT2_EEPKiS8_PKS5_SA_S6_PS5_21rocsparse_index_base_b,comdat
.Lfunc_end116:
	.size	_ZN9rocsparseL19gebsrmvn_4xn_kernelILj128ELj2ELj4E21rocsparse_complex_numIdEEEvi20rocsparse_direction_NS_24const_host_device_scalarIT2_EEPKiS8_PKS5_SA_S6_PS5_21rocsparse_index_base_b, .Lfunc_end116-_ZN9rocsparseL19gebsrmvn_4xn_kernelILj128ELj2ELj4E21rocsparse_complex_numIdEEEvi20rocsparse_direction_NS_24const_host_device_scalarIT2_EEPKiS8_PKS5_SA_S6_PS5_21rocsparse_index_base_b
                                        ; -- End function
	.section	.AMDGPU.csdata,"",@progbits
; Kernel info:
; codeLenInByte = 2956
; NumSgprs: 20
; NumVgprs: 74
; ScratchSize: 0
; MemoryBound: 0
; FloatMode: 240
; IeeeMode: 1
; LDSByteSize: 2048 bytes/workgroup (compile time only)
; SGPRBlocks: 2
; VGPRBlocks: 9
; NumSGPRsForWavesPerEU: 20
; NumVGPRsForWavesPerEU: 74
; Occupancy: 16
; WaveLimiterHint : 1
; COMPUTE_PGM_RSRC2:SCRATCH_EN: 0
; COMPUTE_PGM_RSRC2:USER_SGPR: 15
; COMPUTE_PGM_RSRC2:TRAP_HANDLER: 0
; COMPUTE_PGM_RSRC2:TGID_X_EN: 1
; COMPUTE_PGM_RSRC2:TGID_Y_EN: 0
; COMPUTE_PGM_RSRC2:TGID_Z_EN: 0
; COMPUTE_PGM_RSRC2:TIDIG_COMP_CNT: 2
	.section	.text._ZN9rocsparseL19gebsrmvn_4xn_kernelILj128ELj2ELj8E21rocsparse_complex_numIdEEEvi20rocsparse_direction_NS_24const_host_device_scalarIT2_EEPKiS8_PKS5_SA_S6_PS5_21rocsparse_index_base_b,"axG",@progbits,_ZN9rocsparseL19gebsrmvn_4xn_kernelILj128ELj2ELj8E21rocsparse_complex_numIdEEEvi20rocsparse_direction_NS_24const_host_device_scalarIT2_EEPKiS8_PKS5_SA_S6_PS5_21rocsparse_index_base_b,comdat
	.globl	_ZN9rocsparseL19gebsrmvn_4xn_kernelILj128ELj2ELj8E21rocsparse_complex_numIdEEEvi20rocsparse_direction_NS_24const_host_device_scalarIT2_EEPKiS8_PKS5_SA_S6_PS5_21rocsparse_index_base_b ; -- Begin function _ZN9rocsparseL19gebsrmvn_4xn_kernelILj128ELj2ELj8E21rocsparse_complex_numIdEEEvi20rocsparse_direction_NS_24const_host_device_scalarIT2_EEPKiS8_PKS5_SA_S6_PS5_21rocsparse_index_base_b
	.p2align	8
	.type	_ZN9rocsparseL19gebsrmvn_4xn_kernelILj128ELj2ELj8E21rocsparse_complex_numIdEEEvi20rocsparse_direction_NS_24const_host_device_scalarIT2_EEPKiS8_PKS5_SA_S6_PS5_21rocsparse_index_base_b,@function
_ZN9rocsparseL19gebsrmvn_4xn_kernelILj128ELj2ELj8E21rocsparse_complex_numIdEEEvi20rocsparse_direction_NS_24const_host_device_scalarIT2_EEPKiS8_PKS5_SA_S6_PS5_21rocsparse_index_base_b: ; @_ZN9rocsparseL19gebsrmvn_4xn_kernelILj128ELj2ELj8E21rocsparse_complex_numIdEEEvi20rocsparse_direction_NS_24const_host_device_scalarIT2_EEPKiS8_PKS5_SA_S6_PS5_21rocsparse_index_base_b
; %bb.0:
	s_load_b64 s[12:13], s[2:3], 0x50
	s_load_b64 s[16:17], s[0:1], 0x4
	s_load_b128 s[8:11], s[2:3], 0x8
	v_bfe_u32 v1, v0, 10, 10
	s_mov_b64 s[0:1], src_shared_base
	s_load_b128 s[4:7], s[2:3], 0x38
	v_and_b32_e32 v10, 0x3ff, v0
	v_bfe_u32 v0, v0, 20, 10
	s_waitcnt lgkmcnt(0)
	s_bitcmp1_b32 s13, 0
	v_mul_u32_u24_e32 v1, s17, v1
	s_cselect_b32 s0, -1, 0
	s_delay_alu instid0(SALU_CYCLE_1)
	s_and_b32 vcc_lo, s0, exec_lo
	s_cselect_b32 s13, s1, s9
	s_lshr_b32 s14, s16, 16
	v_dual_mov_b32 v2, s4 :: v_dual_mov_b32 v3, s5
	s_mul_i32 s14, s14, s17
	v_mov_b32_e32 v6, s13
	v_mad_u32_u24 v1, s14, v10, v1
	s_delay_alu instid0(VALU_DEP_1) | instskip(SKIP_1) | instid1(VALU_DEP_2)
	v_add_lshl_u32 v4, v1, v0, 3
	v_dual_mov_b32 v0, s8 :: v_dual_mov_b32 v1, s9
	v_add_nc_u32_e32 v5, 0x400, v4
	ds_store_2addr_stride64_b64 v4, v[2:3], v[0:1] offset1:2
	v_dual_mov_b32 v2, s10 :: v_dual_mov_b32 v3, s11
	v_cndmask_b32_e64 v5, s8, v5, s0
	s_xor_b32 s10, s0, -1
	flat_load_b64 v[0:1], v[5:6]
	s_cbranch_vccnz .LBB117_2
; %bb.1:
	v_dual_mov_b32 v2, s8 :: v_dual_mov_b32 v3, s9
	flat_load_b64 v[2:3], v[2:3] offset:8
.LBB117_2:
	s_and_b32 s8, s0, exec_lo
	s_cselect_b32 s1, s1, s5
	v_cndmask_b32_e64 v4, s4, v4, s0
	v_dual_mov_b32 v5, s1 :: v_dual_mov_b32 v6, s6
	v_mov_b32_e32 v7, s7
	s_and_not1_b32 vcc_lo, exec_lo, s10
	flat_load_b64 v[4:5], v[4:5]
	s_cbranch_vccnz .LBB117_4
; %bb.3:
	v_dual_mov_b32 v7, s5 :: v_dual_mov_b32 v6, s4
	flat_load_b64 v[6:7], v[6:7] offset:8
.LBB117_4:
	s_waitcnt vmcnt(1) lgkmcnt(1)
	v_cmp_eq_f64_e32 vcc_lo, 0, v[0:1]
	v_cmp_eq_f64_e64 s0, 0, v[2:3]
	s_delay_alu instid0(VALU_DEP_1)
	s_and_b32 s4, vcc_lo, s0
	s_mov_b32 s0, -1
	s_and_saveexec_b32 s1, s4
	s_cbranch_execz .LBB117_6
; %bb.5:
	s_waitcnt vmcnt(0) lgkmcnt(0)
	v_cmp_neq_f64_e32 vcc_lo, 1.0, v[4:5]
	v_cmp_neq_f64_e64 s0, 0, v[6:7]
	s_delay_alu instid0(VALU_DEP_1) | instskip(NEXT) | instid1(SALU_CYCLE_1)
	s_or_b32 s0, vcc_lo, s0
	s_or_not1_b32 s0, s0, exec_lo
.LBB117_6:
	s_or_b32 exec_lo, exec_lo, s1
	s_and_saveexec_b32 s1, s0
	s_cbranch_execz .LBB117_25
; %bb.7:
	s_load_b64 s[0:1], s[2:3], 0x0
	v_lshrrev_b32_e32 v8, 3, v10
	s_delay_alu instid0(VALU_DEP_1) | instskip(SKIP_1) | instid1(VALU_DEP_1)
	v_lshl_or_b32 v8, s15, 4, v8
	s_waitcnt lgkmcnt(0)
	v_cmp_gt_i32_e32 vcc_lo, s0, v8
	s_and_b32 exec_lo, exec_lo, vcc_lo
	s_cbranch_execz .LBB117_25
; %bb.8:
	s_load_b256 s[4:11], s[2:3], 0x18
	v_ashrrev_i32_e32 v9, 31, v8
	v_and_b32_e32 v41, 7, v10
	s_cmp_lg_u32 s1, 0
	s_delay_alu instid0(VALU_DEP_2) | instskip(SKIP_1) | instid1(VALU_DEP_1)
	v_lshlrev_b64 v[11:12], 2, v[8:9]
	s_waitcnt lgkmcnt(0)
	v_add_co_u32 v11, vcc_lo, s4, v11
	s_delay_alu instid0(VALU_DEP_2) | instskip(SKIP_4) | instid1(VALU_DEP_2)
	v_add_co_ci_u32_e32 v12, vcc_lo, s5, v12, vcc_lo
	global_load_b64 v[11:12], v[11:12], off
	s_waitcnt vmcnt(0)
	v_subrev_nc_u32_e32 v9, s12, v11
	v_subrev_nc_u32_e32 v31, s12, v12
	v_add_nc_u32_e32 v19, v9, v41
	s_delay_alu instid0(VALU_DEP_1)
	v_cmp_lt_i32_e64 s0, v19, v31
	s_cbranch_scc0 .LBB117_14
; %bb.9:
	v_mov_b32_e32 v13, 0
	v_mov_b32_e32 v14, 0
	s_delay_alu instid0(VALU_DEP_2) | instskip(NEXT) | instid1(VALU_DEP_2)
	v_mov_b32_e32 v9, v13
	v_dual_mov_b32 v11, v13 :: v_dual_mov_b32 v12, v14
	v_dual_mov_b32 v22, v14 :: v_dual_mov_b32 v21, v13
	v_mov_b32_e32 v10, v14
	v_dual_mov_b32 v16, v14 :: v_dual_mov_b32 v15, v13
	v_dual_mov_b32 v18, v14 :: v_dual_mov_b32 v17, v13
	;; [unrolled: 1-line block ×4, first 2 shown]
	s_and_saveexec_b32 s1, s0
	s_cbranch_execz .LBB117_13
; %bb.10:
	v_dual_mov_b32 v13, 0 :: v_dual_mov_b32 v28, 0
	v_dual_mov_b32 v14, 0 :: v_dual_lshlrev_b32 v27, 3, v19
	s_delay_alu instid0(VALU_DEP_2) | instskip(SKIP_1) | instid1(VALU_DEP_3)
	v_mov_b32_e32 v11, v13
	v_mov_b32_e32 v29, v19
	v_dual_mov_b32 v9, v13 :: v_dual_mov_b32 v12, v14
	v_dual_mov_b32 v16, v14 :: v_dual_mov_b32 v15, v13
	;; [unrolled: 1-line block ×3, first 2 shown]
	v_mov_b32_e32 v24, v14
	v_dual_mov_b32 v22, v14 :: v_dual_mov_b32 v23, v13
	v_dual_mov_b32 v26, v14 :: v_dual_mov_b32 v21, v13
	;; [unrolled: 1-line block ×3, first 2 shown]
	s_mov_b32 s4, 0
.LBB117_11:                             ; =>This Inner Loop Header: Depth=1
	v_ashrrev_i32_e32 v30, 31, v29
	s_delay_alu instid0(VALU_DEP_1) | instskip(SKIP_1) | instid1(VALU_DEP_2)
	v_lshlrev_b64 v[32:33], 2, v[29:30]
	v_add_nc_u32_e32 v29, 8, v29
	v_add_co_u32 v32, vcc_lo, s6, v32
	s_delay_alu instid0(VALU_DEP_3) | instskip(SKIP_3) | instid1(VALU_DEP_2)
	v_add_co_ci_u32_e32 v33, vcc_lo, s7, v33, vcc_lo
	global_load_b32 v20, v[32:33], off
	v_lshlrev_b64 v[32:33], 4, v[27:28]
	v_add_nc_u32_e32 v27, 64, v27
	v_add_co_u32 v70, vcc_lo, s8, v32
	s_delay_alu instid0(VALU_DEP_3)
	v_add_co_ci_u32_e32 v71, vcc_lo, s9, v33, vcc_lo
	s_clause 0x3
	global_load_b128 v[32:35], v[70:71], off offset:48
	global_load_b128 v[36:39], v[70:71], off offset:32
	;; [unrolled: 1-line block ×3, first 2 shown]
	global_load_b128 v[46:49], v[70:71], off
	s_waitcnt vmcnt(4)
	v_subrev_nc_u32_e32 v20, s12, v20
	s_delay_alu instid0(VALU_DEP_1) | instskip(NEXT) | instid1(VALU_DEP_1)
	v_dual_mov_b32 v51, v28 :: v_dual_lshlrev_b32 v50, 1, v20
	v_lshlrev_b64 v[50:51], 4, v[50:51]
	s_delay_alu instid0(VALU_DEP_1) | instskip(NEXT) | instid1(VALU_DEP_2)
	v_add_co_u32 v54, vcc_lo, s10, v50
	v_add_co_ci_u32_e32 v55, vcc_lo, s11, v51, vcc_lo
	v_cmp_ge_i32_e32 vcc_lo, v29, v31
	s_clause 0x1
	global_load_b128 v[50:53], v[54:55], off
	global_load_b128 v[54:57], v[54:55], off offset:16
	s_clause 0x3
	global_load_b128 v[58:61], v[70:71], off offset:64
	global_load_b128 v[62:65], v[70:71], off offset:80
	;; [unrolled: 1-line block ×4, first 2 shown]
	s_or_b32 s4, vcc_lo, s4
	s_waitcnt vmcnt(5)
	v_fma_f64 v[20:21], v[46:47], v[50:51], v[21:22]
	v_fma_f64 v[13:14], v[48:49], v[50:51], v[13:14]
	;; [unrolled: 1-line block ×8, first 2 shown]
	v_fma_f64 v[20:21], -v[48:49], v[52:53], v[20:21]
	v_fma_f64 v[13:14], v[46:47], v[52:53], v[13:14]
	v_fma_f64 v[22:23], -v[44:45], v[52:53], v[22:23]
	v_fma_f64 v[24:25], v[42:43], v[52:53], v[24:25]
	;; [unrolled: 2-line block ×4, first 2 shown]
	s_waitcnt vmcnt(3)
	v_fma_f64 v[20:21], v[58:59], v[54:55], v[20:21]
	v_fma_f64 v[13:14], v[60:61], v[54:55], v[13:14]
	s_waitcnt vmcnt(2)
	v_fma_f64 v[32:33], v[62:63], v[54:55], v[22:23]
	v_fma_f64 v[25:26], v[64:65], v[54:55], v[24:25]
	;; [unrolled: 3-line block ×4, first 2 shown]
	v_fma_f64 v[21:22], -v[60:61], v[56:57], v[20:21]
	v_fma_f64 v[13:14], v[58:59], v[56:57], v[13:14]
	v_fma_f64 v[23:24], -v[64:65], v[56:57], v[32:33]
	v_fma_f64 v[25:26], v[62:63], v[56:57], v[25:26]
	;; [unrolled: 2-line block ×4, first 2 shown]
	s_and_not1_b32 exec_lo, exec_lo, s4
	s_cbranch_execnz .LBB117_11
; %bb.12:
	s_or_b32 exec_lo, exec_lo, s4
.LBB117_13:
	s_delay_alu instid0(SALU_CYCLE_1)
	s_or_b32 exec_lo, exec_lo, s1
	s_cbranch_execz .LBB117_15
	s_branch .LBB117_20
.LBB117_14:
                                        ; implicit-def: $vgpr13_vgpr14
                                        ; implicit-def: $vgpr21_vgpr22
                                        ; implicit-def: $vgpr9_vgpr10
                                        ; implicit-def: $vgpr11_vgpr12
                                        ; implicit-def: $vgpr15_vgpr16
                                        ; implicit-def: $vgpr17_vgpr18
                                        ; implicit-def: $vgpr23_vgpr24
                                        ; implicit-def: $vgpr25_vgpr26
.LBB117_15:
	v_mov_b32_e32 v13, 0
	v_mov_b32_e32 v14, 0
	s_delay_alu instid0(VALU_DEP_2) | instskip(NEXT) | instid1(VALU_DEP_2)
	v_mov_b32_e32 v9, v13
	v_dual_mov_b32 v11, v13 :: v_dual_mov_b32 v12, v14
	v_dual_mov_b32 v22, v14 :: v_dual_mov_b32 v21, v13
	v_mov_b32_e32 v10, v14
	v_dual_mov_b32 v16, v14 :: v_dual_mov_b32 v15, v13
	v_dual_mov_b32 v18, v14 :: v_dual_mov_b32 v17, v13
	;; [unrolled: 1-line block ×4, first 2 shown]
	s_and_saveexec_b32 s1, s0
	s_cbranch_execz .LBB117_19
; %bb.16:
	v_dual_mov_b32 v13, 0 :: v_dual_mov_b32 v28, 0
	v_dual_mov_b32 v14, 0 :: v_dual_lshlrev_b32 v27, 3, v19
	s_delay_alu instid0(VALU_DEP_2) | instskip(SKIP_2) | instid1(VALU_DEP_3)
	v_mov_b32_e32 v9, v13
	v_mov_b32_e32 v11, v13
	s_mov_b32 s0, 0
	v_mov_b32_e32 v12, v14
	v_dual_mov_b32 v22, v14 :: v_dual_mov_b32 v21, v13
	v_mov_b32_e32 v10, v14
	v_dual_mov_b32 v16, v14 :: v_dual_mov_b32 v15, v13
	v_dual_mov_b32 v18, v14 :: v_dual_mov_b32 v17, v13
	v_dual_mov_b32 v24, v14 :: v_dual_mov_b32 v23, v13
	v_dual_mov_b32 v26, v14 :: v_dual_mov_b32 v25, v13
.LBB117_17:                             ; =>This Inner Loop Header: Depth=1
	v_ashrrev_i32_e32 v20, 31, v19
	s_delay_alu instid0(VALU_DEP_1) | instskip(SKIP_1) | instid1(VALU_DEP_2)
	v_lshlrev_b64 v[29:30], 2, v[19:20]
	v_add_nc_u32_e32 v19, 8, v19
	v_add_co_u32 v29, vcc_lo, s6, v29
	s_delay_alu instid0(VALU_DEP_3) | instskip(SKIP_3) | instid1(VALU_DEP_2)
	v_add_co_ci_u32_e32 v30, vcc_lo, s7, v30, vcc_lo
	global_load_b32 v20, v[29:30], off
	v_lshlrev_b64 v[29:30], 4, v[27:28]
	v_add_nc_u32_e32 v27, 64, v27
	v_add_co_u32 v29, vcc_lo, s8, v29
	s_delay_alu instid0(VALU_DEP_3)
	v_add_co_ci_u32_e32 v30, vcc_lo, s9, v30, vcc_lo
	s_clause 0x7
	global_load_b128 v[32:35], v[29:30], off offset:48
	global_load_b128 v[36:39], v[29:30], off offset:32
	;; [unrolled: 1-line block ×3, first 2 shown]
	global_load_b128 v[46:49], v[29:30], off
	global_load_b128 v[50:53], v[29:30], off offset:112
	global_load_b128 v[54:57], v[29:30], off offset:96
	;; [unrolled: 1-line block ×4, first 2 shown]
	s_waitcnt vmcnt(8)
	v_subrev_nc_u32_e32 v20, s12, v20
	s_delay_alu instid0(VALU_DEP_1) | instskip(NEXT) | instid1(VALU_DEP_1)
	v_dual_mov_b32 v67, v28 :: v_dual_lshlrev_b32 v66, 1, v20
	v_lshlrev_b64 v[29:30], 4, v[66:67]
	s_delay_alu instid0(VALU_DEP_1) | instskip(NEXT) | instid1(VALU_DEP_2)
	v_add_co_u32 v29, vcc_lo, s10, v29
	v_add_co_ci_u32_e32 v30, vcc_lo, s11, v30, vcc_lo
	v_cmp_ge_i32_e32 vcc_lo, v19, v31
	s_clause 0x1
	global_load_b128 v[66:69], v[29:30], off
	global_load_b128 v[70:73], v[29:30], off offset:16
	s_or_b32 s0, vcc_lo, s0
	s_waitcnt vmcnt(1)
	v_fma_f64 v[20:21], v[46:47], v[66:67], v[21:22]
	v_fma_f64 v[13:14], v[48:49], v[66:67], v[13:14]
	;; [unrolled: 1-line block ×8, first 2 shown]
	v_fma_f64 v[20:21], -v[48:49], v[68:69], v[20:21]
	v_fma_f64 v[13:14], v[46:47], v[68:69], v[13:14]
	v_fma_f64 v[22:23], -v[38:39], v[68:69], v[22:23]
	v_fma_f64 v[24:25], v[36:37], v[68:69], v[24:25]
	;; [unrolled: 2-line block ×4, first 2 shown]
	s_waitcnt vmcnt(0)
	v_fma_f64 v[20:21], v[42:43], v[70:71], v[20:21]
	v_fma_f64 v[13:14], v[44:45], v[70:71], v[13:14]
	;; [unrolled: 1-line block ×8, first 2 shown]
	v_fma_f64 v[21:22], -v[44:45], v[72:73], v[20:21]
	v_fma_f64 v[13:14], v[42:43], v[72:73], v[13:14]
	v_fma_f64 v[23:24], -v[34:35], v[72:73], v[29:30]
	v_fma_f64 v[25:26], v[32:33], v[72:73], v[25:26]
	;; [unrolled: 2-line block ×4, first 2 shown]
	s_and_not1_b32 exec_lo, exec_lo, s0
	s_cbranch_execnz .LBB117_17
; %bb.18:
	s_or_b32 exec_lo, exec_lo, s0
.LBB117_19:
	s_delay_alu instid0(SALU_CYCLE_1)
	s_or_b32 exec_lo, exec_lo, s1
.LBB117_20:
	v_mbcnt_lo_u32_b32 v44, -1, 0
	s_delay_alu instid0(VALU_DEP_1) | instskip(NEXT) | instid1(VALU_DEP_1)
	v_xor_b32_e32 v19, 4, v44
	v_cmp_gt_i32_e32 vcc_lo, 32, v19
	v_cndmask_b32_e32 v19, v44, v19, vcc_lo
	s_delay_alu instid0(VALU_DEP_1)
	v_lshlrev_b32_e32 v40, 2, v19
	ds_bpermute_b32 v27, v40, v13
	ds_bpermute_b32 v28, v40, v14
	;; [unrolled: 1-line block ×4, first 2 shown]
	s_waitcnt lgkmcnt(2)
	v_add_f64 v[13:14], v[13:14], v[27:28]
	s_waitcnt lgkmcnt(0)
	v_add_f64 v[27:28], v[9:10], v[37:38]
	v_xor_b32_e32 v9, 2, v44
	s_delay_alu instid0(VALU_DEP_1)
	v_cmp_gt_i32_e32 vcc_lo, 32, v9
	v_cndmask_b32_e32 v9, v44, v9, vcc_lo
	ds_bpermute_b32 v19, v40, v21
	ds_bpermute_b32 v20, v40, v22
	ds_bpermute_b32 v29, v40, v23
	ds_bpermute_b32 v30, v40, v24
	ds_bpermute_b32 v31, v40, v25
	ds_bpermute_b32 v32, v40, v26
	ds_bpermute_b32 v33, v40, v15
	ds_bpermute_b32 v34, v40, v16
	ds_bpermute_b32 v35, v40, v17
	ds_bpermute_b32 v36, v40, v18
	ds_bpermute_b32 v39, v40, v11
	ds_bpermute_b32 v40, v40, v12
	s_waitcnt lgkmcnt(10)
	v_add_f64 v[19:20], v[21:22], v[19:20]
	s_waitcnt lgkmcnt(8)
	v_add_f64 v[21:22], v[23:24], v[29:30]
	v_lshlrev_b32_e32 v23, 2, v9
	s_waitcnt lgkmcnt(6)
	v_add_f64 v[25:26], v[25:26], v[31:32]
	s_waitcnt lgkmcnt(4)
	v_add_f64 v[15:16], v[15:16], v[33:34]
	;; [unrolled: 2-line block ×4, first 2 shown]
	ds_bpermute_b32 v11, v23, v13
	ds_bpermute_b32 v12, v23, v14
	;; [unrolled: 1-line block ×16, first 2 shown]
	s_waitcnt lgkmcnt(14)
	v_add_f64 v[23:24], v[13:14], v[11:12]
	s_waitcnt lgkmcnt(10)
	v_add_f64 v[9:10], v[19:20], v[9:10]
	;; [unrolled: 2-line block ×4, first 2 shown]
	v_xor_b32_e32 v25, 1, v44
	s_waitcnt lgkmcnt(4)
	v_add_f64 v[13:14], v[15:16], v[35:36]
	v_add_f64 v[15:16], v[27:28], v[39:40]
	s_waitcnt lgkmcnt(2)
	v_add_f64 v[19:20], v[17:18], v[37:38]
	s_waitcnt lgkmcnt(0)
	v_add_f64 v[17:18], v[29:30], v[42:43]
	v_cmp_gt_i32_e32 vcc_lo, 32, v25
	v_cndmask_b32_e32 v25, v44, v25, vcc_lo
	v_cmp_eq_u32_e32 vcc_lo, 7, v41
	s_delay_alu instid0(VALU_DEP_2)
	v_lshlrev_b32_e32 v28, 2, v25
	ds_bpermute_b32 v37, v28, v23
	ds_bpermute_b32 v38, v28, v24
	ds_bpermute_b32 v39, v28, v9
	ds_bpermute_b32 v40, v28, v10
	ds_bpermute_b32 v35, v28, v11
	ds_bpermute_b32 v36, v28, v12
	ds_bpermute_b32 v33, v28, v21
	ds_bpermute_b32 v34, v28, v22
	ds_bpermute_b32 v31, v28, v13
	ds_bpermute_b32 v32, v28, v14
	ds_bpermute_b32 v29, v28, v19
	ds_bpermute_b32 v30, v28, v20
	ds_bpermute_b32 v25, v28, v15
	ds_bpermute_b32 v26, v28, v16
	ds_bpermute_b32 v27, v28, v17
	ds_bpermute_b32 v28, v28, v18
	s_and_b32 exec_lo, exec_lo, vcc_lo
	s_cbranch_execz .LBB117_25
; %bb.21:
	v_cmp_eq_f64_e32 vcc_lo, 0, v[4:5]
	v_cmp_eq_f64_e64 s0, 0, v[6:7]
	s_waitcnt lgkmcnt(12)
	v_add_f64 v[9:10], v[9:10], v[39:40]
	v_add_f64 v[23:24], v[23:24], v[37:38]
	s_waitcnt lgkmcnt(10)
	v_add_f64 v[11:12], v[11:12], v[35:36]
	s_waitcnt lgkmcnt(8)
	;; [unrolled: 2-line block ×6, first 2 shown]
	v_add_f64 v[17:18], v[17:18], v[27:28]
	s_load_b64 s[2:3], s[2:3], 0x48
	s_and_b32 s0, vcc_lo, s0
	s_delay_alu instid0(SALU_CYCLE_1) | instskip(NEXT) | instid1(SALU_CYCLE_1)
	s_and_saveexec_b32 s1, s0
	s_xor_b32 s0, exec_lo, s1
	s_cbranch_execz .LBB117_23
; %bb.22:
	v_mul_f64 v[4:5], v[23:24], -v[2:3]
	v_mul_f64 v[6:7], v[0:1], v[23:24]
	v_mul_f64 v[23:24], v[21:22], -v[2:3]
	v_mul_f64 v[21:22], v[0:1], v[21:22]
	;; [unrolled: 2-line block ×4, first 2 shown]
	v_fma_f64 v[4:5], v[0:1], v[9:10], v[4:5]
	v_fma_f64 v[6:7], v[2:3], v[9:10], v[6:7]
	;; [unrolled: 1-line block ×8, first 2 shown]
	v_lshlrev_b32_e32 v13, 2, v8
                                        ; implicit-def: $vgpr8
                                        ; implicit-def: $vgpr23_vgpr24
                                        ; implicit-def: $vgpr21_vgpr22
                                        ; implicit-def: $vgpr15_vgpr16
	s_delay_alu instid0(VALU_DEP_1) | instskip(NEXT) | instid1(VALU_DEP_1)
	v_ashrrev_i32_e32 v14, 31, v13
	v_lshlrev_b64 v[13:14], 4, v[13:14]
	s_waitcnt lgkmcnt(0)
	s_delay_alu instid0(VALU_DEP_1) | instskip(NEXT) | instid1(VALU_DEP_2)
	v_add_co_u32 v13, vcc_lo, s2, v13
	v_add_co_ci_u32_e32 v14, vcc_lo, s3, v14, vcc_lo
	s_clause 0x3
	global_store_b128 v[13:14], v[4:7], off
	global_store_b128 v[13:14], v[9:12], off offset:16
	global_store_b128 v[13:14], v[17:20], off offset:32
	;; [unrolled: 1-line block ×3, first 2 shown]
                                        ; implicit-def: $vgpr0_vgpr1
                                        ; implicit-def: $vgpr2_vgpr3
                                        ; implicit-def: $vgpr4_vgpr5
                                        ; implicit-def: $vgpr6_vgpr7
                                        ; implicit-def: $vgpr9_vgpr10
                                        ; implicit-def: $vgpr11_vgpr12
                                        ; implicit-def: $vgpr13_vgpr14
                                        ; implicit-def: $vgpr19_vgpr20
                                        ; implicit-def: $vgpr17_vgpr18
.LBB117_23:
	s_and_not1_saveexec_b32 s0, s0
	s_cbranch_execz .LBB117_25
; %bb.24:
	v_lshlrev_b32_e32 v25, 2, v8
	v_mul_f64 v[43:44], v[23:24], -v[2:3]
	v_mul_f64 v[23:24], v[0:1], v[23:24]
	v_mul_f64 v[45:46], v[21:22], -v[2:3]
	v_mul_f64 v[21:22], v[0:1], v[21:22]
	v_ashrrev_i32_e32 v26, 31, v25
	v_mul_f64 v[47:48], v[19:20], -v[2:3]
	v_mul_f64 v[19:20], v[0:1], v[19:20]
	v_mul_f64 v[49:50], v[17:18], -v[2:3]
	v_mul_f64 v[17:18], v[0:1], v[17:18]
	v_lshlrev_b64 v[25:26], 4, v[25:26]
	s_waitcnt lgkmcnt(0)
	s_delay_alu instid0(VALU_DEP_1) | instskip(NEXT) | instid1(VALU_DEP_2)
	v_add_co_u32 v41, vcc_lo, s2, v25
	v_add_co_ci_u32_e32 v42, vcc_lo, s3, v26, vcc_lo
	s_clause 0x3
	global_load_b128 v[25:28], v[41:42], off
	global_load_b128 v[29:32], v[41:42], off offset:16
	global_load_b128 v[33:36], v[41:42], off offset:32
	;; [unrolled: 1-line block ×3, first 2 shown]
	v_fma_f64 v[43:44], v[0:1], v[9:10], v[43:44]
	v_fma_f64 v[8:9], v[2:3], v[9:10], v[23:24]
	;; [unrolled: 1-line block ×8, first 2 shown]
	s_waitcnt vmcnt(3)
	v_fma_f64 v[14:15], v[4:5], v[25:26], v[43:44]
	v_fma_f64 v[8:9], v[6:7], v[25:26], v[8:9]
	s_waitcnt vmcnt(2)
	v_fma_f64 v[16:17], v[4:5], v[29:30], v[23:24]
	v_fma_f64 v[10:11], v[6:7], v[29:30], v[10:11]
	;; [unrolled: 3-line block ×4, first 2 shown]
	v_fma_f64 v[0:1], -v[6:7], v[27:28], v[14:15]
	v_fma_f64 v[2:3], v[4:5], v[27:28], v[8:9]
	v_fma_f64 v[8:9], -v[6:7], v[31:32], v[16:17]
	v_fma_f64 v[10:11], v[4:5], v[31:32], v[10:11]
	;; [unrolled: 2-line block ×4, first 2 shown]
	s_clause 0x3
	global_store_b128 v[41:42], v[0:3], off
	global_store_b128 v[41:42], v[8:11], off offset:16
	global_store_b128 v[41:42], v[12:15], off offset:32
	;; [unrolled: 1-line block ×3, first 2 shown]
.LBB117_25:
	s_nop 0
	s_sendmsg sendmsg(MSG_DEALLOC_VGPRS)
	s_endpgm
	.section	.rodata,"a",@progbits
	.p2align	6, 0x0
	.amdhsa_kernel _ZN9rocsparseL19gebsrmvn_4xn_kernelILj128ELj2ELj8E21rocsparse_complex_numIdEEEvi20rocsparse_direction_NS_24const_host_device_scalarIT2_EEPKiS8_PKS5_SA_S6_PS5_21rocsparse_index_base_b
		.amdhsa_group_segment_fixed_size 2048
		.amdhsa_private_segment_fixed_size 0
		.amdhsa_kernarg_size 88
		.amdhsa_user_sgpr_count 15
		.amdhsa_user_sgpr_dispatch_ptr 1
		.amdhsa_user_sgpr_queue_ptr 0
		.amdhsa_user_sgpr_kernarg_segment_ptr 1
		.amdhsa_user_sgpr_dispatch_id 0
		.amdhsa_user_sgpr_private_segment_size 0
		.amdhsa_wavefront_size32 1
		.amdhsa_uses_dynamic_stack 0
		.amdhsa_enable_private_segment 0
		.amdhsa_system_sgpr_workgroup_id_x 1
		.amdhsa_system_sgpr_workgroup_id_y 0
		.amdhsa_system_sgpr_workgroup_id_z 0
		.amdhsa_system_sgpr_workgroup_info 0
		.amdhsa_system_vgpr_workitem_id 2
		.amdhsa_next_free_vgpr 74
		.amdhsa_next_free_sgpr 18
		.amdhsa_reserve_vcc 1
		.amdhsa_float_round_mode_32 0
		.amdhsa_float_round_mode_16_64 0
		.amdhsa_float_denorm_mode_32 3
		.amdhsa_float_denorm_mode_16_64 3
		.amdhsa_dx10_clamp 1
		.amdhsa_ieee_mode 1
		.amdhsa_fp16_overflow 0
		.amdhsa_workgroup_processor_mode 1
		.amdhsa_memory_ordered 1
		.amdhsa_forward_progress 0
		.amdhsa_shared_vgpr_count 0
		.amdhsa_exception_fp_ieee_invalid_op 0
		.amdhsa_exception_fp_denorm_src 0
		.amdhsa_exception_fp_ieee_div_zero 0
		.amdhsa_exception_fp_ieee_overflow 0
		.amdhsa_exception_fp_ieee_underflow 0
		.amdhsa_exception_fp_ieee_inexact 0
		.amdhsa_exception_int_div_zero 0
	.end_amdhsa_kernel
	.section	.text._ZN9rocsparseL19gebsrmvn_4xn_kernelILj128ELj2ELj8E21rocsparse_complex_numIdEEEvi20rocsparse_direction_NS_24const_host_device_scalarIT2_EEPKiS8_PKS5_SA_S6_PS5_21rocsparse_index_base_b,"axG",@progbits,_ZN9rocsparseL19gebsrmvn_4xn_kernelILj128ELj2ELj8E21rocsparse_complex_numIdEEEvi20rocsparse_direction_NS_24const_host_device_scalarIT2_EEPKiS8_PKS5_SA_S6_PS5_21rocsparse_index_base_b,comdat
.Lfunc_end117:
	.size	_ZN9rocsparseL19gebsrmvn_4xn_kernelILj128ELj2ELj8E21rocsparse_complex_numIdEEEvi20rocsparse_direction_NS_24const_host_device_scalarIT2_EEPKiS8_PKS5_SA_S6_PS5_21rocsparse_index_base_b, .Lfunc_end117-_ZN9rocsparseL19gebsrmvn_4xn_kernelILj128ELj2ELj8E21rocsparse_complex_numIdEEEvi20rocsparse_direction_NS_24const_host_device_scalarIT2_EEPKiS8_PKS5_SA_S6_PS5_21rocsparse_index_base_b
                                        ; -- End function
	.section	.AMDGPU.csdata,"",@progbits
; Kernel info:
; codeLenInByte = 3192
; NumSgprs: 20
; NumVgprs: 74
; ScratchSize: 0
; MemoryBound: 0
; FloatMode: 240
; IeeeMode: 1
; LDSByteSize: 2048 bytes/workgroup (compile time only)
; SGPRBlocks: 2
; VGPRBlocks: 9
; NumSGPRsForWavesPerEU: 20
; NumVGPRsForWavesPerEU: 74
; Occupancy: 16
; WaveLimiterHint : 1
; COMPUTE_PGM_RSRC2:SCRATCH_EN: 0
; COMPUTE_PGM_RSRC2:USER_SGPR: 15
; COMPUTE_PGM_RSRC2:TRAP_HANDLER: 0
; COMPUTE_PGM_RSRC2:TGID_X_EN: 1
; COMPUTE_PGM_RSRC2:TGID_Y_EN: 0
; COMPUTE_PGM_RSRC2:TGID_Z_EN: 0
; COMPUTE_PGM_RSRC2:TIDIG_COMP_CNT: 2
	.section	.text._ZN9rocsparseL19gebsrmvn_4xn_kernelILj128ELj2ELj16E21rocsparse_complex_numIdEEEvi20rocsparse_direction_NS_24const_host_device_scalarIT2_EEPKiS8_PKS5_SA_S6_PS5_21rocsparse_index_base_b,"axG",@progbits,_ZN9rocsparseL19gebsrmvn_4xn_kernelILj128ELj2ELj16E21rocsparse_complex_numIdEEEvi20rocsparse_direction_NS_24const_host_device_scalarIT2_EEPKiS8_PKS5_SA_S6_PS5_21rocsparse_index_base_b,comdat
	.globl	_ZN9rocsparseL19gebsrmvn_4xn_kernelILj128ELj2ELj16E21rocsparse_complex_numIdEEEvi20rocsparse_direction_NS_24const_host_device_scalarIT2_EEPKiS8_PKS5_SA_S6_PS5_21rocsparse_index_base_b ; -- Begin function _ZN9rocsparseL19gebsrmvn_4xn_kernelILj128ELj2ELj16E21rocsparse_complex_numIdEEEvi20rocsparse_direction_NS_24const_host_device_scalarIT2_EEPKiS8_PKS5_SA_S6_PS5_21rocsparse_index_base_b
	.p2align	8
	.type	_ZN9rocsparseL19gebsrmvn_4xn_kernelILj128ELj2ELj16E21rocsparse_complex_numIdEEEvi20rocsparse_direction_NS_24const_host_device_scalarIT2_EEPKiS8_PKS5_SA_S6_PS5_21rocsparse_index_base_b,@function
_ZN9rocsparseL19gebsrmvn_4xn_kernelILj128ELj2ELj16E21rocsparse_complex_numIdEEEvi20rocsparse_direction_NS_24const_host_device_scalarIT2_EEPKiS8_PKS5_SA_S6_PS5_21rocsparse_index_base_b: ; @_ZN9rocsparseL19gebsrmvn_4xn_kernelILj128ELj2ELj16E21rocsparse_complex_numIdEEEvi20rocsparse_direction_NS_24const_host_device_scalarIT2_EEPKiS8_PKS5_SA_S6_PS5_21rocsparse_index_base_b
; %bb.0:
	s_load_b64 s[12:13], s[2:3], 0x50
	s_load_b64 s[16:17], s[0:1], 0x4
	s_load_b128 s[8:11], s[2:3], 0x8
	v_bfe_u32 v1, v0, 10, 10
	s_mov_b64 s[0:1], src_shared_base
	s_load_b128 s[4:7], s[2:3], 0x38
	v_and_b32_e32 v10, 0x3ff, v0
	v_bfe_u32 v0, v0, 20, 10
	s_waitcnt lgkmcnt(0)
	s_bitcmp1_b32 s13, 0
	v_mul_u32_u24_e32 v1, s17, v1
	s_cselect_b32 s0, -1, 0
	s_delay_alu instid0(SALU_CYCLE_1)
	s_and_b32 vcc_lo, s0, exec_lo
	s_cselect_b32 s13, s1, s9
	s_lshr_b32 s14, s16, 16
	v_dual_mov_b32 v2, s4 :: v_dual_mov_b32 v3, s5
	s_mul_i32 s14, s14, s17
	v_mov_b32_e32 v6, s13
	v_mad_u32_u24 v1, s14, v10, v1
	s_delay_alu instid0(VALU_DEP_1) | instskip(SKIP_1) | instid1(VALU_DEP_2)
	v_add_lshl_u32 v4, v1, v0, 3
	v_dual_mov_b32 v0, s8 :: v_dual_mov_b32 v1, s9
	v_add_nc_u32_e32 v5, 0x400, v4
	ds_store_2addr_stride64_b64 v4, v[2:3], v[0:1] offset1:2
	v_dual_mov_b32 v2, s10 :: v_dual_mov_b32 v3, s11
	v_cndmask_b32_e64 v5, s8, v5, s0
	s_xor_b32 s10, s0, -1
	flat_load_b64 v[0:1], v[5:6]
	s_cbranch_vccnz .LBB118_2
; %bb.1:
	v_dual_mov_b32 v2, s8 :: v_dual_mov_b32 v3, s9
	flat_load_b64 v[2:3], v[2:3] offset:8
.LBB118_2:
	s_and_b32 s8, s0, exec_lo
	s_cselect_b32 s1, s1, s5
	v_cndmask_b32_e64 v4, s4, v4, s0
	v_dual_mov_b32 v5, s1 :: v_dual_mov_b32 v6, s6
	v_mov_b32_e32 v7, s7
	s_and_not1_b32 vcc_lo, exec_lo, s10
	flat_load_b64 v[4:5], v[4:5]
	s_cbranch_vccnz .LBB118_4
; %bb.3:
	v_dual_mov_b32 v7, s5 :: v_dual_mov_b32 v6, s4
	flat_load_b64 v[6:7], v[6:7] offset:8
.LBB118_4:
	s_waitcnt vmcnt(1) lgkmcnt(1)
	v_cmp_eq_f64_e32 vcc_lo, 0, v[0:1]
	v_cmp_eq_f64_e64 s0, 0, v[2:3]
	s_delay_alu instid0(VALU_DEP_1)
	s_and_b32 s4, vcc_lo, s0
	s_mov_b32 s0, -1
	s_and_saveexec_b32 s1, s4
	s_cbranch_execz .LBB118_6
; %bb.5:
	s_waitcnt vmcnt(0) lgkmcnt(0)
	v_cmp_neq_f64_e32 vcc_lo, 1.0, v[4:5]
	v_cmp_neq_f64_e64 s0, 0, v[6:7]
	s_delay_alu instid0(VALU_DEP_1) | instskip(NEXT) | instid1(SALU_CYCLE_1)
	s_or_b32 s0, vcc_lo, s0
	s_or_not1_b32 s0, s0, exec_lo
.LBB118_6:
	s_or_b32 exec_lo, exec_lo, s1
	s_and_saveexec_b32 s1, s0
	s_cbranch_execz .LBB118_25
; %bb.7:
	s_load_b64 s[0:1], s[2:3], 0x0
	v_lshrrev_b32_e32 v8, 4, v10
	s_delay_alu instid0(VALU_DEP_1) | instskip(SKIP_1) | instid1(VALU_DEP_1)
	v_lshl_or_b32 v8, s15, 3, v8
	s_waitcnt lgkmcnt(0)
	v_cmp_gt_i32_e32 vcc_lo, s0, v8
	s_and_b32 exec_lo, exec_lo, vcc_lo
	s_cbranch_execz .LBB118_25
; %bb.8:
	s_load_b256 s[4:11], s[2:3], 0x18
	v_ashrrev_i32_e32 v9, 31, v8
	v_and_b32_e32 v41, 15, v10
	s_cmp_lg_u32 s1, 0
	s_delay_alu instid0(VALU_DEP_2) | instskip(SKIP_1) | instid1(VALU_DEP_1)
	v_lshlrev_b64 v[11:12], 2, v[8:9]
	s_waitcnt lgkmcnt(0)
	v_add_co_u32 v11, vcc_lo, s4, v11
	s_delay_alu instid0(VALU_DEP_2) | instskip(SKIP_4) | instid1(VALU_DEP_2)
	v_add_co_ci_u32_e32 v12, vcc_lo, s5, v12, vcc_lo
	global_load_b64 v[11:12], v[11:12], off
	s_waitcnt vmcnt(0)
	v_subrev_nc_u32_e32 v9, s12, v11
	v_subrev_nc_u32_e32 v30, s12, v12
	v_add_nc_u32_e32 v25, v9, v41
	s_delay_alu instid0(VALU_DEP_1)
	v_cmp_lt_i32_e64 s0, v25, v30
	s_cbranch_scc0 .LBB118_14
; %bb.9:
	v_mov_b32_e32 v13, 0
	v_mov_b32_e32 v14, 0
	s_delay_alu instid0(VALU_DEP_2) | instskip(NEXT) | instid1(VALU_DEP_2)
	v_mov_b32_e32 v9, v13
	v_dual_mov_b32 v11, v13 :: v_dual_mov_b32 v12, v14
	v_dual_mov_b32 v20, v14 :: v_dual_mov_b32 v19, v13
	v_mov_b32_e32 v10, v14
	v_dual_mov_b32 v16, v14 :: v_dual_mov_b32 v15, v13
	v_dual_mov_b32 v18, v14 :: v_dual_mov_b32 v17, v13
	;; [unrolled: 1-line block ×4, first 2 shown]
	s_and_saveexec_b32 s1, s0
	s_cbranch_execz .LBB118_13
; %bb.10:
	v_dual_mov_b32 v13, 0 :: v_dual_lshlrev_b32 v26, 3, v25
	v_dual_mov_b32 v14, 0 :: v_dual_mov_b32 v27, 0
	v_mov_b32_e32 v28, v25
	s_delay_alu instid0(VALU_DEP_3) | instskip(NEXT) | instid1(VALU_DEP_3)
	v_mov_b32_e32 v9, v13
	v_dual_mov_b32 v11, v13 :: v_dual_mov_b32 v12, v14
	v_dual_mov_b32 v20, v14 :: v_dual_mov_b32 v19, v13
	v_mov_b32_e32 v10, v14
	v_dual_mov_b32 v16, v14 :: v_dual_mov_b32 v15, v13
	v_dual_mov_b32 v18, v14 :: v_dual_mov_b32 v17, v13
	v_dual_mov_b32 v22, v14 :: v_dual_mov_b32 v21, v13
	v_dual_mov_b32 v24, v14 :: v_dual_mov_b32 v23, v13
	s_mov_b32 s4, 0
.LBB118_11:                             ; =>This Inner Loop Header: Depth=1
	v_ashrrev_i32_e32 v29, 31, v28
	s_delay_alu instid0(VALU_DEP_1) | instskip(SKIP_1) | instid1(VALU_DEP_2)
	v_lshlrev_b64 v[31:32], 2, v[28:29]
	v_add_nc_u32_e32 v28, 16, v28
	v_add_co_u32 v31, vcc_lo, s6, v31
	s_delay_alu instid0(VALU_DEP_3) | instskip(SKIP_3) | instid1(VALU_DEP_2)
	v_add_co_ci_u32_e32 v32, vcc_lo, s7, v32, vcc_lo
	global_load_b32 v29, v[31:32], off
	v_lshlrev_b64 v[31:32], 4, v[26:27]
	v_add_nc_u32_e32 v26, 0x80, v26
	v_add_co_u32 v70, vcc_lo, s8, v31
	s_delay_alu instid0(VALU_DEP_3)
	v_add_co_ci_u32_e32 v71, vcc_lo, s9, v32, vcc_lo
	s_clause 0x3
	global_load_b128 v[31:34], v[70:71], off offset:48
	global_load_b128 v[35:38], v[70:71], off offset:32
	;; [unrolled: 1-line block ×3, first 2 shown]
	global_load_b128 v[46:49], v[70:71], off
	s_waitcnt vmcnt(4)
	v_subrev_nc_u32_e32 v29, s12, v29
	s_delay_alu instid0(VALU_DEP_1) | instskip(NEXT) | instid1(VALU_DEP_1)
	v_dual_mov_b32 v40, v27 :: v_dual_lshlrev_b32 v39, 1, v29
	v_lshlrev_b64 v[39:40], 4, v[39:40]
	s_delay_alu instid0(VALU_DEP_1) | instskip(NEXT) | instid1(VALU_DEP_2)
	v_add_co_u32 v39, vcc_lo, s10, v39
	v_add_co_ci_u32_e32 v40, vcc_lo, s11, v40, vcc_lo
	v_cmp_ge_i32_e32 vcc_lo, v28, v30
	s_clause 0x1
	global_load_b128 v[50:53], v[39:40], off
	global_load_b128 v[54:57], v[39:40], off offset:16
	s_clause 0x3
	global_load_b128 v[58:61], v[70:71], off offset:64
	global_load_b128 v[62:65], v[70:71], off offset:80
	;; [unrolled: 1-line block ×4, first 2 shown]
	s_or_b32 s4, vcc_lo, s4
	s_waitcnt vmcnt(5)
	v_fma_f64 v[19:20], v[46:47], v[50:51], v[19:20]
	v_fma_f64 v[13:14], v[48:49], v[50:51], v[13:14]
	;; [unrolled: 1-line block ×8, first 2 shown]
	v_fma_f64 v[19:20], -v[48:49], v[52:53], v[19:20]
	v_fma_f64 v[13:14], v[46:47], v[52:53], v[13:14]
	v_fma_f64 v[21:22], -v[44:45], v[52:53], v[21:22]
	v_fma_f64 v[23:24], v[42:43], v[52:53], v[23:24]
	;; [unrolled: 2-line block ×4, first 2 shown]
	s_waitcnt vmcnt(3)
	v_fma_f64 v[19:20], v[58:59], v[54:55], v[19:20]
	v_fma_f64 v[13:14], v[60:61], v[54:55], v[13:14]
	s_waitcnt vmcnt(2)
	v_fma_f64 v[21:22], v[62:63], v[54:55], v[21:22]
	v_fma_f64 v[23:24], v[64:65], v[54:55], v[23:24]
	;; [unrolled: 3-line block ×4, first 2 shown]
	v_fma_f64 v[19:20], -v[60:61], v[56:57], v[19:20]
	v_fma_f64 v[13:14], v[58:59], v[56:57], v[13:14]
	v_fma_f64 v[21:22], -v[64:65], v[56:57], v[21:22]
	v_fma_f64 v[23:24], v[62:63], v[56:57], v[23:24]
	;; [unrolled: 2-line block ×4, first 2 shown]
	s_and_not1_b32 exec_lo, exec_lo, s4
	s_cbranch_execnz .LBB118_11
; %bb.12:
	s_or_b32 exec_lo, exec_lo, s4
.LBB118_13:
	s_delay_alu instid0(SALU_CYCLE_1)
	s_or_b32 exec_lo, exec_lo, s1
	s_cbranch_execz .LBB118_15
	s_branch .LBB118_20
.LBB118_14:
                                        ; implicit-def: $vgpr13_vgpr14
                                        ; implicit-def: $vgpr19_vgpr20
                                        ; implicit-def: $vgpr9_vgpr10
                                        ; implicit-def: $vgpr11_vgpr12
                                        ; implicit-def: $vgpr15_vgpr16
                                        ; implicit-def: $vgpr17_vgpr18
                                        ; implicit-def: $vgpr21_vgpr22
                                        ; implicit-def: $vgpr23_vgpr24
.LBB118_15:
	v_mov_b32_e32 v13, 0
	v_mov_b32_e32 v14, 0
	s_delay_alu instid0(VALU_DEP_2) | instskip(NEXT) | instid1(VALU_DEP_2)
	v_mov_b32_e32 v9, v13
	v_dual_mov_b32 v11, v13 :: v_dual_mov_b32 v12, v14
	v_dual_mov_b32 v20, v14 :: v_dual_mov_b32 v19, v13
	v_mov_b32_e32 v10, v14
	v_dual_mov_b32 v16, v14 :: v_dual_mov_b32 v15, v13
	v_dual_mov_b32 v18, v14 :: v_dual_mov_b32 v17, v13
	;; [unrolled: 1-line block ×4, first 2 shown]
	s_and_saveexec_b32 s1, s0
	s_cbranch_execz .LBB118_19
; %bb.16:
	v_dual_mov_b32 v13, 0 :: v_dual_mov_b32 v28, 0
	v_dual_mov_b32 v14, 0 :: v_dual_lshlrev_b32 v27, 3, v25
	s_delay_alu instid0(VALU_DEP_2) | instskip(SKIP_2) | instid1(VALU_DEP_3)
	v_mov_b32_e32 v9, v13
	v_mov_b32_e32 v11, v13
	s_mov_b32 s0, 0
	v_mov_b32_e32 v12, v14
	v_dual_mov_b32 v20, v14 :: v_dual_mov_b32 v19, v13
	v_mov_b32_e32 v10, v14
	v_dual_mov_b32 v16, v14 :: v_dual_mov_b32 v15, v13
	v_dual_mov_b32 v18, v14 :: v_dual_mov_b32 v17, v13
	;; [unrolled: 1-line block ×4, first 2 shown]
.LBB118_17:                             ; =>This Inner Loop Header: Depth=1
	v_ashrrev_i32_e32 v26, 31, v25
	s_delay_alu instid0(VALU_DEP_1) | instskip(SKIP_1) | instid1(VALU_DEP_2)
	v_lshlrev_b64 v[31:32], 2, v[25:26]
	v_add_nc_u32_e32 v25, 16, v25
	v_add_co_u32 v31, vcc_lo, s6, v31
	s_delay_alu instid0(VALU_DEP_3) | instskip(SKIP_3) | instid1(VALU_DEP_2)
	v_add_co_ci_u32_e32 v32, vcc_lo, s7, v32, vcc_lo
	global_load_b32 v26, v[31:32], off
	v_lshlrev_b64 v[31:32], 4, v[27:28]
	v_add_nc_u32_e32 v27, 0x80, v27
	v_add_co_u32 v62, vcc_lo, s8, v31
	s_delay_alu instid0(VALU_DEP_3)
	v_add_co_ci_u32_e32 v63, vcc_lo, s9, v32, vcc_lo
	s_clause 0x7
	global_load_b128 v[31:34], v[62:63], off offset:48
	global_load_b128 v[35:38], v[62:63], off offset:32
	;; [unrolled: 1-line block ×3, first 2 shown]
	global_load_b128 v[46:49], v[62:63], off
	global_load_b128 v[50:53], v[62:63], off offset:112
	global_load_b128 v[54:57], v[62:63], off offset:96
	;; [unrolled: 1-line block ×4, first 2 shown]
	s_waitcnt vmcnt(8)
	v_subrev_nc_u32_e32 v26, s12, v26
	s_delay_alu instid0(VALU_DEP_1) | instskip(NEXT) | instid1(VALU_DEP_1)
	v_dual_mov_b32 v40, v28 :: v_dual_lshlrev_b32 v39, 1, v26
	v_lshlrev_b64 v[39:40], 4, v[39:40]
	s_delay_alu instid0(VALU_DEP_1) | instskip(NEXT) | instid1(VALU_DEP_2)
	v_add_co_u32 v39, vcc_lo, s10, v39
	v_add_co_ci_u32_e32 v40, vcc_lo, s11, v40, vcc_lo
	v_cmp_ge_i32_e32 vcc_lo, v25, v30
	s_clause 0x1
	global_load_b128 v[66:69], v[39:40], off
	global_load_b128 v[70:73], v[39:40], off offset:16
	s_or_b32 s0, vcc_lo, s0
	s_waitcnt vmcnt(1)
	v_fma_f64 v[19:20], v[46:47], v[66:67], v[19:20]
	v_fma_f64 v[13:14], v[48:49], v[66:67], v[13:14]
	;; [unrolled: 1-line block ×8, first 2 shown]
	v_fma_f64 v[19:20], -v[48:49], v[68:69], v[19:20]
	v_fma_f64 v[13:14], v[46:47], v[68:69], v[13:14]
	v_fma_f64 v[21:22], -v[37:38], v[68:69], v[21:22]
	v_fma_f64 v[23:24], v[35:36], v[68:69], v[23:24]
	;; [unrolled: 2-line block ×4, first 2 shown]
	s_waitcnt vmcnt(0)
	v_fma_f64 v[19:20], v[42:43], v[70:71], v[19:20]
	v_fma_f64 v[13:14], v[44:45], v[70:71], v[13:14]
	;; [unrolled: 1-line block ×8, first 2 shown]
	v_fma_f64 v[19:20], -v[44:45], v[72:73], v[19:20]
	v_fma_f64 v[13:14], v[42:43], v[72:73], v[13:14]
	v_fma_f64 v[21:22], -v[33:34], v[72:73], v[21:22]
	v_fma_f64 v[23:24], v[31:32], v[72:73], v[23:24]
	v_fma_f64 v[15:16], -v[60:61], v[72:73], v[15:16]
	v_fma_f64 v[17:18], v[58:59], v[72:73], v[17:18]
	v_fma_f64 v[9:10], -v[52:53], v[72:73], v[9:10]
	v_fma_f64 v[11:12], v[50:51], v[72:73], v[11:12]
	s_and_not1_b32 exec_lo, exec_lo, s0
	s_cbranch_execnz .LBB118_17
; %bb.18:
	s_or_b32 exec_lo, exec_lo, s0
.LBB118_19:
	s_delay_alu instid0(SALU_CYCLE_1)
	s_or_b32 exec_lo, exec_lo, s1
.LBB118_20:
	v_mbcnt_lo_u32_b32 v44, -1, 0
	s_delay_alu instid0(VALU_DEP_1) | instskip(NEXT) | instid1(VALU_DEP_1)
	v_xor_b32_e32 v25, 8, v44
	v_cmp_gt_i32_e32 vcc_lo, 32, v25
	v_cndmask_b32_e32 v25, v44, v25, vcc_lo
	s_delay_alu instid0(VALU_DEP_1)
	v_lshlrev_b32_e32 v40, 2, v25
	ds_bpermute_b32 v25, v40, v19
	ds_bpermute_b32 v26, v40, v20
	;; [unrolled: 1-line block ×16, first 2 shown]
	s_waitcnt lgkmcnt(14)
	v_add_f64 v[19:20], v[19:20], v[25:26]
	v_xor_b32_e32 v25, 4, v44
	s_waitcnt lgkmcnt(12)
	v_add_f64 v[13:14], v[13:14], v[27:28]
	s_waitcnt lgkmcnt(10)
	v_add_f64 v[21:22], v[21:22], v[29:30]
	;; [unrolled: 2-line block ×3, first 2 shown]
	v_cmp_gt_i32_e32 vcc_lo, 32, v25
	s_waitcnt lgkmcnt(6)
	v_add_f64 v[15:16], v[15:16], v[33:34]
	s_waitcnt lgkmcnt(4)
	v_add_f64 v[17:18], v[17:18], v[35:36]
	;; [unrolled: 2-line block ×3, first 2 shown]
	v_cndmask_b32_e32 v25, v44, v25, vcc_lo
	s_waitcnt lgkmcnt(0)
	v_add_f64 v[11:12], v[11:12], v[39:40]
	s_delay_alu instid0(VALU_DEP_2)
	v_lshlrev_b32_e32 v40, 2, v25
	ds_bpermute_b32 v25, v40, v19
	ds_bpermute_b32 v26, v40, v20
	;; [unrolled: 1-line block ×16, first 2 shown]
	s_waitcnt lgkmcnt(14)
	v_add_f64 v[19:20], v[19:20], v[25:26]
	s_waitcnt lgkmcnt(12)
	v_add_f64 v[13:14], v[13:14], v[27:28]
	;; [unrolled: 2-line block ×7, first 2 shown]
	v_xor_b32_e32 v9, 2, v44
	s_waitcnt lgkmcnt(0)
	v_add_f64 v[29:30], v[11:12], v[39:40]
	s_delay_alu instid0(VALU_DEP_2) | instskip(SKIP_1) | instid1(VALU_DEP_1)
	v_cmp_gt_i32_e32 vcc_lo, 32, v9
	v_cndmask_b32_e32 v9, v44, v9, vcc_lo
	v_lshlrev_b32_e32 v23, 2, v9
	ds_bpermute_b32 v9, v23, v19
	ds_bpermute_b32 v10, v23, v20
	;; [unrolled: 1-line block ×16, first 2 shown]
	s_waitcnt lgkmcnt(14)
	v_add_f64 v[9:10], v[19:20], v[9:10]
	s_waitcnt lgkmcnt(12)
	v_add_f64 v[23:24], v[13:14], v[11:12]
	s_waitcnt lgkmcnt(10)
	v_add_f64 v[11:12], v[21:22], v[31:32]
	s_waitcnt lgkmcnt(8)
	v_add_f64 v[21:22], v[25:26], v[33:34]
	v_xor_b32_e32 v25, 1, v44
	s_waitcnt lgkmcnt(6)
	v_add_f64 v[13:14], v[15:16], v[35:36]
	s_waitcnt lgkmcnt(4)
	v_add_f64 v[19:20], v[17:18], v[37:38]
	;; [unrolled: 2-line block ×3, first 2 shown]
	v_cmp_gt_i32_e32 vcc_lo, 32, v25
	s_waitcnt lgkmcnt(0)
	v_add_f64 v[17:18], v[29:30], v[42:43]
	v_cndmask_b32_e32 v25, v44, v25, vcc_lo
	v_cmp_eq_u32_e32 vcc_lo, 15, v41
	s_delay_alu instid0(VALU_DEP_2)
	v_lshlrev_b32_e32 v28, 2, v25
	ds_bpermute_b32 v39, v28, v9
	ds_bpermute_b32 v40, v28, v10
	;; [unrolled: 1-line block ×16, first 2 shown]
	s_and_b32 exec_lo, exec_lo, vcc_lo
	s_cbranch_execz .LBB118_25
; %bb.21:
	v_cmp_eq_f64_e32 vcc_lo, 0, v[4:5]
	v_cmp_eq_f64_e64 s0, 0, v[6:7]
	s_waitcnt lgkmcnt(14)
	v_add_f64 v[9:10], v[9:10], v[39:40]
	s_waitcnt lgkmcnt(12)
	v_add_f64 v[23:24], v[23:24], v[37:38]
	s_waitcnt lgkmcnt(10)
	v_add_f64 v[11:12], v[11:12], v[35:36]
	s_waitcnt lgkmcnt(8)
	v_add_f64 v[21:22], v[21:22], v[33:34]
	s_waitcnt lgkmcnt(6)
	v_add_f64 v[13:14], v[13:14], v[31:32]
	s_waitcnt lgkmcnt(4)
	v_add_f64 v[19:20], v[19:20], v[29:30]
	s_waitcnt lgkmcnt(2)
	v_add_f64 v[15:16], v[15:16], v[25:26]
	s_waitcnt lgkmcnt(0)
	v_add_f64 v[17:18], v[17:18], v[27:28]
	s_load_b64 s[2:3], s[2:3], 0x48
	s_and_b32 s0, vcc_lo, s0
	s_delay_alu instid0(SALU_CYCLE_1) | instskip(NEXT) | instid1(SALU_CYCLE_1)
	s_and_saveexec_b32 s1, s0
	s_xor_b32 s0, exec_lo, s1
	s_cbranch_execz .LBB118_23
; %bb.22:
	v_mul_f64 v[4:5], v[23:24], -v[2:3]
	v_mul_f64 v[6:7], v[0:1], v[23:24]
	v_mul_f64 v[23:24], v[21:22], -v[2:3]
	v_mul_f64 v[21:22], v[0:1], v[21:22]
	;; [unrolled: 2-line block ×4, first 2 shown]
	v_fma_f64 v[4:5], v[0:1], v[9:10], v[4:5]
	v_fma_f64 v[6:7], v[2:3], v[9:10], v[6:7]
	;; [unrolled: 1-line block ×8, first 2 shown]
	v_lshlrev_b32_e32 v13, 2, v8
                                        ; implicit-def: $vgpr8
                                        ; implicit-def: $vgpr23_vgpr24
                                        ; implicit-def: $vgpr21_vgpr22
                                        ; implicit-def: $vgpr15_vgpr16
	s_delay_alu instid0(VALU_DEP_1) | instskip(NEXT) | instid1(VALU_DEP_1)
	v_ashrrev_i32_e32 v14, 31, v13
	v_lshlrev_b64 v[13:14], 4, v[13:14]
	s_waitcnt lgkmcnt(0)
	s_delay_alu instid0(VALU_DEP_1) | instskip(NEXT) | instid1(VALU_DEP_2)
	v_add_co_u32 v13, vcc_lo, s2, v13
	v_add_co_ci_u32_e32 v14, vcc_lo, s3, v14, vcc_lo
	s_clause 0x3
	global_store_b128 v[13:14], v[4:7], off
	global_store_b128 v[13:14], v[9:12], off offset:16
	global_store_b128 v[13:14], v[17:20], off offset:32
	;; [unrolled: 1-line block ×3, first 2 shown]
                                        ; implicit-def: $vgpr0_vgpr1
                                        ; implicit-def: $vgpr2_vgpr3
                                        ; implicit-def: $vgpr4_vgpr5
                                        ; implicit-def: $vgpr6_vgpr7
                                        ; implicit-def: $vgpr9_vgpr10
                                        ; implicit-def: $vgpr11_vgpr12
                                        ; implicit-def: $vgpr13_vgpr14
                                        ; implicit-def: $vgpr19_vgpr20
                                        ; implicit-def: $vgpr17_vgpr18
.LBB118_23:
	s_and_not1_saveexec_b32 s0, s0
	s_cbranch_execz .LBB118_25
; %bb.24:
	v_lshlrev_b32_e32 v25, 2, v8
	v_mul_f64 v[43:44], v[23:24], -v[2:3]
	v_mul_f64 v[23:24], v[0:1], v[23:24]
	v_mul_f64 v[45:46], v[21:22], -v[2:3]
	v_mul_f64 v[21:22], v[0:1], v[21:22]
	v_ashrrev_i32_e32 v26, 31, v25
	v_mul_f64 v[47:48], v[19:20], -v[2:3]
	v_mul_f64 v[19:20], v[0:1], v[19:20]
	v_mul_f64 v[49:50], v[17:18], -v[2:3]
	v_mul_f64 v[17:18], v[0:1], v[17:18]
	v_lshlrev_b64 v[25:26], 4, v[25:26]
	s_waitcnt lgkmcnt(0)
	s_delay_alu instid0(VALU_DEP_1) | instskip(NEXT) | instid1(VALU_DEP_2)
	v_add_co_u32 v41, vcc_lo, s2, v25
	v_add_co_ci_u32_e32 v42, vcc_lo, s3, v26, vcc_lo
	s_clause 0x3
	global_load_b128 v[25:28], v[41:42], off
	global_load_b128 v[29:32], v[41:42], off offset:16
	global_load_b128 v[33:36], v[41:42], off offset:32
	;; [unrolled: 1-line block ×3, first 2 shown]
	v_fma_f64 v[43:44], v[0:1], v[9:10], v[43:44]
	v_fma_f64 v[8:9], v[2:3], v[9:10], v[23:24]
	;; [unrolled: 1-line block ×8, first 2 shown]
	s_waitcnt vmcnt(3)
	v_fma_f64 v[14:15], v[4:5], v[25:26], v[43:44]
	v_fma_f64 v[8:9], v[6:7], v[25:26], v[8:9]
	s_waitcnt vmcnt(2)
	v_fma_f64 v[16:17], v[4:5], v[29:30], v[23:24]
	v_fma_f64 v[10:11], v[6:7], v[29:30], v[10:11]
	;; [unrolled: 3-line block ×4, first 2 shown]
	v_fma_f64 v[0:1], -v[6:7], v[27:28], v[14:15]
	v_fma_f64 v[2:3], v[4:5], v[27:28], v[8:9]
	v_fma_f64 v[8:9], -v[6:7], v[31:32], v[16:17]
	v_fma_f64 v[10:11], v[4:5], v[31:32], v[10:11]
	;; [unrolled: 2-line block ×4, first 2 shown]
	s_clause 0x3
	global_store_b128 v[41:42], v[0:3], off
	global_store_b128 v[41:42], v[8:11], off offset:16
	global_store_b128 v[41:42], v[12:15], off offset:32
	;; [unrolled: 1-line block ×3, first 2 shown]
.LBB118_25:
	s_nop 0
	s_sendmsg sendmsg(MSG_DEALLOC_VGPRS)
	s_endpgm
	.section	.rodata,"a",@progbits
	.p2align	6, 0x0
	.amdhsa_kernel _ZN9rocsparseL19gebsrmvn_4xn_kernelILj128ELj2ELj16E21rocsparse_complex_numIdEEEvi20rocsparse_direction_NS_24const_host_device_scalarIT2_EEPKiS8_PKS5_SA_S6_PS5_21rocsparse_index_base_b
		.amdhsa_group_segment_fixed_size 2048
		.amdhsa_private_segment_fixed_size 0
		.amdhsa_kernarg_size 88
		.amdhsa_user_sgpr_count 15
		.amdhsa_user_sgpr_dispatch_ptr 1
		.amdhsa_user_sgpr_queue_ptr 0
		.amdhsa_user_sgpr_kernarg_segment_ptr 1
		.amdhsa_user_sgpr_dispatch_id 0
		.amdhsa_user_sgpr_private_segment_size 0
		.amdhsa_wavefront_size32 1
		.amdhsa_uses_dynamic_stack 0
		.amdhsa_enable_private_segment 0
		.amdhsa_system_sgpr_workgroup_id_x 1
		.amdhsa_system_sgpr_workgroup_id_y 0
		.amdhsa_system_sgpr_workgroup_id_z 0
		.amdhsa_system_sgpr_workgroup_info 0
		.amdhsa_system_vgpr_workitem_id 2
		.amdhsa_next_free_vgpr 74
		.amdhsa_next_free_sgpr 18
		.amdhsa_reserve_vcc 1
		.amdhsa_float_round_mode_32 0
		.amdhsa_float_round_mode_16_64 0
		.amdhsa_float_denorm_mode_32 3
		.amdhsa_float_denorm_mode_16_64 3
		.amdhsa_dx10_clamp 1
		.amdhsa_ieee_mode 1
		.amdhsa_fp16_overflow 0
		.amdhsa_workgroup_processor_mode 1
		.amdhsa_memory_ordered 1
		.amdhsa_forward_progress 0
		.amdhsa_shared_vgpr_count 0
		.amdhsa_exception_fp_ieee_invalid_op 0
		.amdhsa_exception_fp_denorm_src 0
		.amdhsa_exception_fp_ieee_div_zero 0
		.amdhsa_exception_fp_ieee_overflow 0
		.amdhsa_exception_fp_ieee_underflow 0
		.amdhsa_exception_fp_ieee_inexact 0
		.amdhsa_exception_int_div_zero 0
	.end_amdhsa_kernel
	.section	.text._ZN9rocsparseL19gebsrmvn_4xn_kernelILj128ELj2ELj16E21rocsparse_complex_numIdEEEvi20rocsparse_direction_NS_24const_host_device_scalarIT2_EEPKiS8_PKS5_SA_S6_PS5_21rocsparse_index_base_b,"axG",@progbits,_ZN9rocsparseL19gebsrmvn_4xn_kernelILj128ELj2ELj16E21rocsparse_complex_numIdEEEvi20rocsparse_direction_NS_24const_host_device_scalarIT2_EEPKiS8_PKS5_SA_S6_PS5_21rocsparse_index_base_b,comdat
.Lfunc_end118:
	.size	_ZN9rocsparseL19gebsrmvn_4xn_kernelILj128ELj2ELj16E21rocsparse_complex_numIdEEEvi20rocsparse_direction_NS_24const_host_device_scalarIT2_EEPKiS8_PKS5_SA_S6_PS5_21rocsparse_index_base_b, .Lfunc_end118-_ZN9rocsparseL19gebsrmvn_4xn_kernelILj128ELj2ELj16E21rocsparse_complex_numIdEEEvi20rocsparse_direction_NS_24const_host_device_scalarIT2_EEPKiS8_PKS5_SA_S6_PS5_21rocsparse_index_base_b
                                        ; -- End function
	.section	.AMDGPU.csdata,"",@progbits
; Kernel info:
; codeLenInByte = 3452
; NumSgprs: 20
; NumVgprs: 74
; ScratchSize: 0
; MemoryBound: 0
; FloatMode: 240
; IeeeMode: 1
; LDSByteSize: 2048 bytes/workgroup (compile time only)
; SGPRBlocks: 2
; VGPRBlocks: 9
; NumSGPRsForWavesPerEU: 20
; NumVGPRsForWavesPerEU: 74
; Occupancy: 16
; WaveLimiterHint : 1
; COMPUTE_PGM_RSRC2:SCRATCH_EN: 0
; COMPUTE_PGM_RSRC2:USER_SGPR: 15
; COMPUTE_PGM_RSRC2:TRAP_HANDLER: 0
; COMPUTE_PGM_RSRC2:TGID_X_EN: 1
; COMPUTE_PGM_RSRC2:TGID_Y_EN: 0
; COMPUTE_PGM_RSRC2:TGID_Z_EN: 0
; COMPUTE_PGM_RSRC2:TIDIG_COMP_CNT: 2
	.section	.text._ZN9rocsparseL19gebsrmvn_4xn_kernelILj128ELj2ELj32E21rocsparse_complex_numIdEEEvi20rocsparse_direction_NS_24const_host_device_scalarIT2_EEPKiS8_PKS5_SA_S6_PS5_21rocsparse_index_base_b,"axG",@progbits,_ZN9rocsparseL19gebsrmvn_4xn_kernelILj128ELj2ELj32E21rocsparse_complex_numIdEEEvi20rocsparse_direction_NS_24const_host_device_scalarIT2_EEPKiS8_PKS5_SA_S6_PS5_21rocsparse_index_base_b,comdat
	.globl	_ZN9rocsparseL19gebsrmvn_4xn_kernelILj128ELj2ELj32E21rocsparse_complex_numIdEEEvi20rocsparse_direction_NS_24const_host_device_scalarIT2_EEPKiS8_PKS5_SA_S6_PS5_21rocsparse_index_base_b ; -- Begin function _ZN9rocsparseL19gebsrmvn_4xn_kernelILj128ELj2ELj32E21rocsparse_complex_numIdEEEvi20rocsparse_direction_NS_24const_host_device_scalarIT2_EEPKiS8_PKS5_SA_S6_PS5_21rocsparse_index_base_b
	.p2align	8
	.type	_ZN9rocsparseL19gebsrmvn_4xn_kernelILj128ELj2ELj32E21rocsparse_complex_numIdEEEvi20rocsparse_direction_NS_24const_host_device_scalarIT2_EEPKiS8_PKS5_SA_S6_PS5_21rocsparse_index_base_b,@function
_ZN9rocsparseL19gebsrmvn_4xn_kernelILj128ELj2ELj32E21rocsparse_complex_numIdEEEvi20rocsparse_direction_NS_24const_host_device_scalarIT2_EEPKiS8_PKS5_SA_S6_PS5_21rocsparse_index_base_b: ; @_ZN9rocsparseL19gebsrmvn_4xn_kernelILj128ELj2ELj32E21rocsparse_complex_numIdEEEvi20rocsparse_direction_NS_24const_host_device_scalarIT2_EEPKiS8_PKS5_SA_S6_PS5_21rocsparse_index_base_b
; %bb.0:
	s_load_b64 s[12:13], s[2:3], 0x50
	s_load_b64 s[16:17], s[0:1], 0x4
	s_load_b128 s[8:11], s[2:3], 0x8
	v_bfe_u32 v1, v0, 10, 10
	s_mov_b64 s[0:1], src_shared_base
	s_load_b128 s[4:7], s[2:3], 0x38
	v_and_b32_e32 v10, 0x3ff, v0
	v_bfe_u32 v0, v0, 20, 10
	s_waitcnt lgkmcnt(0)
	s_bitcmp1_b32 s13, 0
	v_mul_u32_u24_e32 v1, s17, v1
	s_cselect_b32 s0, -1, 0
	s_delay_alu instid0(SALU_CYCLE_1)
	s_and_b32 vcc_lo, s0, exec_lo
	s_cselect_b32 s13, s1, s9
	s_lshr_b32 s14, s16, 16
	v_dual_mov_b32 v2, s4 :: v_dual_mov_b32 v3, s5
	s_mul_i32 s14, s14, s17
	v_mov_b32_e32 v6, s13
	v_mad_u32_u24 v1, s14, v10, v1
	s_delay_alu instid0(VALU_DEP_1) | instskip(SKIP_1) | instid1(VALU_DEP_2)
	v_add_lshl_u32 v4, v1, v0, 3
	v_dual_mov_b32 v0, s8 :: v_dual_mov_b32 v1, s9
	v_add_nc_u32_e32 v5, 0x400, v4
	ds_store_2addr_stride64_b64 v4, v[2:3], v[0:1] offset1:2
	v_dual_mov_b32 v2, s10 :: v_dual_mov_b32 v3, s11
	v_cndmask_b32_e64 v5, s8, v5, s0
	s_xor_b32 s10, s0, -1
	flat_load_b64 v[0:1], v[5:6]
	s_cbranch_vccnz .LBB119_2
; %bb.1:
	v_dual_mov_b32 v2, s8 :: v_dual_mov_b32 v3, s9
	flat_load_b64 v[2:3], v[2:3] offset:8
.LBB119_2:
	s_and_b32 s8, s0, exec_lo
	s_cselect_b32 s1, s1, s5
	v_cndmask_b32_e64 v4, s4, v4, s0
	v_dual_mov_b32 v5, s1 :: v_dual_mov_b32 v6, s6
	v_mov_b32_e32 v7, s7
	s_and_not1_b32 vcc_lo, exec_lo, s10
	flat_load_b64 v[4:5], v[4:5]
	s_cbranch_vccnz .LBB119_4
; %bb.3:
	v_dual_mov_b32 v7, s5 :: v_dual_mov_b32 v6, s4
	flat_load_b64 v[6:7], v[6:7] offset:8
.LBB119_4:
	s_waitcnt vmcnt(1) lgkmcnt(1)
	v_cmp_eq_f64_e32 vcc_lo, 0, v[0:1]
	v_cmp_eq_f64_e64 s0, 0, v[2:3]
	s_delay_alu instid0(VALU_DEP_1)
	s_and_b32 s4, vcc_lo, s0
	s_mov_b32 s0, -1
	s_and_saveexec_b32 s1, s4
	s_cbranch_execz .LBB119_6
; %bb.5:
	s_waitcnt vmcnt(0) lgkmcnt(0)
	v_cmp_neq_f64_e32 vcc_lo, 1.0, v[4:5]
	v_cmp_neq_f64_e64 s0, 0, v[6:7]
	s_delay_alu instid0(VALU_DEP_1) | instskip(NEXT) | instid1(SALU_CYCLE_1)
	s_or_b32 s0, vcc_lo, s0
	s_or_not1_b32 s0, s0, exec_lo
.LBB119_6:
	s_or_b32 exec_lo, exec_lo, s1
	s_and_saveexec_b32 s1, s0
	s_cbranch_execz .LBB119_25
; %bb.7:
	s_load_b64 s[0:1], s[2:3], 0x0
	v_lshrrev_b32_e32 v8, 5, v10
	s_delay_alu instid0(VALU_DEP_1) | instskip(SKIP_1) | instid1(VALU_DEP_1)
	v_lshl_or_b32 v8, s15, 2, v8
	s_waitcnt lgkmcnt(0)
	v_cmp_gt_i32_e32 vcc_lo, s0, v8
	s_and_b32 exec_lo, exec_lo, vcc_lo
	s_cbranch_execz .LBB119_25
; %bb.8:
	s_load_b256 s[4:11], s[2:3], 0x18
	v_ashrrev_i32_e32 v9, 31, v8
	v_and_b32_e32 v41, 31, v10
	s_cmp_lg_u32 s1, 0
	s_delay_alu instid0(VALU_DEP_2) | instskip(SKIP_1) | instid1(VALU_DEP_1)
	v_lshlrev_b64 v[11:12], 2, v[8:9]
	s_waitcnt lgkmcnt(0)
	v_add_co_u32 v11, vcc_lo, s4, v11
	s_delay_alu instid0(VALU_DEP_2) | instskip(SKIP_4) | instid1(VALU_DEP_2)
	v_add_co_ci_u32_e32 v12, vcc_lo, s5, v12, vcc_lo
	global_load_b64 v[11:12], v[11:12], off
	s_waitcnt vmcnt(0)
	v_subrev_nc_u32_e32 v9, s12, v11
	v_subrev_nc_u32_e32 v30, s12, v12
	v_add_nc_u32_e32 v25, v9, v41
	s_delay_alu instid0(VALU_DEP_1)
	v_cmp_lt_i32_e64 s0, v25, v30
	s_cbranch_scc0 .LBB119_14
; %bb.9:
	v_mov_b32_e32 v13, 0
	v_mov_b32_e32 v14, 0
	s_delay_alu instid0(VALU_DEP_2) | instskip(NEXT) | instid1(VALU_DEP_2)
	v_mov_b32_e32 v9, v13
	v_dual_mov_b32 v11, v13 :: v_dual_mov_b32 v12, v14
	v_dual_mov_b32 v20, v14 :: v_dual_mov_b32 v19, v13
	v_mov_b32_e32 v10, v14
	v_dual_mov_b32 v16, v14 :: v_dual_mov_b32 v15, v13
	v_dual_mov_b32 v18, v14 :: v_dual_mov_b32 v17, v13
	;; [unrolled: 1-line block ×4, first 2 shown]
	s_and_saveexec_b32 s1, s0
	s_cbranch_execz .LBB119_13
; %bb.10:
	v_dual_mov_b32 v13, 0 :: v_dual_lshlrev_b32 v26, 3, v25
	v_dual_mov_b32 v14, 0 :: v_dual_mov_b32 v27, 0
	v_mov_b32_e32 v28, v25
	s_delay_alu instid0(VALU_DEP_3) | instskip(NEXT) | instid1(VALU_DEP_3)
	v_mov_b32_e32 v9, v13
	v_dual_mov_b32 v11, v13 :: v_dual_mov_b32 v12, v14
	v_dual_mov_b32 v20, v14 :: v_dual_mov_b32 v19, v13
	v_mov_b32_e32 v10, v14
	v_dual_mov_b32 v16, v14 :: v_dual_mov_b32 v15, v13
	v_dual_mov_b32 v18, v14 :: v_dual_mov_b32 v17, v13
	;; [unrolled: 1-line block ×4, first 2 shown]
	s_mov_b32 s4, 0
.LBB119_11:                             ; =>This Inner Loop Header: Depth=1
	v_ashrrev_i32_e32 v29, 31, v28
	s_delay_alu instid0(VALU_DEP_1) | instskip(SKIP_1) | instid1(VALU_DEP_2)
	v_lshlrev_b64 v[31:32], 2, v[28:29]
	v_add_nc_u32_e32 v28, 32, v28
	v_add_co_u32 v31, vcc_lo, s6, v31
	s_delay_alu instid0(VALU_DEP_3) | instskip(SKIP_3) | instid1(VALU_DEP_2)
	v_add_co_ci_u32_e32 v32, vcc_lo, s7, v32, vcc_lo
	global_load_b32 v29, v[31:32], off
	v_lshlrev_b64 v[31:32], 4, v[26:27]
	v_add_nc_u32_e32 v26, 0x100, v26
	v_add_co_u32 v70, vcc_lo, s8, v31
	s_delay_alu instid0(VALU_DEP_3)
	v_add_co_ci_u32_e32 v71, vcc_lo, s9, v32, vcc_lo
	s_clause 0x3
	global_load_b128 v[31:34], v[70:71], off offset:48
	global_load_b128 v[35:38], v[70:71], off offset:32
	;; [unrolled: 1-line block ×3, first 2 shown]
	global_load_b128 v[46:49], v[70:71], off
	s_waitcnt vmcnt(4)
	v_subrev_nc_u32_e32 v29, s12, v29
	s_delay_alu instid0(VALU_DEP_1) | instskip(NEXT) | instid1(VALU_DEP_1)
	v_dual_mov_b32 v40, v27 :: v_dual_lshlrev_b32 v39, 1, v29
	v_lshlrev_b64 v[39:40], 4, v[39:40]
	s_delay_alu instid0(VALU_DEP_1) | instskip(NEXT) | instid1(VALU_DEP_2)
	v_add_co_u32 v39, vcc_lo, s10, v39
	v_add_co_ci_u32_e32 v40, vcc_lo, s11, v40, vcc_lo
	v_cmp_ge_i32_e32 vcc_lo, v28, v30
	s_clause 0x1
	global_load_b128 v[50:53], v[39:40], off
	global_load_b128 v[54:57], v[39:40], off offset:16
	s_clause 0x3
	global_load_b128 v[58:61], v[70:71], off offset:64
	global_load_b128 v[62:65], v[70:71], off offset:80
	;; [unrolled: 1-line block ×4, first 2 shown]
	s_or_b32 s4, vcc_lo, s4
	s_waitcnt vmcnt(5)
	v_fma_f64 v[19:20], v[46:47], v[50:51], v[19:20]
	v_fma_f64 v[13:14], v[48:49], v[50:51], v[13:14]
	;; [unrolled: 1-line block ×8, first 2 shown]
	v_fma_f64 v[19:20], -v[48:49], v[52:53], v[19:20]
	v_fma_f64 v[13:14], v[46:47], v[52:53], v[13:14]
	v_fma_f64 v[21:22], -v[44:45], v[52:53], v[21:22]
	v_fma_f64 v[23:24], v[42:43], v[52:53], v[23:24]
	;; [unrolled: 2-line block ×4, first 2 shown]
	s_waitcnt vmcnt(3)
	v_fma_f64 v[19:20], v[58:59], v[54:55], v[19:20]
	v_fma_f64 v[13:14], v[60:61], v[54:55], v[13:14]
	s_waitcnt vmcnt(2)
	v_fma_f64 v[21:22], v[62:63], v[54:55], v[21:22]
	v_fma_f64 v[23:24], v[64:65], v[54:55], v[23:24]
	;; [unrolled: 3-line block ×4, first 2 shown]
	v_fma_f64 v[19:20], -v[60:61], v[56:57], v[19:20]
	v_fma_f64 v[13:14], v[58:59], v[56:57], v[13:14]
	v_fma_f64 v[21:22], -v[64:65], v[56:57], v[21:22]
	v_fma_f64 v[23:24], v[62:63], v[56:57], v[23:24]
	;; [unrolled: 2-line block ×4, first 2 shown]
	s_and_not1_b32 exec_lo, exec_lo, s4
	s_cbranch_execnz .LBB119_11
; %bb.12:
	s_or_b32 exec_lo, exec_lo, s4
.LBB119_13:
	s_delay_alu instid0(SALU_CYCLE_1)
	s_or_b32 exec_lo, exec_lo, s1
	s_cbranch_execz .LBB119_15
	s_branch .LBB119_20
.LBB119_14:
                                        ; implicit-def: $vgpr13_vgpr14
                                        ; implicit-def: $vgpr19_vgpr20
                                        ; implicit-def: $vgpr9_vgpr10
                                        ; implicit-def: $vgpr11_vgpr12
                                        ; implicit-def: $vgpr15_vgpr16
                                        ; implicit-def: $vgpr17_vgpr18
                                        ; implicit-def: $vgpr21_vgpr22
                                        ; implicit-def: $vgpr23_vgpr24
.LBB119_15:
	v_mov_b32_e32 v13, 0
	v_mov_b32_e32 v14, 0
	s_delay_alu instid0(VALU_DEP_2) | instskip(NEXT) | instid1(VALU_DEP_2)
	v_mov_b32_e32 v9, v13
	v_dual_mov_b32 v11, v13 :: v_dual_mov_b32 v12, v14
	v_dual_mov_b32 v20, v14 :: v_dual_mov_b32 v19, v13
	v_mov_b32_e32 v10, v14
	v_dual_mov_b32 v16, v14 :: v_dual_mov_b32 v15, v13
	v_dual_mov_b32 v18, v14 :: v_dual_mov_b32 v17, v13
	;; [unrolled: 1-line block ×4, first 2 shown]
	s_and_saveexec_b32 s1, s0
	s_cbranch_execz .LBB119_19
; %bb.16:
	v_dual_mov_b32 v13, 0 :: v_dual_mov_b32 v28, 0
	v_dual_mov_b32 v14, 0 :: v_dual_lshlrev_b32 v27, 3, v25
	s_delay_alu instid0(VALU_DEP_2) | instskip(SKIP_2) | instid1(VALU_DEP_3)
	v_mov_b32_e32 v9, v13
	v_mov_b32_e32 v11, v13
	s_mov_b32 s0, 0
	v_mov_b32_e32 v12, v14
	v_dual_mov_b32 v20, v14 :: v_dual_mov_b32 v19, v13
	v_mov_b32_e32 v10, v14
	v_dual_mov_b32 v16, v14 :: v_dual_mov_b32 v15, v13
	v_dual_mov_b32 v18, v14 :: v_dual_mov_b32 v17, v13
	;; [unrolled: 1-line block ×4, first 2 shown]
.LBB119_17:                             ; =>This Inner Loop Header: Depth=1
	v_ashrrev_i32_e32 v26, 31, v25
	s_delay_alu instid0(VALU_DEP_1) | instskip(SKIP_1) | instid1(VALU_DEP_2)
	v_lshlrev_b64 v[31:32], 2, v[25:26]
	v_add_nc_u32_e32 v25, 32, v25
	v_add_co_u32 v31, vcc_lo, s6, v31
	s_delay_alu instid0(VALU_DEP_3) | instskip(SKIP_3) | instid1(VALU_DEP_2)
	v_add_co_ci_u32_e32 v32, vcc_lo, s7, v32, vcc_lo
	global_load_b32 v26, v[31:32], off
	v_lshlrev_b64 v[31:32], 4, v[27:28]
	v_add_nc_u32_e32 v27, 0x100, v27
	v_add_co_u32 v62, vcc_lo, s8, v31
	s_delay_alu instid0(VALU_DEP_3)
	v_add_co_ci_u32_e32 v63, vcc_lo, s9, v32, vcc_lo
	s_clause 0x7
	global_load_b128 v[31:34], v[62:63], off offset:48
	global_load_b128 v[35:38], v[62:63], off offset:32
	;; [unrolled: 1-line block ×3, first 2 shown]
	global_load_b128 v[46:49], v[62:63], off
	global_load_b128 v[50:53], v[62:63], off offset:112
	global_load_b128 v[54:57], v[62:63], off offset:96
	global_load_b128 v[58:61], v[62:63], off offset:80
	global_load_b128 v[62:65], v[62:63], off offset:64
	s_waitcnt vmcnt(8)
	v_subrev_nc_u32_e32 v26, s12, v26
	s_delay_alu instid0(VALU_DEP_1) | instskip(NEXT) | instid1(VALU_DEP_1)
	v_dual_mov_b32 v40, v28 :: v_dual_lshlrev_b32 v39, 1, v26
	v_lshlrev_b64 v[39:40], 4, v[39:40]
	s_delay_alu instid0(VALU_DEP_1) | instskip(NEXT) | instid1(VALU_DEP_2)
	v_add_co_u32 v39, vcc_lo, s10, v39
	v_add_co_ci_u32_e32 v40, vcc_lo, s11, v40, vcc_lo
	v_cmp_ge_i32_e32 vcc_lo, v25, v30
	s_clause 0x1
	global_load_b128 v[66:69], v[39:40], off
	global_load_b128 v[70:73], v[39:40], off offset:16
	s_or_b32 s0, vcc_lo, s0
	s_waitcnt vmcnt(1)
	v_fma_f64 v[19:20], v[46:47], v[66:67], v[19:20]
	v_fma_f64 v[13:14], v[48:49], v[66:67], v[13:14]
	;; [unrolled: 1-line block ×8, first 2 shown]
	v_fma_f64 v[19:20], -v[48:49], v[68:69], v[19:20]
	v_fma_f64 v[13:14], v[46:47], v[68:69], v[13:14]
	v_fma_f64 v[21:22], -v[37:38], v[68:69], v[21:22]
	v_fma_f64 v[23:24], v[35:36], v[68:69], v[23:24]
	;; [unrolled: 2-line block ×4, first 2 shown]
	s_waitcnt vmcnt(0)
	v_fma_f64 v[19:20], v[42:43], v[70:71], v[19:20]
	v_fma_f64 v[13:14], v[44:45], v[70:71], v[13:14]
	;; [unrolled: 1-line block ×8, first 2 shown]
	v_fma_f64 v[19:20], -v[44:45], v[72:73], v[19:20]
	v_fma_f64 v[13:14], v[42:43], v[72:73], v[13:14]
	v_fma_f64 v[21:22], -v[33:34], v[72:73], v[21:22]
	v_fma_f64 v[23:24], v[31:32], v[72:73], v[23:24]
	;; [unrolled: 2-line block ×4, first 2 shown]
	s_and_not1_b32 exec_lo, exec_lo, s0
	s_cbranch_execnz .LBB119_17
; %bb.18:
	s_or_b32 exec_lo, exec_lo, s0
.LBB119_19:
	s_delay_alu instid0(SALU_CYCLE_1)
	s_or_b32 exec_lo, exec_lo, s1
.LBB119_20:
	v_mbcnt_lo_u32_b32 v44, -1, 0
	s_delay_alu instid0(VALU_DEP_1) | instskip(NEXT) | instid1(VALU_DEP_1)
	v_xor_b32_e32 v25, 16, v44
	v_cmp_gt_i32_e32 vcc_lo, 32, v25
	v_cndmask_b32_e32 v25, v44, v25, vcc_lo
	s_delay_alu instid0(VALU_DEP_1)
	v_lshlrev_b32_e32 v40, 2, v25
	ds_bpermute_b32 v25, v40, v19
	ds_bpermute_b32 v26, v40, v20
	;; [unrolled: 1-line block ×16, first 2 shown]
	s_waitcnt lgkmcnt(14)
	v_add_f64 v[19:20], v[19:20], v[25:26]
	v_xor_b32_e32 v25, 8, v44
	s_waitcnt lgkmcnt(12)
	v_add_f64 v[13:14], v[13:14], v[27:28]
	s_waitcnt lgkmcnt(10)
	v_add_f64 v[21:22], v[21:22], v[29:30]
	;; [unrolled: 2-line block ×3, first 2 shown]
	v_cmp_gt_i32_e32 vcc_lo, 32, v25
	s_waitcnt lgkmcnt(6)
	v_add_f64 v[15:16], v[15:16], v[33:34]
	s_waitcnt lgkmcnt(4)
	v_add_f64 v[17:18], v[17:18], v[35:36]
	;; [unrolled: 2-line block ×3, first 2 shown]
	v_cndmask_b32_e32 v25, v44, v25, vcc_lo
	s_waitcnt lgkmcnt(0)
	v_add_f64 v[11:12], v[11:12], v[39:40]
	s_delay_alu instid0(VALU_DEP_2)
	v_lshlrev_b32_e32 v40, 2, v25
	ds_bpermute_b32 v25, v40, v19
	ds_bpermute_b32 v26, v40, v20
	ds_bpermute_b32 v27, v40, v13
	ds_bpermute_b32 v28, v40, v14
	ds_bpermute_b32 v29, v40, v21
	ds_bpermute_b32 v30, v40, v22
	ds_bpermute_b32 v31, v40, v23
	ds_bpermute_b32 v32, v40, v24
	ds_bpermute_b32 v33, v40, v15
	ds_bpermute_b32 v34, v40, v16
	ds_bpermute_b32 v35, v40, v17
	ds_bpermute_b32 v36, v40, v18
	ds_bpermute_b32 v37, v40, v9
	ds_bpermute_b32 v38, v40, v10
	ds_bpermute_b32 v39, v40, v11
	ds_bpermute_b32 v40, v40, v12
	s_waitcnt lgkmcnt(14)
	v_add_f64 v[19:20], v[19:20], v[25:26]
	v_xor_b32_e32 v25, 4, v44
	s_waitcnt lgkmcnt(12)
	v_add_f64 v[13:14], v[13:14], v[27:28]
	s_waitcnt lgkmcnt(10)
	v_add_f64 v[21:22], v[21:22], v[29:30]
	s_waitcnt lgkmcnt(8)
	v_add_f64 v[23:24], v[23:24], v[31:32]
	v_cmp_gt_i32_e32 vcc_lo, 32, v25
	s_waitcnt lgkmcnt(6)
	v_add_f64 v[15:16], v[15:16], v[33:34]
	s_waitcnt lgkmcnt(4)
	v_add_f64 v[17:18], v[17:18], v[35:36]
	;; [unrolled: 2-line block ×3, first 2 shown]
	v_cndmask_b32_e32 v25, v44, v25, vcc_lo
	s_waitcnt lgkmcnt(0)
	v_add_f64 v[11:12], v[11:12], v[39:40]
	s_delay_alu instid0(VALU_DEP_2)
	v_lshlrev_b32_e32 v40, 2, v25
	ds_bpermute_b32 v25, v40, v19
	ds_bpermute_b32 v26, v40, v20
	;; [unrolled: 1-line block ×16, first 2 shown]
	s_waitcnt lgkmcnt(14)
	v_add_f64 v[19:20], v[19:20], v[25:26]
	s_waitcnt lgkmcnt(12)
	v_add_f64 v[13:14], v[13:14], v[27:28]
	;; [unrolled: 2-line block ×7, first 2 shown]
	v_xor_b32_e32 v9, 2, v44
	s_waitcnt lgkmcnt(0)
	v_add_f64 v[29:30], v[11:12], v[39:40]
	s_delay_alu instid0(VALU_DEP_2) | instskip(SKIP_1) | instid1(VALU_DEP_1)
	v_cmp_gt_i32_e32 vcc_lo, 32, v9
	v_cndmask_b32_e32 v9, v44, v9, vcc_lo
	v_lshlrev_b32_e32 v23, 2, v9
	ds_bpermute_b32 v9, v23, v19
	ds_bpermute_b32 v10, v23, v20
	;; [unrolled: 1-line block ×16, first 2 shown]
	s_waitcnt lgkmcnt(14)
	v_add_f64 v[9:10], v[19:20], v[9:10]
	s_waitcnt lgkmcnt(12)
	v_add_f64 v[23:24], v[13:14], v[11:12]
	;; [unrolled: 2-line block ×4, first 2 shown]
	v_xor_b32_e32 v25, 1, v44
	s_waitcnt lgkmcnt(6)
	v_add_f64 v[13:14], v[15:16], v[35:36]
	s_waitcnt lgkmcnt(4)
	v_add_f64 v[19:20], v[17:18], v[37:38]
	;; [unrolled: 2-line block ×3, first 2 shown]
	v_cmp_gt_i32_e32 vcc_lo, 32, v25
	s_waitcnt lgkmcnt(0)
	v_add_f64 v[17:18], v[29:30], v[42:43]
	v_cndmask_b32_e32 v25, v44, v25, vcc_lo
	v_cmp_eq_u32_e32 vcc_lo, 31, v41
	s_delay_alu instid0(VALU_DEP_2)
	v_lshlrev_b32_e32 v28, 2, v25
	ds_bpermute_b32 v39, v28, v9
	ds_bpermute_b32 v40, v28, v10
	;; [unrolled: 1-line block ×16, first 2 shown]
	s_and_b32 exec_lo, exec_lo, vcc_lo
	s_cbranch_execz .LBB119_25
; %bb.21:
	v_cmp_eq_f64_e32 vcc_lo, 0, v[4:5]
	v_cmp_eq_f64_e64 s0, 0, v[6:7]
	s_waitcnt lgkmcnt(14)
	v_add_f64 v[9:10], v[9:10], v[39:40]
	s_waitcnt lgkmcnt(12)
	v_add_f64 v[23:24], v[23:24], v[37:38]
	;; [unrolled: 2-line block ×8, first 2 shown]
	s_load_b64 s[2:3], s[2:3], 0x48
	s_and_b32 s0, vcc_lo, s0
	s_delay_alu instid0(SALU_CYCLE_1) | instskip(NEXT) | instid1(SALU_CYCLE_1)
	s_and_saveexec_b32 s1, s0
	s_xor_b32 s0, exec_lo, s1
	s_cbranch_execz .LBB119_23
; %bb.22:
	v_mul_f64 v[4:5], v[23:24], -v[2:3]
	v_mul_f64 v[6:7], v[0:1], v[23:24]
	v_mul_f64 v[23:24], v[21:22], -v[2:3]
	v_mul_f64 v[21:22], v[0:1], v[21:22]
	;; [unrolled: 2-line block ×4, first 2 shown]
	v_fma_f64 v[4:5], v[0:1], v[9:10], v[4:5]
	v_fma_f64 v[6:7], v[2:3], v[9:10], v[6:7]
	;; [unrolled: 1-line block ×8, first 2 shown]
	v_lshlrev_b32_e32 v13, 2, v8
                                        ; implicit-def: $vgpr8
                                        ; implicit-def: $vgpr23_vgpr24
                                        ; implicit-def: $vgpr21_vgpr22
                                        ; implicit-def: $vgpr15_vgpr16
	s_delay_alu instid0(VALU_DEP_1) | instskip(NEXT) | instid1(VALU_DEP_1)
	v_ashrrev_i32_e32 v14, 31, v13
	v_lshlrev_b64 v[13:14], 4, v[13:14]
	s_waitcnt lgkmcnt(0)
	s_delay_alu instid0(VALU_DEP_1) | instskip(NEXT) | instid1(VALU_DEP_2)
	v_add_co_u32 v13, vcc_lo, s2, v13
	v_add_co_ci_u32_e32 v14, vcc_lo, s3, v14, vcc_lo
	s_clause 0x3
	global_store_b128 v[13:14], v[4:7], off
	global_store_b128 v[13:14], v[9:12], off offset:16
	global_store_b128 v[13:14], v[17:20], off offset:32
	;; [unrolled: 1-line block ×3, first 2 shown]
                                        ; implicit-def: $vgpr0_vgpr1
                                        ; implicit-def: $vgpr2_vgpr3
                                        ; implicit-def: $vgpr4_vgpr5
                                        ; implicit-def: $vgpr6_vgpr7
                                        ; implicit-def: $vgpr9_vgpr10
                                        ; implicit-def: $vgpr11_vgpr12
                                        ; implicit-def: $vgpr13_vgpr14
                                        ; implicit-def: $vgpr19_vgpr20
                                        ; implicit-def: $vgpr17_vgpr18
.LBB119_23:
	s_and_not1_saveexec_b32 s0, s0
	s_cbranch_execz .LBB119_25
; %bb.24:
	v_lshlrev_b32_e32 v25, 2, v8
	v_mul_f64 v[43:44], v[23:24], -v[2:3]
	v_mul_f64 v[23:24], v[0:1], v[23:24]
	v_mul_f64 v[45:46], v[21:22], -v[2:3]
	v_mul_f64 v[21:22], v[0:1], v[21:22]
	v_ashrrev_i32_e32 v26, 31, v25
	v_mul_f64 v[47:48], v[19:20], -v[2:3]
	v_mul_f64 v[19:20], v[0:1], v[19:20]
	v_mul_f64 v[49:50], v[17:18], -v[2:3]
	v_mul_f64 v[17:18], v[0:1], v[17:18]
	v_lshlrev_b64 v[25:26], 4, v[25:26]
	s_waitcnt lgkmcnt(0)
	s_delay_alu instid0(VALU_DEP_1) | instskip(NEXT) | instid1(VALU_DEP_2)
	v_add_co_u32 v41, vcc_lo, s2, v25
	v_add_co_ci_u32_e32 v42, vcc_lo, s3, v26, vcc_lo
	s_clause 0x3
	global_load_b128 v[25:28], v[41:42], off
	global_load_b128 v[29:32], v[41:42], off offset:16
	global_load_b128 v[33:36], v[41:42], off offset:32
	;; [unrolled: 1-line block ×3, first 2 shown]
	v_fma_f64 v[43:44], v[0:1], v[9:10], v[43:44]
	v_fma_f64 v[8:9], v[2:3], v[9:10], v[23:24]
	v_fma_f64 v[23:24], v[0:1], v[11:12], v[45:46]
	v_fma_f64 v[10:11], v[2:3], v[11:12], v[21:22]
	v_fma_f64 v[21:22], v[0:1], v[13:14], v[47:48]
	v_fma_f64 v[12:13], v[2:3], v[13:14], v[19:20]
	v_fma_f64 v[0:1], v[0:1], v[15:16], v[49:50]
	v_fma_f64 v[2:3], v[2:3], v[15:16], v[17:18]
	s_waitcnt vmcnt(3)
	v_fma_f64 v[14:15], v[4:5], v[25:26], v[43:44]
	v_fma_f64 v[8:9], v[6:7], v[25:26], v[8:9]
	s_waitcnt vmcnt(2)
	v_fma_f64 v[16:17], v[4:5], v[29:30], v[23:24]
	v_fma_f64 v[10:11], v[6:7], v[29:30], v[10:11]
	;; [unrolled: 3-line block ×4, first 2 shown]
	v_fma_f64 v[0:1], -v[6:7], v[27:28], v[14:15]
	v_fma_f64 v[2:3], v[4:5], v[27:28], v[8:9]
	v_fma_f64 v[8:9], -v[6:7], v[31:32], v[16:17]
	v_fma_f64 v[10:11], v[4:5], v[31:32], v[10:11]
	;; [unrolled: 2-line block ×4, first 2 shown]
	s_clause 0x3
	global_store_b128 v[41:42], v[0:3], off
	global_store_b128 v[41:42], v[8:11], off offset:16
	global_store_b128 v[41:42], v[12:15], off offset:32
	;; [unrolled: 1-line block ×3, first 2 shown]
.LBB119_25:
	s_nop 0
	s_sendmsg sendmsg(MSG_DEALLOC_VGPRS)
	s_endpgm
	.section	.rodata,"a",@progbits
	.p2align	6, 0x0
	.amdhsa_kernel _ZN9rocsparseL19gebsrmvn_4xn_kernelILj128ELj2ELj32E21rocsparse_complex_numIdEEEvi20rocsparse_direction_NS_24const_host_device_scalarIT2_EEPKiS8_PKS5_SA_S6_PS5_21rocsparse_index_base_b
		.amdhsa_group_segment_fixed_size 2048
		.amdhsa_private_segment_fixed_size 0
		.amdhsa_kernarg_size 88
		.amdhsa_user_sgpr_count 15
		.amdhsa_user_sgpr_dispatch_ptr 1
		.amdhsa_user_sgpr_queue_ptr 0
		.amdhsa_user_sgpr_kernarg_segment_ptr 1
		.amdhsa_user_sgpr_dispatch_id 0
		.amdhsa_user_sgpr_private_segment_size 0
		.amdhsa_wavefront_size32 1
		.amdhsa_uses_dynamic_stack 0
		.amdhsa_enable_private_segment 0
		.amdhsa_system_sgpr_workgroup_id_x 1
		.amdhsa_system_sgpr_workgroup_id_y 0
		.amdhsa_system_sgpr_workgroup_id_z 0
		.amdhsa_system_sgpr_workgroup_info 0
		.amdhsa_system_vgpr_workitem_id 2
		.amdhsa_next_free_vgpr 74
		.amdhsa_next_free_sgpr 18
		.amdhsa_reserve_vcc 1
		.amdhsa_float_round_mode_32 0
		.amdhsa_float_round_mode_16_64 0
		.amdhsa_float_denorm_mode_32 3
		.amdhsa_float_denorm_mode_16_64 3
		.amdhsa_dx10_clamp 1
		.amdhsa_ieee_mode 1
		.amdhsa_fp16_overflow 0
		.amdhsa_workgroup_processor_mode 1
		.amdhsa_memory_ordered 1
		.amdhsa_forward_progress 0
		.amdhsa_shared_vgpr_count 0
		.amdhsa_exception_fp_ieee_invalid_op 0
		.amdhsa_exception_fp_denorm_src 0
		.amdhsa_exception_fp_ieee_div_zero 0
		.amdhsa_exception_fp_ieee_overflow 0
		.amdhsa_exception_fp_ieee_underflow 0
		.amdhsa_exception_fp_ieee_inexact 0
		.amdhsa_exception_int_div_zero 0
	.end_amdhsa_kernel
	.section	.text._ZN9rocsparseL19gebsrmvn_4xn_kernelILj128ELj2ELj32E21rocsparse_complex_numIdEEEvi20rocsparse_direction_NS_24const_host_device_scalarIT2_EEPKiS8_PKS5_SA_S6_PS5_21rocsparse_index_base_b,"axG",@progbits,_ZN9rocsparseL19gebsrmvn_4xn_kernelILj128ELj2ELj32E21rocsparse_complex_numIdEEEvi20rocsparse_direction_NS_24const_host_device_scalarIT2_EEPKiS8_PKS5_SA_S6_PS5_21rocsparse_index_base_b,comdat
.Lfunc_end119:
	.size	_ZN9rocsparseL19gebsrmvn_4xn_kernelILj128ELj2ELj32E21rocsparse_complex_numIdEEEvi20rocsparse_direction_NS_24const_host_device_scalarIT2_EEPKiS8_PKS5_SA_S6_PS5_21rocsparse_index_base_b, .Lfunc_end119-_ZN9rocsparseL19gebsrmvn_4xn_kernelILj128ELj2ELj32E21rocsparse_complex_numIdEEEvi20rocsparse_direction_NS_24const_host_device_scalarIT2_EEPKiS8_PKS5_SA_S6_PS5_21rocsparse_index_base_b
                                        ; -- End function
	.section	.AMDGPU.csdata,"",@progbits
; Kernel info:
; codeLenInByte = 3696
; NumSgprs: 20
; NumVgprs: 74
; ScratchSize: 0
; MemoryBound: 0
; FloatMode: 240
; IeeeMode: 1
; LDSByteSize: 2048 bytes/workgroup (compile time only)
; SGPRBlocks: 2
; VGPRBlocks: 9
; NumSGPRsForWavesPerEU: 20
; NumVGPRsForWavesPerEU: 74
; Occupancy: 16
; WaveLimiterHint : 1
; COMPUTE_PGM_RSRC2:SCRATCH_EN: 0
; COMPUTE_PGM_RSRC2:USER_SGPR: 15
; COMPUTE_PGM_RSRC2:TRAP_HANDLER: 0
; COMPUTE_PGM_RSRC2:TGID_X_EN: 1
; COMPUTE_PGM_RSRC2:TGID_Y_EN: 0
; COMPUTE_PGM_RSRC2:TGID_Z_EN: 0
; COMPUTE_PGM_RSRC2:TIDIG_COMP_CNT: 2
	.section	.text._ZN9rocsparseL19gebsrmvn_4xn_kernelILj128ELj2ELj64E21rocsparse_complex_numIdEEEvi20rocsparse_direction_NS_24const_host_device_scalarIT2_EEPKiS8_PKS5_SA_S6_PS5_21rocsparse_index_base_b,"axG",@progbits,_ZN9rocsparseL19gebsrmvn_4xn_kernelILj128ELj2ELj64E21rocsparse_complex_numIdEEEvi20rocsparse_direction_NS_24const_host_device_scalarIT2_EEPKiS8_PKS5_SA_S6_PS5_21rocsparse_index_base_b,comdat
	.globl	_ZN9rocsparseL19gebsrmvn_4xn_kernelILj128ELj2ELj64E21rocsparse_complex_numIdEEEvi20rocsparse_direction_NS_24const_host_device_scalarIT2_EEPKiS8_PKS5_SA_S6_PS5_21rocsparse_index_base_b ; -- Begin function _ZN9rocsparseL19gebsrmvn_4xn_kernelILj128ELj2ELj64E21rocsparse_complex_numIdEEEvi20rocsparse_direction_NS_24const_host_device_scalarIT2_EEPKiS8_PKS5_SA_S6_PS5_21rocsparse_index_base_b
	.p2align	8
	.type	_ZN9rocsparseL19gebsrmvn_4xn_kernelILj128ELj2ELj64E21rocsparse_complex_numIdEEEvi20rocsparse_direction_NS_24const_host_device_scalarIT2_EEPKiS8_PKS5_SA_S6_PS5_21rocsparse_index_base_b,@function
_ZN9rocsparseL19gebsrmvn_4xn_kernelILj128ELj2ELj64E21rocsparse_complex_numIdEEEvi20rocsparse_direction_NS_24const_host_device_scalarIT2_EEPKiS8_PKS5_SA_S6_PS5_21rocsparse_index_base_b: ; @_ZN9rocsparseL19gebsrmvn_4xn_kernelILj128ELj2ELj64E21rocsparse_complex_numIdEEEvi20rocsparse_direction_NS_24const_host_device_scalarIT2_EEPKiS8_PKS5_SA_S6_PS5_21rocsparse_index_base_b
; %bb.0:
	s_load_b64 s[12:13], s[2:3], 0x50
	s_load_b64 s[16:17], s[0:1], 0x4
	s_load_b128 s[8:11], s[2:3], 0x8
	v_bfe_u32 v1, v0, 10, 10
	s_mov_b64 s[0:1], src_shared_base
	s_load_b128 s[4:7], s[2:3], 0x38
	v_and_b32_e32 v10, 0x3ff, v0
	v_bfe_u32 v0, v0, 20, 10
	s_waitcnt lgkmcnt(0)
	s_bitcmp1_b32 s13, 0
	v_mul_u32_u24_e32 v1, s17, v1
	s_cselect_b32 s0, -1, 0
	s_delay_alu instid0(SALU_CYCLE_1)
	s_and_b32 vcc_lo, s0, exec_lo
	s_cselect_b32 s13, s1, s9
	s_lshr_b32 s14, s16, 16
	v_dual_mov_b32 v2, s4 :: v_dual_mov_b32 v3, s5
	s_mul_i32 s14, s14, s17
	v_mov_b32_e32 v6, s13
	v_mad_u32_u24 v1, s14, v10, v1
	s_delay_alu instid0(VALU_DEP_1) | instskip(SKIP_1) | instid1(VALU_DEP_2)
	v_add_lshl_u32 v4, v1, v0, 3
	v_dual_mov_b32 v0, s8 :: v_dual_mov_b32 v1, s9
	v_add_nc_u32_e32 v5, 0x400, v4
	ds_store_2addr_stride64_b64 v4, v[2:3], v[0:1] offset1:2
	v_dual_mov_b32 v2, s10 :: v_dual_mov_b32 v3, s11
	v_cndmask_b32_e64 v5, s8, v5, s0
	s_xor_b32 s10, s0, -1
	flat_load_b64 v[0:1], v[5:6]
	s_cbranch_vccnz .LBB120_2
; %bb.1:
	v_dual_mov_b32 v2, s8 :: v_dual_mov_b32 v3, s9
	flat_load_b64 v[2:3], v[2:3] offset:8
.LBB120_2:
	s_and_b32 s8, s0, exec_lo
	s_cselect_b32 s1, s1, s5
	v_cndmask_b32_e64 v4, s4, v4, s0
	v_dual_mov_b32 v5, s1 :: v_dual_mov_b32 v6, s6
	v_mov_b32_e32 v7, s7
	s_and_not1_b32 vcc_lo, exec_lo, s10
	flat_load_b64 v[4:5], v[4:5]
	s_cbranch_vccnz .LBB120_4
; %bb.3:
	v_dual_mov_b32 v7, s5 :: v_dual_mov_b32 v6, s4
	flat_load_b64 v[6:7], v[6:7] offset:8
.LBB120_4:
	s_waitcnt vmcnt(1) lgkmcnt(1)
	v_cmp_eq_f64_e32 vcc_lo, 0, v[0:1]
	v_cmp_eq_f64_e64 s0, 0, v[2:3]
	s_delay_alu instid0(VALU_DEP_1)
	s_and_b32 s4, vcc_lo, s0
	s_mov_b32 s0, -1
	s_and_saveexec_b32 s1, s4
	s_cbranch_execz .LBB120_6
; %bb.5:
	s_waitcnt vmcnt(0) lgkmcnt(0)
	v_cmp_neq_f64_e32 vcc_lo, 1.0, v[4:5]
	v_cmp_neq_f64_e64 s0, 0, v[6:7]
	s_delay_alu instid0(VALU_DEP_1) | instskip(NEXT) | instid1(SALU_CYCLE_1)
	s_or_b32 s0, vcc_lo, s0
	s_or_not1_b32 s0, s0, exec_lo
.LBB120_6:
	s_or_b32 exec_lo, exec_lo, s1
	s_and_saveexec_b32 s1, s0
	s_cbranch_execz .LBB120_25
; %bb.7:
	s_load_b64 s[0:1], s[2:3], 0x0
	v_lshrrev_b32_e32 v8, 6, v10
	s_delay_alu instid0(VALU_DEP_1) | instskip(SKIP_1) | instid1(VALU_DEP_1)
	v_lshl_or_b32 v8, s15, 1, v8
	s_waitcnt lgkmcnt(0)
	v_cmp_gt_i32_e32 vcc_lo, s0, v8
	s_and_b32 exec_lo, exec_lo, vcc_lo
	s_cbranch_execz .LBB120_25
; %bb.8:
	s_load_b256 s[4:11], s[2:3], 0x18
	v_ashrrev_i32_e32 v9, 31, v8
	v_and_b32_e32 v41, 63, v10
	s_cmp_lg_u32 s1, 0
	s_delay_alu instid0(VALU_DEP_2) | instskip(SKIP_1) | instid1(VALU_DEP_1)
	v_lshlrev_b64 v[11:12], 2, v[8:9]
	s_waitcnt lgkmcnt(0)
	v_add_co_u32 v11, vcc_lo, s4, v11
	s_delay_alu instid0(VALU_DEP_2) | instskip(SKIP_4) | instid1(VALU_DEP_2)
	v_add_co_ci_u32_e32 v12, vcc_lo, s5, v12, vcc_lo
	global_load_b64 v[11:12], v[11:12], off
	s_waitcnt vmcnt(0)
	v_subrev_nc_u32_e32 v9, s12, v11
	v_subrev_nc_u32_e32 v30, s12, v12
	v_add_nc_u32_e32 v25, v9, v41
	s_delay_alu instid0(VALU_DEP_1)
	v_cmp_lt_i32_e64 s0, v25, v30
	s_cbranch_scc0 .LBB120_14
; %bb.9:
	v_mov_b32_e32 v13, 0
	v_mov_b32_e32 v14, 0
	s_delay_alu instid0(VALU_DEP_2) | instskip(NEXT) | instid1(VALU_DEP_2)
	v_mov_b32_e32 v9, v13
	v_dual_mov_b32 v11, v13 :: v_dual_mov_b32 v12, v14
	v_dual_mov_b32 v20, v14 :: v_dual_mov_b32 v19, v13
	v_mov_b32_e32 v10, v14
	v_dual_mov_b32 v16, v14 :: v_dual_mov_b32 v15, v13
	v_dual_mov_b32 v18, v14 :: v_dual_mov_b32 v17, v13
	;; [unrolled: 1-line block ×4, first 2 shown]
	s_and_saveexec_b32 s1, s0
	s_cbranch_execz .LBB120_13
; %bb.10:
	v_dual_mov_b32 v13, 0 :: v_dual_lshlrev_b32 v26, 3, v25
	v_dual_mov_b32 v14, 0 :: v_dual_mov_b32 v27, 0
	v_mov_b32_e32 v28, v25
	s_delay_alu instid0(VALU_DEP_3) | instskip(NEXT) | instid1(VALU_DEP_3)
	v_mov_b32_e32 v9, v13
	v_dual_mov_b32 v11, v13 :: v_dual_mov_b32 v12, v14
	v_dual_mov_b32 v20, v14 :: v_dual_mov_b32 v19, v13
	v_mov_b32_e32 v10, v14
	v_dual_mov_b32 v16, v14 :: v_dual_mov_b32 v15, v13
	v_dual_mov_b32 v18, v14 :: v_dual_mov_b32 v17, v13
	;; [unrolled: 1-line block ×4, first 2 shown]
	s_mov_b32 s4, 0
.LBB120_11:                             ; =>This Inner Loop Header: Depth=1
	v_ashrrev_i32_e32 v29, 31, v28
	s_delay_alu instid0(VALU_DEP_1) | instskip(SKIP_1) | instid1(VALU_DEP_2)
	v_lshlrev_b64 v[31:32], 2, v[28:29]
	v_add_nc_u32_e32 v28, 64, v28
	v_add_co_u32 v31, vcc_lo, s6, v31
	s_delay_alu instid0(VALU_DEP_3) | instskip(SKIP_3) | instid1(VALU_DEP_2)
	v_add_co_ci_u32_e32 v32, vcc_lo, s7, v32, vcc_lo
	global_load_b32 v29, v[31:32], off
	v_lshlrev_b64 v[31:32], 4, v[26:27]
	v_add_nc_u32_e32 v26, 0x200, v26
	v_add_co_u32 v70, vcc_lo, s8, v31
	s_delay_alu instid0(VALU_DEP_3)
	v_add_co_ci_u32_e32 v71, vcc_lo, s9, v32, vcc_lo
	s_clause 0x3
	global_load_b128 v[31:34], v[70:71], off offset:48
	global_load_b128 v[35:38], v[70:71], off offset:32
	;; [unrolled: 1-line block ×3, first 2 shown]
	global_load_b128 v[46:49], v[70:71], off
	s_waitcnt vmcnt(4)
	v_subrev_nc_u32_e32 v29, s12, v29
	s_delay_alu instid0(VALU_DEP_1) | instskip(NEXT) | instid1(VALU_DEP_1)
	v_dual_mov_b32 v40, v27 :: v_dual_lshlrev_b32 v39, 1, v29
	v_lshlrev_b64 v[39:40], 4, v[39:40]
	s_delay_alu instid0(VALU_DEP_1) | instskip(NEXT) | instid1(VALU_DEP_2)
	v_add_co_u32 v39, vcc_lo, s10, v39
	v_add_co_ci_u32_e32 v40, vcc_lo, s11, v40, vcc_lo
	v_cmp_ge_i32_e32 vcc_lo, v28, v30
	s_clause 0x1
	global_load_b128 v[50:53], v[39:40], off
	global_load_b128 v[54:57], v[39:40], off offset:16
	s_clause 0x3
	global_load_b128 v[58:61], v[70:71], off offset:64
	global_load_b128 v[62:65], v[70:71], off offset:80
	;; [unrolled: 1-line block ×4, first 2 shown]
	s_or_b32 s4, vcc_lo, s4
	s_waitcnt vmcnt(5)
	v_fma_f64 v[19:20], v[46:47], v[50:51], v[19:20]
	v_fma_f64 v[13:14], v[48:49], v[50:51], v[13:14]
	;; [unrolled: 1-line block ×8, first 2 shown]
	v_fma_f64 v[19:20], -v[48:49], v[52:53], v[19:20]
	v_fma_f64 v[13:14], v[46:47], v[52:53], v[13:14]
	v_fma_f64 v[21:22], -v[44:45], v[52:53], v[21:22]
	v_fma_f64 v[23:24], v[42:43], v[52:53], v[23:24]
	v_fma_f64 v[15:16], -v[37:38], v[52:53], v[15:16]
	v_fma_f64 v[17:18], v[35:36], v[52:53], v[17:18]
	v_fma_f64 v[9:10], -v[33:34], v[52:53], v[9:10]
	v_fma_f64 v[11:12], v[31:32], v[52:53], v[11:12]
	s_waitcnt vmcnt(3)
	v_fma_f64 v[19:20], v[58:59], v[54:55], v[19:20]
	v_fma_f64 v[13:14], v[60:61], v[54:55], v[13:14]
	s_waitcnt vmcnt(2)
	v_fma_f64 v[21:22], v[62:63], v[54:55], v[21:22]
	v_fma_f64 v[23:24], v[64:65], v[54:55], v[23:24]
	;; [unrolled: 3-line block ×4, first 2 shown]
	v_fma_f64 v[19:20], -v[60:61], v[56:57], v[19:20]
	v_fma_f64 v[13:14], v[58:59], v[56:57], v[13:14]
	v_fma_f64 v[21:22], -v[64:65], v[56:57], v[21:22]
	v_fma_f64 v[23:24], v[62:63], v[56:57], v[23:24]
	;; [unrolled: 2-line block ×4, first 2 shown]
	s_and_not1_b32 exec_lo, exec_lo, s4
	s_cbranch_execnz .LBB120_11
; %bb.12:
	s_or_b32 exec_lo, exec_lo, s4
.LBB120_13:
	s_delay_alu instid0(SALU_CYCLE_1)
	s_or_b32 exec_lo, exec_lo, s1
	s_cbranch_execz .LBB120_15
	s_branch .LBB120_20
.LBB120_14:
                                        ; implicit-def: $vgpr13_vgpr14
                                        ; implicit-def: $vgpr19_vgpr20
                                        ; implicit-def: $vgpr9_vgpr10
                                        ; implicit-def: $vgpr11_vgpr12
                                        ; implicit-def: $vgpr15_vgpr16
                                        ; implicit-def: $vgpr17_vgpr18
                                        ; implicit-def: $vgpr21_vgpr22
                                        ; implicit-def: $vgpr23_vgpr24
.LBB120_15:
	v_mov_b32_e32 v13, 0
	v_mov_b32_e32 v14, 0
	s_delay_alu instid0(VALU_DEP_2) | instskip(NEXT) | instid1(VALU_DEP_2)
	v_mov_b32_e32 v9, v13
	v_dual_mov_b32 v11, v13 :: v_dual_mov_b32 v12, v14
	v_dual_mov_b32 v20, v14 :: v_dual_mov_b32 v19, v13
	v_mov_b32_e32 v10, v14
	v_dual_mov_b32 v16, v14 :: v_dual_mov_b32 v15, v13
	v_dual_mov_b32 v18, v14 :: v_dual_mov_b32 v17, v13
	;; [unrolled: 1-line block ×4, first 2 shown]
	s_and_saveexec_b32 s1, s0
	s_cbranch_execz .LBB120_19
; %bb.16:
	v_dual_mov_b32 v13, 0 :: v_dual_mov_b32 v28, 0
	v_dual_mov_b32 v14, 0 :: v_dual_lshlrev_b32 v27, 3, v25
	s_delay_alu instid0(VALU_DEP_2) | instskip(SKIP_2) | instid1(VALU_DEP_3)
	v_mov_b32_e32 v9, v13
	v_mov_b32_e32 v11, v13
	s_mov_b32 s0, 0
	v_mov_b32_e32 v12, v14
	v_dual_mov_b32 v20, v14 :: v_dual_mov_b32 v19, v13
	v_mov_b32_e32 v10, v14
	v_dual_mov_b32 v16, v14 :: v_dual_mov_b32 v15, v13
	v_dual_mov_b32 v18, v14 :: v_dual_mov_b32 v17, v13
	;; [unrolled: 1-line block ×4, first 2 shown]
.LBB120_17:                             ; =>This Inner Loop Header: Depth=1
	v_ashrrev_i32_e32 v26, 31, v25
	s_delay_alu instid0(VALU_DEP_1) | instskip(SKIP_1) | instid1(VALU_DEP_2)
	v_lshlrev_b64 v[31:32], 2, v[25:26]
	v_add_nc_u32_e32 v25, 64, v25
	v_add_co_u32 v31, vcc_lo, s6, v31
	s_delay_alu instid0(VALU_DEP_3) | instskip(SKIP_3) | instid1(VALU_DEP_2)
	v_add_co_ci_u32_e32 v32, vcc_lo, s7, v32, vcc_lo
	global_load_b32 v26, v[31:32], off
	v_lshlrev_b64 v[31:32], 4, v[27:28]
	v_add_nc_u32_e32 v27, 0x200, v27
	v_add_co_u32 v62, vcc_lo, s8, v31
	s_delay_alu instid0(VALU_DEP_3)
	v_add_co_ci_u32_e32 v63, vcc_lo, s9, v32, vcc_lo
	s_clause 0x7
	global_load_b128 v[31:34], v[62:63], off offset:48
	global_load_b128 v[35:38], v[62:63], off offset:32
	;; [unrolled: 1-line block ×3, first 2 shown]
	global_load_b128 v[46:49], v[62:63], off
	global_load_b128 v[50:53], v[62:63], off offset:112
	global_load_b128 v[54:57], v[62:63], off offset:96
	;; [unrolled: 1-line block ×4, first 2 shown]
	s_waitcnt vmcnt(8)
	v_subrev_nc_u32_e32 v26, s12, v26
	s_delay_alu instid0(VALU_DEP_1) | instskip(NEXT) | instid1(VALU_DEP_1)
	v_dual_mov_b32 v40, v28 :: v_dual_lshlrev_b32 v39, 1, v26
	v_lshlrev_b64 v[39:40], 4, v[39:40]
	s_delay_alu instid0(VALU_DEP_1) | instskip(NEXT) | instid1(VALU_DEP_2)
	v_add_co_u32 v39, vcc_lo, s10, v39
	v_add_co_ci_u32_e32 v40, vcc_lo, s11, v40, vcc_lo
	v_cmp_ge_i32_e32 vcc_lo, v25, v30
	s_clause 0x1
	global_load_b128 v[66:69], v[39:40], off
	global_load_b128 v[70:73], v[39:40], off offset:16
	s_or_b32 s0, vcc_lo, s0
	s_waitcnt vmcnt(1)
	v_fma_f64 v[19:20], v[46:47], v[66:67], v[19:20]
	v_fma_f64 v[13:14], v[48:49], v[66:67], v[13:14]
	;; [unrolled: 1-line block ×8, first 2 shown]
	v_fma_f64 v[19:20], -v[48:49], v[68:69], v[19:20]
	v_fma_f64 v[13:14], v[46:47], v[68:69], v[13:14]
	v_fma_f64 v[21:22], -v[37:38], v[68:69], v[21:22]
	v_fma_f64 v[23:24], v[35:36], v[68:69], v[23:24]
	;; [unrolled: 2-line block ×4, first 2 shown]
	s_waitcnt vmcnt(0)
	v_fma_f64 v[19:20], v[42:43], v[70:71], v[19:20]
	v_fma_f64 v[13:14], v[44:45], v[70:71], v[13:14]
	;; [unrolled: 1-line block ×8, first 2 shown]
	v_fma_f64 v[19:20], -v[44:45], v[72:73], v[19:20]
	v_fma_f64 v[13:14], v[42:43], v[72:73], v[13:14]
	v_fma_f64 v[21:22], -v[33:34], v[72:73], v[21:22]
	v_fma_f64 v[23:24], v[31:32], v[72:73], v[23:24]
	;; [unrolled: 2-line block ×4, first 2 shown]
	s_and_not1_b32 exec_lo, exec_lo, s0
	s_cbranch_execnz .LBB120_17
; %bb.18:
	s_or_b32 exec_lo, exec_lo, s0
.LBB120_19:
	s_delay_alu instid0(SALU_CYCLE_1)
	s_or_b32 exec_lo, exec_lo, s1
.LBB120_20:
	v_mbcnt_lo_u32_b32 v44, -1, 0
	s_delay_alu instid0(VALU_DEP_1) | instskip(NEXT) | instid1(VALU_DEP_1)
	v_or_b32_e32 v25, 32, v44
	v_cmp_gt_i32_e32 vcc_lo, 32, v25
	v_cndmask_b32_e32 v25, v44, v25, vcc_lo
	s_delay_alu instid0(VALU_DEP_1)
	v_lshlrev_b32_e32 v40, 2, v25
	ds_bpermute_b32 v25, v40, v19
	ds_bpermute_b32 v26, v40, v20
	ds_bpermute_b32 v27, v40, v13
	ds_bpermute_b32 v28, v40, v14
	ds_bpermute_b32 v29, v40, v21
	ds_bpermute_b32 v30, v40, v22
	ds_bpermute_b32 v31, v40, v23
	ds_bpermute_b32 v32, v40, v24
	ds_bpermute_b32 v33, v40, v15
	ds_bpermute_b32 v34, v40, v16
	ds_bpermute_b32 v35, v40, v17
	ds_bpermute_b32 v36, v40, v18
	ds_bpermute_b32 v37, v40, v9
	ds_bpermute_b32 v38, v40, v10
	ds_bpermute_b32 v39, v40, v11
	ds_bpermute_b32 v40, v40, v12
	s_waitcnt lgkmcnt(14)
	v_add_f64 v[19:20], v[19:20], v[25:26]
	v_xor_b32_e32 v25, 16, v44
	s_waitcnt lgkmcnt(12)
	v_add_f64 v[13:14], v[13:14], v[27:28]
	s_waitcnt lgkmcnt(10)
	v_add_f64 v[21:22], v[21:22], v[29:30]
	s_waitcnt lgkmcnt(8)
	v_add_f64 v[23:24], v[23:24], v[31:32]
	v_cmp_gt_i32_e32 vcc_lo, 32, v25
	s_waitcnt lgkmcnt(6)
	v_add_f64 v[15:16], v[15:16], v[33:34]
	s_waitcnt lgkmcnt(4)
	v_add_f64 v[17:18], v[17:18], v[35:36]
	s_waitcnt lgkmcnt(2)
	v_add_f64 v[9:10], v[9:10], v[37:38]
	v_cndmask_b32_e32 v25, v44, v25, vcc_lo
	s_waitcnt lgkmcnt(0)
	v_add_f64 v[11:12], v[11:12], v[39:40]
	s_delay_alu instid0(VALU_DEP_2)
	v_lshlrev_b32_e32 v40, 2, v25
	ds_bpermute_b32 v25, v40, v19
	ds_bpermute_b32 v26, v40, v20
	ds_bpermute_b32 v27, v40, v13
	ds_bpermute_b32 v28, v40, v14
	ds_bpermute_b32 v29, v40, v21
	ds_bpermute_b32 v30, v40, v22
	ds_bpermute_b32 v31, v40, v23
	ds_bpermute_b32 v32, v40, v24
	ds_bpermute_b32 v33, v40, v15
	ds_bpermute_b32 v34, v40, v16
	ds_bpermute_b32 v35, v40, v17
	ds_bpermute_b32 v36, v40, v18
	ds_bpermute_b32 v37, v40, v9
	ds_bpermute_b32 v38, v40, v10
	ds_bpermute_b32 v39, v40, v11
	ds_bpermute_b32 v40, v40, v12
	s_waitcnt lgkmcnt(14)
	v_add_f64 v[19:20], v[19:20], v[25:26]
	v_xor_b32_e32 v25, 8, v44
	s_waitcnt lgkmcnt(12)
	v_add_f64 v[13:14], v[13:14], v[27:28]
	s_waitcnt lgkmcnt(10)
	v_add_f64 v[21:22], v[21:22], v[29:30]
	s_waitcnt lgkmcnt(8)
	v_add_f64 v[23:24], v[23:24], v[31:32]
	v_cmp_gt_i32_e32 vcc_lo, 32, v25
	s_waitcnt lgkmcnt(6)
	v_add_f64 v[15:16], v[15:16], v[33:34]
	s_waitcnt lgkmcnt(4)
	v_add_f64 v[17:18], v[17:18], v[35:36]
	s_waitcnt lgkmcnt(2)
	v_add_f64 v[9:10], v[9:10], v[37:38]
	v_cndmask_b32_e32 v25, v44, v25, vcc_lo
	s_waitcnt lgkmcnt(0)
	v_add_f64 v[11:12], v[11:12], v[39:40]
	s_delay_alu instid0(VALU_DEP_2)
	v_lshlrev_b32_e32 v40, 2, v25
	ds_bpermute_b32 v25, v40, v19
	ds_bpermute_b32 v26, v40, v20
	ds_bpermute_b32 v27, v40, v13
	ds_bpermute_b32 v28, v40, v14
	ds_bpermute_b32 v29, v40, v21
	ds_bpermute_b32 v30, v40, v22
	ds_bpermute_b32 v31, v40, v23
	ds_bpermute_b32 v32, v40, v24
	ds_bpermute_b32 v33, v40, v15
	ds_bpermute_b32 v34, v40, v16
	ds_bpermute_b32 v35, v40, v17
	ds_bpermute_b32 v36, v40, v18
	ds_bpermute_b32 v37, v40, v9
	ds_bpermute_b32 v38, v40, v10
	ds_bpermute_b32 v39, v40, v11
	ds_bpermute_b32 v40, v40, v12
	s_waitcnt lgkmcnt(14)
	v_add_f64 v[19:20], v[19:20], v[25:26]
	v_xor_b32_e32 v25, 4, v44
	s_waitcnt lgkmcnt(12)
	v_add_f64 v[13:14], v[13:14], v[27:28]
	s_waitcnt lgkmcnt(10)
	v_add_f64 v[21:22], v[21:22], v[29:30]
	s_waitcnt lgkmcnt(8)
	v_add_f64 v[23:24], v[23:24], v[31:32]
	v_cmp_gt_i32_e32 vcc_lo, 32, v25
	s_waitcnt lgkmcnt(6)
	v_add_f64 v[15:16], v[15:16], v[33:34]
	s_waitcnt lgkmcnt(4)
	v_add_f64 v[17:18], v[17:18], v[35:36]
	s_waitcnt lgkmcnt(2)
	v_add_f64 v[9:10], v[9:10], v[37:38]
	v_cndmask_b32_e32 v25, v44, v25, vcc_lo
	s_waitcnt lgkmcnt(0)
	v_add_f64 v[11:12], v[11:12], v[39:40]
	s_delay_alu instid0(VALU_DEP_2)
	v_lshlrev_b32_e32 v40, 2, v25
	ds_bpermute_b32 v25, v40, v19
	ds_bpermute_b32 v26, v40, v20
	;; [unrolled: 1-line block ×16, first 2 shown]
	s_waitcnt lgkmcnt(14)
	v_add_f64 v[19:20], v[19:20], v[25:26]
	s_waitcnt lgkmcnt(12)
	v_add_f64 v[13:14], v[13:14], v[27:28]
	;; [unrolled: 2-line block ×7, first 2 shown]
	v_xor_b32_e32 v9, 2, v44
	s_waitcnt lgkmcnt(0)
	v_add_f64 v[29:30], v[11:12], v[39:40]
	s_delay_alu instid0(VALU_DEP_2) | instskip(SKIP_1) | instid1(VALU_DEP_1)
	v_cmp_gt_i32_e32 vcc_lo, 32, v9
	v_cndmask_b32_e32 v9, v44, v9, vcc_lo
	v_lshlrev_b32_e32 v23, 2, v9
	ds_bpermute_b32 v9, v23, v19
	ds_bpermute_b32 v10, v23, v20
	ds_bpermute_b32 v11, v23, v13
	ds_bpermute_b32 v12, v23, v14
	ds_bpermute_b32 v31, v23, v21
	ds_bpermute_b32 v32, v23, v22
	ds_bpermute_b32 v33, v23, v25
	ds_bpermute_b32 v34, v23, v26
	ds_bpermute_b32 v35, v23, v15
	ds_bpermute_b32 v36, v23, v16
	ds_bpermute_b32 v37, v23, v17
	ds_bpermute_b32 v38, v23, v18
	ds_bpermute_b32 v39, v23, v27
	ds_bpermute_b32 v40, v23, v28
	ds_bpermute_b32 v42, v23, v29
	ds_bpermute_b32 v43, v23, v30
	s_waitcnt lgkmcnt(14)
	v_add_f64 v[9:10], v[19:20], v[9:10]
	s_waitcnt lgkmcnt(12)
	v_add_f64 v[23:24], v[13:14], v[11:12]
	;; [unrolled: 2-line block ×4, first 2 shown]
	v_xor_b32_e32 v25, 1, v44
	s_waitcnt lgkmcnt(6)
	v_add_f64 v[13:14], v[15:16], v[35:36]
	s_waitcnt lgkmcnt(4)
	v_add_f64 v[19:20], v[17:18], v[37:38]
	s_waitcnt lgkmcnt(2)
	v_add_f64 v[15:16], v[27:28], v[39:40]
	v_cmp_gt_i32_e32 vcc_lo, 32, v25
	s_waitcnt lgkmcnt(0)
	v_add_f64 v[17:18], v[29:30], v[42:43]
	v_cndmask_b32_e32 v25, v44, v25, vcc_lo
	v_cmp_eq_u32_e32 vcc_lo, 63, v41
	s_delay_alu instid0(VALU_DEP_2)
	v_lshlrev_b32_e32 v28, 2, v25
	ds_bpermute_b32 v39, v28, v9
	ds_bpermute_b32 v40, v28, v10
	;; [unrolled: 1-line block ×16, first 2 shown]
	s_and_b32 exec_lo, exec_lo, vcc_lo
	s_cbranch_execz .LBB120_25
; %bb.21:
	v_cmp_eq_f64_e32 vcc_lo, 0, v[4:5]
	v_cmp_eq_f64_e64 s0, 0, v[6:7]
	s_waitcnt lgkmcnt(14)
	v_add_f64 v[9:10], v[9:10], v[39:40]
	s_waitcnt lgkmcnt(12)
	v_add_f64 v[23:24], v[23:24], v[37:38]
	;; [unrolled: 2-line block ×8, first 2 shown]
	s_load_b64 s[2:3], s[2:3], 0x48
	s_and_b32 s0, vcc_lo, s0
	s_delay_alu instid0(SALU_CYCLE_1) | instskip(NEXT) | instid1(SALU_CYCLE_1)
	s_and_saveexec_b32 s1, s0
	s_xor_b32 s0, exec_lo, s1
	s_cbranch_execz .LBB120_23
; %bb.22:
	v_mul_f64 v[4:5], v[23:24], -v[2:3]
	v_mul_f64 v[6:7], v[0:1], v[23:24]
	v_mul_f64 v[23:24], v[21:22], -v[2:3]
	v_mul_f64 v[21:22], v[0:1], v[21:22]
	;; [unrolled: 2-line block ×4, first 2 shown]
	v_fma_f64 v[4:5], v[0:1], v[9:10], v[4:5]
	v_fma_f64 v[6:7], v[2:3], v[9:10], v[6:7]
	;; [unrolled: 1-line block ×8, first 2 shown]
	v_lshlrev_b32_e32 v13, 2, v8
                                        ; implicit-def: $vgpr8
                                        ; implicit-def: $vgpr23_vgpr24
                                        ; implicit-def: $vgpr21_vgpr22
                                        ; implicit-def: $vgpr15_vgpr16
	s_delay_alu instid0(VALU_DEP_1) | instskip(NEXT) | instid1(VALU_DEP_1)
	v_ashrrev_i32_e32 v14, 31, v13
	v_lshlrev_b64 v[13:14], 4, v[13:14]
	s_waitcnt lgkmcnt(0)
	s_delay_alu instid0(VALU_DEP_1) | instskip(NEXT) | instid1(VALU_DEP_2)
	v_add_co_u32 v13, vcc_lo, s2, v13
	v_add_co_ci_u32_e32 v14, vcc_lo, s3, v14, vcc_lo
	s_clause 0x3
	global_store_b128 v[13:14], v[4:7], off
	global_store_b128 v[13:14], v[9:12], off offset:16
	global_store_b128 v[13:14], v[17:20], off offset:32
	;; [unrolled: 1-line block ×3, first 2 shown]
                                        ; implicit-def: $vgpr0_vgpr1
                                        ; implicit-def: $vgpr2_vgpr3
                                        ; implicit-def: $vgpr4_vgpr5
                                        ; implicit-def: $vgpr6_vgpr7
                                        ; implicit-def: $vgpr9_vgpr10
                                        ; implicit-def: $vgpr11_vgpr12
                                        ; implicit-def: $vgpr13_vgpr14
                                        ; implicit-def: $vgpr19_vgpr20
                                        ; implicit-def: $vgpr17_vgpr18
.LBB120_23:
	s_and_not1_saveexec_b32 s0, s0
	s_cbranch_execz .LBB120_25
; %bb.24:
	v_lshlrev_b32_e32 v25, 2, v8
	v_mul_f64 v[43:44], v[23:24], -v[2:3]
	v_mul_f64 v[23:24], v[0:1], v[23:24]
	v_mul_f64 v[45:46], v[21:22], -v[2:3]
	v_mul_f64 v[21:22], v[0:1], v[21:22]
	v_ashrrev_i32_e32 v26, 31, v25
	v_mul_f64 v[47:48], v[19:20], -v[2:3]
	v_mul_f64 v[19:20], v[0:1], v[19:20]
	v_mul_f64 v[49:50], v[17:18], -v[2:3]
	v_mul_f64 v[17:18], v[0:1], v[17:18]
	v_lshlrev_b64 v[25:26], 4, v[25:26]
	s_waitcnt lgkmcnt(0)
	s_delay_alu instid0(VALU_DEP_1) | instskip(NEXT) | instid1(VALU_DEP_2)
	v_add_co_u32 v41, vcc_lo, s2, v25
	v_add_co_ci_u32_e32 v42, vcc_lo, s3, v26, vcc_lo
	s_clause 0x3
	global_load_b128 v[25:28], v[41:42], off
	global_load_b128 v[29:32], v[41:42], off offset:16
	global_load_b128 v[33:36], v[41:42], off offset:32
	global_load_b128 v[37:40], v[41:42], off offset:48
	v_fma_f64 v[43:44], v[0:1], v[9:10], v[43:44]
	v_fma_f64 v[8:9], v[2:3], v[9:10], v[23:24]
	;; [unrolled: 1-line block ×8, first 2 shown]
	s_waitcnt vmcnt(3)
	v_fma_f64 v[14:15], v[4:5], v[25:26], v[43:44]
	v_fma_f64 v[8:9], v[6:7], v[25:26], v[8:9]
	s_waitcnt vmcnt(2)
	v_fma_f64 v[16:17], v[4:5], v[29:30], v[23:24]
	v_fma_f64 v[10:11], v[6:7], v[29:30], v[10:11]
	;; [unrolled: 3-line block ×4, first 2 shown]
	v_fma_f64 v[0:1], -v[6:7], v[27:28], v[14:15]
	v_fma_f64 v[2:3], v[4:5], v[27:28], v[8:9]
	v_fma_f64 v[8:9], -v[6:7], v[31:32], v[16:17]
	v_fma_f64 v[10:11], v[4:5], v[31:32], v[10:11]
	v_fma_f64 v[12:13], -v[6:7], v[35:36], v[18:19]
	v_fma_f64 v[14:15], v[4:5], v[35:36], v[20:21]
	v_fma_f64 v[16:17], -v[6:7], v[39:40], v[22:23]
	v_fma_f64 v[18:19], v[4:5], v[39:40], v[24:25]
	s_clause 0x3
	global_store_b128 v[41:42], v[0:3], off
	global_store_b128 v[41:42], v[8:11], off offset:16
	global_store_b128 v[41:42], v[12:15], off offset:32
	;; [unrolled: 1-line block ×3, first 2 shown]
.LBB120_25:
	s_nop 0
	s_sendmsg sendmsg(MSG_DEALLOC_VGPRS)
	s_endpgm
	.section	.rodata,"a",@progbits
	.p2align	6, 0x0
	.amdhsa_kernel _ZN9rocsparseL19gebsrmvn_4xn_kernelILj128ELj2ELj64E21rocsparse_complex_numIdEEEvi20rocsparse_direction_NS_24const_host_device_scalarIT2_EEPKiS8_PKS5_SA_S6_PS5_21rocsparse_index_base_b
		.amdhsa_group_segment_fixed_size 2048
		.amdhsa_private_segment_fixed_size 0
		.amdhsa_kernarg_size 88
		.amdhsa_user_sgpr_count 15
		.amdhsa_user_sgpr_dispatch_ptr 1
		.amdhsa_user_sgpr_queue_ptr 0
		.amdhsa_user_sgpr_kernarg_segment_ptr 1
		.amdhsa_user_sgpr_dispatch_id 0
		.amdhsa_user_sgpr_private_segment_size 0
		.amdhsa_wavefront_size32 1
		.amdhsa_uses_dynamic_stack 0
		.amdhsa_enable_private_segment 0
		.amdhsa_system_sgpr_workgroup_id_x 1
		.amdhsa_system_sgpr_workgroup_id_y 0
		.amdhsa_system_sgpr_workgroup_id_z 0
		.amdhsa_system_sgpr_workgroup_info 0
		.amdhsa_system_vgpr_workitem_id 2
		.amdhsa_next_free_vgpr 74
		.amdhsa_next_free_sgpr 18
		.amdhsa_reserve_vcc 1
		.amdhsa_float_round_mode_32 0
		.amdhsa_float_round_mode_16_64 0
		.amdhsa_float_denorm_mode_32 3
		.amdhsa_float_denorm_mode_16_64 3
		.amdhsa_dx10_clamp 1
		.amdhsa_ieee_mode 1
		.amdhsa_fp16_overflow 0
		.amdhsa_workgroup_processor_mode 1
		.amdhsa_memory_ordered 1
		.amdhsa_forward_progress 0
		.amdhsa_shared_vgpr_count 0
		.amdhsa_exception_fp_ieee_invalid_op 0
		.amdhsa_exception_fp_denorm_src 0
		.amdhsa_exception_fp_ieee_div_zero 0
		.amdhsa_exception_fp_ieee_overflow 0
		.amdhsa_exception_fp_ieee_underflow 0
		.amdhsa_exception_fp_ieee_inexact 0
		.amdhsa_exception_int_div_zero 0
	.end_amdhsa_kernel
	.section	.text._ZN9rocsparseL19gebsrmvn_4xn_kernelILj128ELj2ELj64E21rocsparse_complex_numIdEEEvi20rocsparse_direction_NS_24const_host_device_scalarIT2_EEPKiS8_PKS5_SA_S6_PS5_21rocsparse_index_base_b,"axG",@progbits,_ZN9rocsparseL19gebsrmvn_4xn_kernelILj128ELj2ELj64E21rocsparse_complex_numIdEEEvi20rocsparse_direction_NS_24const_host_device_scalarIT2_EEPKiS8_PKS5_SA_S6_PS5_21rocsparse_index_base_b,comdat
.Lfunc_end120:
	.size	_ZN9rocsparseL19gebsrmvn_4xn_kernelILj128ELj2ELj64E21rocsparse_complex_numIdEEEvi20rocsparse_direction_NS_24const_host_device_scalarIT2_EEPKiS8_PKS5_SA_S6_PS5_21rocsparse_index_base_b, .Lfunc_end120-_ZN9rocsparseL19gebsrmvn_4xn_kernelILj128ELj2ELj64E21rocsparse_complex_numIdEEEvi20rocsparse_direction_NS_24const_host_device_scalarIT2_EEPKiS8_PKS5_SA_S6_PS5_21rocsparse_index_base_b
                                        ; -- End function
	.section	.AMDGPU.csdata,"",@progbits
; Kernel info:
; codeLenInByte = 3940
; NumSgprs: 20
; NumVgprs: 74
; ScratchSize: 0
; MemoryBound: 0
; FloatMode: 240
; IeeeMode: 1
; LDSByteSize: 2048 bytes/workgroup (compile time only)
; SGPRBlocks: 2
; VGPRBlocks: 9
; NumSGPRsForWavesPerEU: 20
; NumVGPRsForWavesPerEU: 74
; Occupancy: 16
; WaveLimiterHint : 1
; COMPUTE_PGM_RSRC2:SCRATCH_EN: 0
; COMPUTE_PGM_RSRC2:USER_SGPR: 15
; COMPUTE_PGM_RSRC2:TRAP_HANDLER: 0
; COMPUTE_PGM_RSRC2:TGID_X_EN: 1
; COMPUTE_PGM_RSRC2:TGID_Y_EN: 0
; COMPUTE_PGM_RSRC2:TGID_Z_EN: 0
; COMPUTE_PGM_RSRC2:TIDIG_COMP_CNT: 2
	.section	.text._ZN9rocsparseL19gebsrmvn_4xn_kernelILj128ELj3ELj4E21rocsparse_complex_numIdEEEvi20rocsparse_direction_NS_24const_host_device_scalarIT2_EEPKiS8_PKS5_SA_S6_PS5_21rocsparse_index_base_b,"axG",@progbits,_ZN9rocsparseL19gebsrmvn_4xn_kernelILj128ELj3ELj4E21rocsparse_complex_numIdEEEvi20rocsparse_direction_NS_24const_host_device_scalarIT2_EEPKiS8_PKS5_SA_S6_PS5_21rocsparse_index_base_b,comdat
	.globl	_ZN9rocsparseL19gebsrmvn_4xn_kernelILj128ELj3ELj4E21rocsparse_complex_numIdEEEvi20rocsparse_direction_NS_24const_host_device_scalarIT2_EEPKiS8_PKS5_SA_S6_PS5_21rocsparse_index_base_b ; -- Begin function _ZN9rocsparseL19gebsrmvn_4xn_kernelILj128ELj3ELj4E21rocsparse_complex_numIdEEEvi20rocsparse_direction_NS_24const_host_device_scalarIT2_EEPKiS8_PKS5_SA_S6_PS5_21rocsparse_index_base_b
	.p2align	8
	.type	_ZN9rocsparseL19gebsrmvn_4xn_kernelILj128ELj3ELj4E21rocsparse_complex_numIdEEEvi20rocsparse_direction_NS_24const_host_device_scalarIT2_EEPKiS8_PKS5_SA_S6_PS5_21rocsparse_index_base_b,@function
_ZN9rocsparseL19gebsrmvn_4xn_kernelILj128ELj3ELj4E21rocsparse_complex_numIdEEEvi20rocsparse_direction_NS_24const_host_device_scalarIT2_EEPKiS8_PKS5_SA_S6_PS5_21rocsparse_index_base_b: ; @_ZN9rocsparseL19gebsrmvn_4xn_kernelILj128ELj3ELj4E21rocsparse_complex_numIdEEEvi20rocsparse_direction_NS_24const_host_device_scalarIT2_EEPKiS8_PKS5_SA_S6_PS5_21rocsparse_index_base_b
; %bb.0:
	s_load_b64 s[12:13], s[2:3], 0x50
	s_load_b64 s[16:17], s[0:1], 0x4
	s_load_b128 s[8:11], s[2:3], 0x8
	v_bfe_u32 v1, v0, 10, 10
	s_mov_b64 s[0:1], src_shared_base
	s_load_b128 s[4:7], s[2:3], 0x38
	v_and_b32_e32 v10, 0x3ff, v0
	v_bfe_u32 v0, v0, 20, 10
	s_waitcnt lgkmcnt(0)
	s_bitcmp1_b32 s13, 0
	v_mul_u32_u24_e32 v1, s17, v1
	s_cselect_b32 s0, -1, 0
	s_delay_alu instid0(SALU_CYCLE_1)
	s_and_b32 vcc_lo, s0, exec_lo
	s_cselect_b32 s13, s1, s9
	s_lshr_b32 s14, s16, 16
	v_dual_mov_b32 v2, s4 :: v_dual_mov_b32 v3, s5
	s_mul_i32 s14, s14, s17
	v_mov_b32_e32 v6, s13
	v_mad_u32_u24 v1, s14, v10, v1
	s_delay_alu instid0(VALU_DEP_1) | instskip(SKIP_1) | instid1(VALU_DEP_2)
	v_add_lshl_u32 v4, v1, v0, 3
	v_dual_mov_b32 v0, s8 :: v_dual_mov_b32 v1, s9
	v_add_nc_u32_e32 v5, 0x400, v4
	ds_store_2addr_stride64_b64 v4, v[2:3], v[0:1] offset1:2
	v_dual_mov_b32 v2, s10 :: v_dual_mov_b32 v3, s11
	v_cndmask_b32_e64 v5, s8, v5, s0
	s_xor_b32 s10, s0, -1
	flat_load_b64 v[0:1], v[5:6]
	s_cbranch_vccnz .LBB121_2
; %bb.1:
	v_dual_mov_b32 v2, s8 :: v_dual_mov_b32 v3, s9
	flat_load_b64 v[2:3], v[2:3] offset:8
.LBB121_2:
	s_and_b32 s8, s0, exec_lo
	s_cselect_b32 s1, s1, s5
	v_cndmask_b32_e64 v4, s4, v4, s0
	v_dual_mov_b32 v5, s1 :: v_dual_mov_b32 v6, s6
	v_mov_b32_e32 v7, s7
	s_and_not1_b32 vcc_lo, exec_lo, s10
	flat_load_b64 v[4:5], v[4:5]
	s_cbranch_vccnz .LBB121_4
; %bb.3:
	v_dual_mov_b32 v7, s5 :: v_dual_mov_b32 v6, s4
	flat_load_b64 v[6:7], v[6:7] offset:8
.LBB121_4:
	s_waitcnt vmcnt(1) lgkmcnt(1)
	v_cmp_eq_f64_e32 vcc_lo, 0, v[0:1]
	v_cmp_eq_f64_e64 s0, 0, v[2:3]
	s_delay_alu instid0(VALU_DEP_1)
	s_and_b32 s4, vcc_lo, s0
	s_mov_b32 s0, -1
	s_and_saveexec_b32 s1, s4
	s_cbranch_execz .LBB121_6
; %bb.5:
	s_waitcnt vmcnt(0) lgkmcnt(0)
	v_cmp_neq_f64_e32 vcc_lo, 1.0, v[4:5]
	v_cmp_neq_f64_e64 s0, 0, v[6:7]
	s_delay_alu instid0(VALU_DEP_1) | instskip(NEXT) | instid1(SALU_CYCLE_1)
	s_or_b32 s0, vcc_lo, s0
	s_or_not1_b32 s0, s0, exec_lo
.LBB121_6:
	s_or_b32 exec_lo, exec_lo, s1
	s_and_saveexec_b32 s1, s0
	s_cbranch_execz .LBB121_25
; %bb.7:
	s_load_b64 s[0:1], s[2:3], 0x0
	v_lshrrev_b32_e32 v8, 2, v10
	s_delay_alu instid0(VALU_DEP_1) | instskip(SKIP_1) | instid1(VALU_DEP_1)
	v_lshl_or_b32 v8, s15, 5, v8
	s_waitcnt lgkmcnt(0)
	v_cmp_gt_i32_e32 vcc_lo, s0, v8
	s_and_b32 exec_lo, exec_lo, vcc_lo
	s_cbranch_execz .LBB121_25
; %bb.8:
	s_load_b256 s[4:11], s[2:3], 0x18
	v_ashrrev_i32_e32 v9, 31, v8
	v_and_b32_e32 v41, 3, v10
	s_cmp_lg_u32 s1, 0
	s_delay_alu instid0(VALU_DEP_2) | instskip(SKIP_1) | instid1(VALU_DEP_1)
	v_lshlrev_b64 v[11:12], 2, v[8:9]
	s_waitcnt lgkmcnt(0)
	v_add_co_u32 v11, vcc_lo, s4, v11
	s_delay_alu instid0(VALU_DEP_2) | instskip(SKIP_4) | instid1(VALU_DEP_2)
	v_add_co_ci_u32_e32 v12, vcc_lo, s5, v12, vcc_lo
	global_load_b64 v[11:12], v[11:12], off
	s_waitcnt vmcnt(0)
	v_subrev_nc_u32_e32 v9, s12, v11
	v_subrev_nc_u32_e32 v31, s12, v12
	v_add_nc_u32_e32 v9, v9, v41
	s_delay_alu instid0(VALU_DEP_1)
	v_cmp_lt_i32_e64 s0, v9, v31
	s_cbranch_scc0 .LBB121_14
; %bb.9:
	v_mov_b32_e32 v11, 0
	v_mov_b32_e32 v12, 0
	s_delay_alu instid0(VALU_DEP_1)
	v_dual_mov_b32 v16, v12 :: v_dual_mov_b32 v15, v11
	v_dual_mov_b32 v14, v12 :: v_dual_mov_b32 v13, v11
	;; [unrolled: 1-line block ×7, first 2 shown]
	s_and_saveexec_b32 s1, s0
	s_cbranch_execz .LBB121_13
; %bb.10:
	v_dual_mov_b32 v11, 0 :: v_dual_mov_b32 v28, 0
	v_dual_mov_b32 v12, 0 :: v_dual_mov_b32 v29, v9
	v_mul_lo_u32 v27, v9, 12
	s_mov_b32 s4, 0
	s_delay_alu instid0(VALU_DEP_2)
	v_dual_mov_b32 v16, v12 :: v_dual_mov_b32 v15, v11
	v_dual_mov_b32 v14, v12 :: v_dual_mov_b32 v13, v11
	;; [unrolled: 1-line block ×7, first 2 shown]
.LBB121_11:                             ; =>This Inner Loop Header: Depth=1
	v_ashrrev_i32_e32 v30, 31, v29
	v_dual_mov_b32 v91, v28 :: v_dual_add_nc_u32 v54, 4, v27
	v_dual_mov_b32 v71, v28 :: v_dual_add_nc_u32 v74, 8, v27
	s_delay_alu instid0(VALU_DEP_3) | instskip(SKIP_1) | instid1(VALU_DEP_2)
	v_lshlrev_b64 v[32:33], 2, v[29:30]
	v_add_nc_u32_e32 v29, 4, v29
	v_add_co_u32 v32, vcc_lo, s6, v32
	s_delay_alu instid0(VALU_DEP_3) | instskip(SKIP_3) | instid1(VALU_DEP_2)
	v_add_co_ci_u32_e32 v33, vcc_lo, s7, v33, vcc_lo
	global_load_b32 v10, v[32:33], off
	v_lshlrev_b64 v[32:33], 4, v[27:28]
	v_add_nc_u32_e32 v27, 48, v27
	v_add_co_u32 v46, vcc_lo, s8, v32
	s_delay_alu instid0(VALU_DEP_3)
	v_add_co_ci_u32_e32 v47, vcc_lo, s9, v33, vcc_lo
	s_clause 0x3
	global_load_b128 v[32:35], v[46:47], off offset:48
	global_load_b128 v[36:39], v[46:47], off offset:32
	;; [unrolled: 1-line block ×3, first 2 shown]
	global_load_b128 v[46:49], v[46:47], off
	s_waitcnt vmcnt(4)
	v_subrev_nc_u32_e32 v10, s12, v10
	s_delay_alu instid0(VALU_DEP_1) | instskip(SKIP_2) | instid1(VALU_DEP_3)
	v_lshl_add_u32 v90, v10, 1, v10
	v_mov_b32_e32 v55, v28
	v_mov_b32_e32 v75, v28
	v_lshlrev_b64 v[50:51], 4, v[90:91]
	v_add_nc_u32_e32 v70, 1, v90
	v_add_nc_u32_e32 v90, 2, v90
	v_lshlrev_b64 v[54:55], 4, v[54:55]
	v_lshlrev_b64 v[74:75], 4, v[74:75]
	s_delay_alu instid0(VALU_DEP_4)
	v_lshlrev_b64 v[70:71], 4, v[70:71]
	v_add_co_u32 v50, vcc_lo, s10, v50
	v_add_co_ci_u32_e32 v51, vcc_lo, s11, v51, vcc_lo
	v_add_co_u32 v66, vcc_lo, s8, v54
	v_add_co_ci_u32_e32 v67, vcc_lo, s9, v55, vcc_lo
	global_load_b128 v[50:53], v[50:51], off
	v_add_co_u32 v70, vcc_lo, s10, v70
	v_add_co_ci_u32_e32 v71, vcc_lo, s11, v71, vcc_lo
	s_clause 0x3
	global_load_b128 v[54:57], v[66:67], off offset:48
	global_load_b128 v[58:61], v[66:67], off offset:32
	;; [unrolled: 1-line block ×3, first 2 shown]
	global_load_b128 v[66:69], v[66:67], off
	v_lshlrev_b64 v[90:91], 4, v[90:91]
	v_add_co_u32 v86, vcc_lo, s8, v74
	global_load_b128 v[70:73], v[70:71], off
	v_add_co_ci_u32_e32 v87, vcc_lo, s9, v75, vcc_lo
	v_add_co_u32 v90, vcc_lo, s10, v90
	v_add_co_ci_u32_e32 v91, vcc_lo, s11, v91, vcc_lo
	s_clause 0x3
	global_load_b128 v[74:77], v[86:87], off offset:48
	global_load_b128 v[78:81], v[86:87], off offset:32
	;; [unrolled: 1-line block ×3, first 2 shown]
	global_load_b128 v[86:89], v[86:87], off
	v_cmp_ge_i32_e32 vcc_lo, v29, v31
	global_load_b128 v[90:93], v[90:91], off
	s_or_b32 s4, vcc_lo, s4
	s_waitcnt vmcnt(10)
	v_fma_f64 v[15:16], v[46:47], v[50:51], v[15:16]
	v_fma_f64 v[10:11], v[48:49], v[50:51], v[11:12]
	v_fma_f64 v[23:24], v[42:43], v[50:51], v[23:24]
	v_fma_f64 v[25:26], v[44:45], v[50:51], v[25:26]
	v_fma_f64 v[19:20], v[36:37], v[50:51], v[19:20]
	v_fma_f64 v[21:22], v[38:39], v[50:51], v[21:22]
	v_fma_f64 v[12:13], v[32:33], v[50:51], v[13:14]
	v_fma_f64 v[17:18], v[34:35], v[50:51], v[17:18]
	v_fma_f64 v[14:15], -v[48:49], v[52:53], v[15:16]
	v_fma_f64 v[10:11], v[46:47], v[52:53], v[10:11]
	v_fma_f64 v[23:24], -v[44:45], v[52:53], v[23:24]
	v_fma_f64 v[25:26], v[42:43], v[52:53], v[25:26]
	v_fma_f64 v[19:20], -v[38:39], v[52:53], v[19:20]
	v_fma_f64 v[21:22], v[36:37], v[52:53], v[21:22]
	v_fma_f64 v[12:13], -v[34:35], v[52:53], v[12:13]
	v_fma_f64 v[16:17], v[32:33], v[52:53], v[17:18]
	s_waitcnt vmcnt(5)
	v_fma_f64 v[14:15], v[66:67], v[70:71], v[14:15]
	v_fma_f64 v[10:11], v[68:69], v[70:71], v[10:11]
	v_fma_f64 v[23:24], v[62:63], v[70:71], v[23:24]
	v_fma_f64 v[25:26], v[64:65], v[70:71], v[25:26]
	v_fma_f64 v[18:19], v[58:59], v[70:71], v[19:20]
	v_fma_f64 v[20:21], v[60:61], v[70:71], v[21:22]
	v_fma_f64 v[12:13], v[54:55], v[70:71], v[12:13]
	v_fma_f64 v[16:17], v[56:57], v[70:71], v[16:17]
	v_fma_f64 v[14:15], -v[68:69], v[72:73], v[14:15]
	v_fma_f64 v[10:11], v[66:67], v[72:73], v[10:11]
	v_fma_f64 v[22:23], -v[64:65], v[72:73], v[23:24]
	v_fma_f64 v[24:25], v[62:63], v[72:73], v[25:26]
	v_fma_f64 v[18:19], -v[60:61], v[72:73], v[18:19]
	v_fma_f64 v[20:21], v[58:59], v[72:73], v[20:21]
	v_fma_f64 v[12:13], -v[56:57], v[72:73], v[12:13]
	v_fma_f64 v[16:17], v[54:55], v[72:73], v[16:17]
	;; [unrolled: 17-line block ×3, first 2 shown]
	s_and_not1_b32 exec_lo, exec_lo, s4
	s_cbranch_execnz .LBB121_11
; %bb.12:
	s_or_b32 exec_lo, exec_lo, s4
.LBB121_13:
	s_delay_alu instid0(SALU_CYCLE_1)
	s_or_b32 exec_lo, exec_lo, s1
	s_cbranch_execz .LBB121_15
	s_branch .LBB121_20
.LBB121_14:
                                        ; implicit-def: $vgpr11_vgpr12
                                        ; implicit-def: $vgpr15_vgpr16
                                        ; implicit-def: $vgpr13_vgpr14
                                        ; implicit-def: $vgpr17_vgpr18
                                        ; implicit-def: $vgpr19_vgpr20
                                        ; implicit-def: $vgpr21_vgpr22
                                        ; implicit-def: $vgpr23_vgpr24
                                        ; implicit-def: $vgpr25_vgpr26
.LBB121_15:
	v_mov_b32_e32 v11, 0
	v_mov_b32_e32 v12, 0
	s_delay_alu instid0(VALU_DEP_1)
	v_dual_mov_b32 v16, v12 :: v_dual_mov_b32 v15, v11
	v_dual_mov_b32 v14, v12 :: v_dual_mov_b32 v13, v11
	;; [unrolled: 1-line block ×7, first 2 shown]
	s_and_saveexec_b32 s1, s0
	s_cbranch_execz .LBB121_19
; %bb.16:
	v_mov_b32_e32 v11, 0
	v_dual_mov_b32 v12, 0 :: v_dual_mov_b32 v29, 0
	v_mad_u64_u32 v[27:28], null, v9, 12, 11
	s_mov_b32 s0, 0
	s_delay_alu instid0(VALU_DEP_2)
	v_dual_mov_b32 v16, v12 :: v_dual_mov_b32 v15, v11
	v_dual_mov_b32 v14, v12 :: v_dual_mov_b32 v13, v11
	;; [unrolled: 1-line block ×7, first 2 shown]
.LBB121_17:                             ; =>This Inner Loop Header: Depth=1
	v_ashrrev_i32_e32 v10, 31, v9
	v_dual_mov_b32 v83, v29 :: v_dual_add_nc_u32 v28, -11, v27
	v_dual_mov_b32 v35, v29 :: v_dual_add_nc_u32 v34, -2, v27
	s_delay_alu instid0(VALU_DEP_3) | instskip(NEXT) | instid1(VALU_DEP_3)
	v_lshlrev_b64 v[32:33], 2, v[9:10]
	v_lshlrev_b64 v[36:37], 4, v[28:29]
	v_add_nc_u32_e32 v9, 4, v9
	s_delay_alu instid0(VALU_DEP_4) | instskip(NEXT) | instid1(VALU_DEP_4)
	v_lshlrev_b64 v[34:35], 4, v[34:35]
	v_add_co_u32 v32, vcc_lo, s6, v32
	v_add_co_ci_u32_e32 v33, vcc_lo, s7, v33, vcc_lo
	v_add_co_u32 v74, vcc_lo, s8, v36
	v_add_co_ci_u32_e32 v75, vcc_lo, s9, v37, vcc_lo
	global_load_b32 v10, v[32:33], off
	v_dual_mov_b32 v33, v29 :: v_dual_add_nc_u32 v32, -5, v27
	s_delay_alu instid0(VALU_DEP_1) | instskip(NEXT) | instid1(VALU_DEP_1)
	v_lshlrev_b64 v[32:33], 4, v[32:33]
	v_add_co_u32 v46, vcc_lo, s8, v32
	s_delay_alu instid0(VALU_DEP_2)
	v_add_co_ci_u32_e32 v47, vcc_lo, s9, v33, vcc_lo
	v_add_co_u32 v50, vcc_lo, s8, v34
	v_add_co_ci_u32_e32 v51, vcc_lo, s9, v35, vcc_lo
	s_clause 0x4
	global_load_b128 v[32:35], v[74:75], off offset:48
	global_load_b128 v[36:39], v[74:75], off offset:16
	global_load_b128 v[42:45], v[74:75], off
	global_load_b128 v[46:49], v[46:47], off
	;; [unrolled: 1-line block ×3, first 2 shown]
	s_waitcnt vmcnt(5)
	v_subrev_nc_u32_e32 v10, s12, v10
	s_delay_alu instid0(VALU_DEP_1) | instskip(NEXT) | instid1(VALU_DEP_1)
	v_lshl_add_u32 v82, v10, 1, v10
	v_lshlrev_b64 v[54:55], 4, v[82:83]
	v_add_nc_u32_e32 v28, 1, v82
	s_delay_alu instid0(VALU_DEP_2) | instskip(NEXT) | instid1(VALU_DEP_3)
	v_add_co_u32 v54, vcc_lo, s10, v54
	v_add_co_ci_u32_e32 v55, vcc_lo, s11, v55, vcc_lo
	s_delay_alu instid0(VALU_DEP_3)
	v_lshlrev_b64 v[58:59], 4, v[28:29]
	v_add_nc_u32_e32 v28, -7, v27
	global_load_b128 v[54:57], v[54:55], off
	v_lshlrev_b64 v[62:63], 4, v[28:29]
	v_add_nc_u32_e32 v28, -4, v27
	v_add_co_u32 v58, vcc_lo, s10, v58
	v_add_co_ci_u32_e32 v59, vcc_lo, s11, v59, vcc_lo
	s_delay_alu instid0(VALU_DEP_3)
	v_lshlrev_b64 v[64:65], 4, v[28:29]
	v_add_nc_u32_e32 v28, -1, v27
	v_add_co_u32 v62, vcc_lo, s8, v62
	global_load_b128 v[58:61], v[58:59], off
	v_add_co_ci_u32_e32 v63, vcc_lo, s9, v63, vcc_lo
	v_lshlrev_b64 v[66:67], 4, v[28:29]
	v_add_co_u32 v68, vcc_lo, s8, v64
	v_add_co_ci_u32_e32 v69, vcc_lo, s9, v65, vcc_lo
	v_mov_b32_e32 v28, v29
	s_delay_alu instid0(VALU_DEP_4)
	v_add_co_u32 v70, vcc_lo, s8, v66
	v_add_co_ci_u32_e32 v71, vcc_lo, s9, v67, vcc_lo
	s_clause 0x2
	global_load_b128 v[62:65], v[62:63], off
	global_load_b128 v[66:69], v[68:69], off
	;; [unrolled: 1-line block ×3, first 2 shown]
	v_lshlrev_b64 v[76:77], 4, v[27:28]
	v_add_nc_u32_e32 v28, 2, v82
	s_delay_alu instid0(VALU_DEP_1) | instskip(SKIP_1) | instid1(VALU_DEP_4)
	v_lshlrev_b64 v[82:83], 4, v[28:29]
	v_add_nc_u32_e32 v28, -6, v27
	v_add_co_u32 v78, vcc_lo, s8, v76
	v_add_co_ci_u32_e32 v79, vcc_lo, s9, v77, vcc_lo
	s_delay_alu instid0(VALU_DEP_3) | instskip(SKIP_3) | instid1(VALU_DEP_3)
	v_lshlrev_b64 v[86:87], 4, v[28:29]
	v_add_nc_u32_e32 v28, -3, v27
	v_add_co_u32 v82, vcc_lo, s10, v82
	v_add_co_ci_u32_e32 v83, vcc_lo, s11, v83, vcc_lo
	v_lshlrev_b64 v[88:89], 4, v[28:29]
	v_add_co_u32 v86, vcc_lo, s8, v86
	v_add_co_ci_u32_e32 v87, vcc_lo, s9, v87, vcc_lo
	s_clause 0x1
	global_load_b128 v[74:77], v[74:75], off offset:32
	global_load_b128 v[78:81], v[78:79], off
	v_add_co_u32 v90, vcc_lo, s8, v88
	v_add_co_ci_u32_e32 v91, vcc_lo, s9, v89, vcc_lo
	global_load_b128 v[82:85], v[82:83], off
	s_clause 0x1
	global_load_b128 v[86:89], v[86:87], off
	global_load_b128 v[90:93], v[90:91], off
	v_cmp_ge_i32_e32 vcc_lo, v9, v31
	v_add_nc_u32_e32 v27, 48, v27
	s_or_b32 s0, vcc_lo, s0
	s_waitcnt vmcnt(9)
	v_fma_f64 v[15:16], v[42:43], v[54:55], v[15:16]
	v_fma_f64 v[10:11], v[44:45], v[54:55], v[11:12]
	;; [unrolled: 1-line block ×8, first 2 shown]
	v_fma_f64 v[14:15], -v[44:45], v[56:57], v[15:16]
	v_fma_f64 v[10:11], v[42:43], v[56:57], v[10:11]
	v_fma_f64 v[23:24], -v[34:35], v[56:57], v[23:24]
	v_fma_f64 v[25:26], v[32:33], v[56:57], v[25:26]
	;; [unrolled: 2-line block ×4, first 2 shown]
	s_waitcnt vmcnt(8)
	v_fma_f64 v[14:15], v[36:37], v[58:59], v[14:15]
	v_fma_f64 v[10:11], v[38:39], v[58:59], v[10:11]
	s_waitcnt vmcnt(7)
	v_fma_f64 v[23:24], v[62:63], v[58:59], v[23:24]
	v_fma_f64 v[25:26], v[64:65], v[58:59], v[25:26]
	;; [unrolled: 3-line block ×4, first 2 shown]
	v_fma_f64 v[14:15], -v[38:39], v[60:61], v[14:15]
	v_fma_f64 v[10:11], v[36:37], v[60:61], v[10:11]
	v_fma_f64 v[22:23], -v[64:65], v[60:61], v[23:24]
	v_fma_f64 v[24:25], v[62:63], v[60:61], v[25:26]
	;; [unrolled: 2-line block ×4, first 2 shown]
	s_waitcnt vmcnt(2)
	v_fma_f64 v[14:15], v[74:75], v[82:83], v[14:15]
	v_fma_f64 v[10:11], v[76:77], v[82:83], v[10:11]
	s_waitcnt vmcnt(1)
	v_fma_f64 v[22:23], v[86:87], v[82:83], v[22:23]
	v_fma_f64 v[25:26], v[88:89], v[82:83], v[24:25]
	;; [unrolled: 3-line block ×3, first 2 shown]
	v_fma_f64 v[34:35], v[78:79], v[82:83], v[12:13]
	v_fma_f64 v[36:37], v[80:81], v[82:83], v[16:17]
	v_fma_f64 v[15:16], -v[76:77], v[84:85], v[14:15]
	v_fma_f64 v[11:12], v[74:75], v[84:85], v[10:11]
	v_fma_f64 v[23:24], -v[88:89], v[84:85], v[22:23]
	;; [unrolled: 2-line block ×4, first 2 shown]
	v_fma_f64 v[17:18], v[78:79], v[84:85], v[36:37]
	s_and_not1_b32 exec_lo, exec_lo, s0
	s_cbranch_execnz .LBB121_17
; %bb.18:
	s_or_b32 exec_lo, exec_lo, s0
.LBB121_19:
	s_delay_alu instid0(SALU_CYCLE_1)
	s_or_b32 exec_lo, exec_lo, s1
.LBB121_20:
	v_mbcnt_lo_u32_b32 v44, -1, 0
	s_delay_alu instid0(VALU_DEP_1) | instskip(NEXT) | instid1(VALU_DEP_1)
	v_xor_b32_e32 v9, 2, v44
	v_cmp_gt_i32_e32 vcc_lo, 32, v9
	v_cndmask_b32_e32 v9, v44, v9, vcc_lo
	s_delay_alu instid0(VALU_DEP_1)
	v_lshlrev_b32_e32 v29, 2, v9
	ds_bpermute_b32 v9, v29, v15
	ds_bpermute_b32 v10, v29, v16
	;; [unrolled: 1-line block ×16, first 2 shown]
	s_waitcnt lgkmcnt(14)
	v_add_f64 v[9:10], v[15:16], v[9:10]
	s_waitcnt lgkmcnt(12)
	v_add_f64 v[29:30], v[11:12], v[27:28]
	;; [unrolled: 2-line block ×7, first 2 shown]
	v_xor_b32_e32 v13, 1, v44
	s_waitcnt lgkmcnt(0)
	v_add_f64 v[17:18], v[17:18], v[42:43]
	s_delay_alu instid0(VALU_DEP_2) | instskip(SKIP_2) | instid1(VALU_DEP_2)
	v_cmp_gt_i32_e32 vcc_lo, 32, v13
	v_cndmask_b32_e32 v13, v44, v13, vcc_lo
	v_cmp_eq_u32_e32 vcc_lo, 3, v41
	v_lshlrev_b32_e32 v34, 2, v13
	ds_bpermute_b32 v39, v34, v9
	ds_bpermute_b32 v40, v34, v10
	;; [unrolled: 1-line block ×16, first 2 shown]
	s_and_b32 exec_lo, exec_lo, vcc_lo
	s_cbranch_execz .LBB121_25
; %bb.21:
	v_cmp_eq_f64_e32 vcc_lo, 0, v[4:5]
	v_cmp_eq_f64_e64 s0, 0, v[6:7]
	s_waitcnt lgkmcnt(14)
	v_add_f64 v[9:10], v[9:10], v[39:40]
	s_waitcnt lgkmcnt(12)
	v_add_f64 v[23:24], v[29:30], v[23:24]
	;; [unrolled: 2-line block ×8, first 2 shown]
	s_load_b64 s[2:3], s[2:3], 0x48
	s_and_b32 s0, vcc_lo, s0
	s_delay_alu instid0(SALU_CYCLE_1) | instskip(NEXT) | instid1(SALU_CYCLE_1)
	s_and_saveexec_b32 s1, s0
	s_xor_b32 s0, exec_lo, s1
	s_cbranch_execz .LBB121_23
; %bb.22:
	v_mul_f64 v[4:5], v[23:24], -v[2:3]
	v_mul_f64 v[6:7], v[0:1], v[23:24]
	v_mul_f64 v[23:24], v[21:22], -v[2:3]
	v_mul_f64 v[21:22], v[0:1], v[21:22]
	;; [unrolled: 2-line block ×4, first 2 shown]
	v_fma_f64 v[4:5], v[0:1], v[9:10], v[4:5]
	v_fma_f64 v[6:7], v[2:3], v[9:10], v[6:7]
	;; [unrolled: 1-line block ×8, first 2 shown]
	v_lshlrev_b32_e32 v13, 2, v8
                                        ; implicit-def: $vgpr8
                                        ; implicit-def: $vgpr23_vgpr24
                                        ; implicit-def: $vgpr21_vgpr22
                                        ; implicit-def: $vgpr15_vgpr16
	s_delay_alu instid0(VALU_DEP_1) | instskip(NEXT) | instid1(VALU_DEP_1)
	v_ashrrev_i32_e32 v14, 31, v13
	v_lshlrev_b64 v[13:14], 4, v[13:14]
	s_waitcnt lgkmcnt(0)
	s_delay_alu instid0(VALU_DEP_1) | instskip(NEXT) | instid1(VALU_DEP_2)
	v_add_co_u32 v13, vcc_lo, s2, v13
	v_add_co_ci_u32_e32 v14, vcc_lo, s3, v14, vcc_lo
	s_clause 0x3
	global_store_b128 v[13:14], v[4:7], off
	global_store_b128 v[13:14], v[9:12], off offset:16
	global_store_b128 v[13:14], v[17:20], off offset:32
	;; [unrolled: 1-line block ×3, first 2 shown]
                                        ; implicit-def: $vgpr0_vgpr1
                                        ; implicit-def: $vgpr2_vgpr3
                                        ; implicit-def: $vgpr4_vgpr5
                                        ; implicit-def: $vgpr6_vgpr7
                                        ; implicit-def: $vgpr9_vgpr10
                                        ; implicit-def: $vgpr11_vgpr12
                                        ; implicit-def: $vgpr13_vgpr14
                                        ; implicit-def: $vgpr19_vgpr20
                                        ; implicit-def: $vgpr17_vgpr18
.LBB121_23:
	s_and_not1_saveexec_b32 s0, s0
	s_cbranch_execz .LBB121_25
; %bb.24:
	v_lshlrev_b32_e32 v25, 2, v8
	v_mul_f64 v[43:44], v[23:24], -v[2:3]
	v_mul_f64 v[23:24], v[0:1], v[23:24]
	v_mul_f64 v[45:46], v[21:22], -v[2:3]
	v_mul_f64 v[21:22], v[0:1], v[21:22]
	v_ashrrev_i32_e32 v26, 31, v25
	v_mul_f64 v[47:48], v[19:20], -v[2:3]
	v_mul_f64 v[19:20], v[0:1], v[19:20]
	v_mul_f64 v[49:50], v[17:18], -v[2:3]
	v_mul_f64 v[17:18], v[0:1], v[17:18]
	v_lshlrev_b64 v[25:26], 4, v[25:26]
	s_waitcnt lgkmcnt(0)
	s_delay_alu instid0(VALU_DEP_1) | instskip(NEXT) | instid1(VALU_DEP_2)
	v_add_co_u32 v41, vcc_lo, s2, v25
	v_add_co_ci_u32_e32 v42, vcc_lo, s3, v26, vcc_lo
	s_clause 0x3
	global_load_b128 v[25:28], v[41:42], off
	global_load_b128 v[29:32], v[41:42], off offset:16
	global_load_b128 v[33:36], v[41:42], off offset:32
	;; [unrolled: 1-line block ×3, first 2 shown]
	v_fma_f64 v[43:44], v[0:1], v[9:10], v[43:44]
	v_fma_f64 v[8:9], v[2:3], v[9:10], v[23:24]
	;; [unrolled: 1-line block ×8, first 2 shown]
	s_waitcnt vmcnt(3)
	v_fma_f64 v[14:15], v[4:5], v[25:26], v[43:44]
	v_fma_f64 v[8:9], v[6:7], v[25:26], v[8:9]
	s_waitcnt vmcnt(2)
	v_fma_f64 v[16:17], v[4:5], v[29:30], v[23:24]
	v_fma_f64 v[10:11], v[6:7], v[29:30], v[10:11]
	;; [unrolled: 3-line block ×4, first 2 shown]
	v_fma_f64 v[0:1], -v[6:7], v[27:28], v[14:15]
	v_fma_f64 v[2:3], v[4:5], v[27:28], v[8:9]
	v_fma_f64 v[8:9], -v[6:7], v[31:32], v[16:17]
	v_fma_f64 v[10:11], v[4:5], v[31:32], v[10:11]
	;; [unrolled: 2-line block ×4, first 2 shown]
	s_clause 0x3
	global_store_b128 v[41:42], v[0:3], off
	global_store_b128 v[41:42], v[8:11], off offset:16
	global_store_b128 v[41:42], v[12:15], off offset:32
	;; [unrolled: 1-line block ×3, first 2 shown]
.LBB121_25:
	s_nop 0
	s_sendmsg sendmsg(MSG_DEALLOC_VGPRS)
	s_endpgm
	.section	.rodata,"a",@progbits
	.p2align	6, 0x0
	.amdhsa_kernel _ZN9rocsparseL19gebsrmvn_4xn_kernelILj128ELj3ELj4E21rocsparse_complex_numIdEEEvi20rocsparse_direction_NS_24const_host_device_scalarIT2_EEPKiS8_PKS5_SA_S6_PS5_21rocsparse_index_base_b
		.amdhsa_group_segment_fixed_size 2048
		.amdhsa_private_segment_fixed_size 0
		.amdhsa_kernarg_size 88
		.amdhsa_user_sgpr_count 15
		.amdhsa_user_sgpr_dispatch_ptr 1
		.amdhsa_user_sgpr_queue_ptr 0
		.amdhsa_user_sgpr_kernarg_segment_ptr 1
		.amdhsa_user_sgpr_dispatch_id 0
		.amdhsa_user_sgpr_private_segment_size 0
		.amdhsa_wavefront_size32 1
		.amdhsa_uses_dynamic_stack 0
		.amdhsa_enable_private_segment 0
		.amdhsa_system_sgpr_workgroup_id_x 1
		.amdhsa_system_sgpr_workgroup_id_y 0
		.amdhsa_system_sgpr_workgroup_id_z 0
		.amdhsa_system_sgpr_workgroup_info 0
		.amdhsa_system_vgpr_workitem_id 2
		.amdhsa_next_free_vgpr 94
		.amdhsa_next_free_sgpr 18
		.amdhsa_reserve_vcc 1
		.amdhsa_float_round_mode_32 0
		.amdhsa_float_round_mode_16_64 0
		.amdhsa_float_denorm_mode_32 3
		.amdhsa_float_denorm_mode_16_64 3
		.amdhsa_dx10_clamp 1
		.amdhsa_ieee_mode 1
		.amdhsa_fp16_overflow 0
		.amdhsa_workgroup_processor_mode 1
		.amdhsa_memory_ordered 1
		.amdhsa_forward_progress 0
		.amdhsa_shared_vgpr_count 0
		.amdhsa_exception_fp_ieee_invalid_op 0
		.amdhsa_exception_fp_denorm_src 0
		.amdhsa_exception_fp_ieee_div_zero 0
		.amdhsa_exception_fp_ieee_overflow 0
		.amdhsa_exception_fp_ieee_underflow 0
		.amdhsa_exception_fp_ieee_inexact 0
		.amdhsa_exception_int_div_zero 0
	.end_amdhsa_kernel
	.section	.text._ZN9rocsparseL19gebsrmvn_4xn_kernelILj128ELj3ELj4E21rocsparse_complex_numIdEEEvi20rocsparse_direction_NS_24const_host_device_scalarIT2_EEPKiS8_PKS5_SA_S6_PS5_21rocsparse_index_base_b,"axG",@progbits,_ZN9rocsparseL19gebsrmvn_4xn_kernelILj128ELj3ELj4E21rocsparse_complex_numIdEEEvi20rocsparse_direction_NS_24const_host_device_scalarIT2_EEPKiS8_PKS5_SA_S6_PS5_21rocsparse_index_base_b,comdat
.Lfunc_end121:
	.size	_ZN9rocsparseL19gebsrmvn_4xn_kernelILj128ELj3ELj4E21rocsparse_complex_numIdEEEvi20rocsparse_direction_NS_24const_host_device_scalarIT2_EEPKiS8_PKS5_SA_S6_PS5_21rocsparse_index_base_b, .Lfunc_end121-_ZN9rocsparseL19gebsrmvn_4xn_kernelILj128ELj3ELj4E21rocsparse_complex_numIdEEEvi20rocsparse_direction_NS_24const_host_device_scalarIT2_EEPKiS8_PKS5_SA_S6_PS5_21rocsparse_index_base_b
                                        ; -- End function
	.section	.AMDGPU.csdata,"",@progbits
; Kernel info:
; codeLenInByte = 3716
; NumSgprs: 20
; NumVgprs: 94
; ScratchSize: 0
; MemoryBound: 0
; FloatMode: 240
; IeeeMode: 1
; LDSByteSize: 2048 bytes/workgroup (compile time only)
; SGPRBlocks: 2
; VGPRBlocks: 11
; NumSGPRsForWavesPerEU: 20
; NumVGPRsForWavesPerEU: 94
; Occupancy: 16
; WaveLimiterHint : 1
; COMPUTE_PGM_RSRC2:SCRATCH_EN: 0
; COMPUTE_PGM_RSRC2:USER_SGPR: 15
; COMPUTE_PGM_RSRC2:TRAP_HANDLER: 0
; COMPUTE_PGM_RSRC2:TGID_X_EN: 1
; COMPUTE_PGM_RSRC2:TGID_Y_EN: 0
; COMPUTE_PGM_RSRC2:TGID_Z_EN: 0
; COMPUTE_PGM_RSRC2:TIDIG_COMP_CNT: 2
	.section	.text._ZN9rocsparseL19gebsrmvn_4xn_kernelILj128ELj3ELj8E21rocsparse_complex_numIdEEEvi20rocsparse_direction_NS_24const_host_device_scalarIT2_EEPKiS8_PKS5_SA_S6_PS5_21rocsparse_index_base_b,"axG",@progbits,_ZN9rocsparseL19gebsrmvn_4xn_kernelILj128ELj3ELj8E21rocsparse_complex_numIdEEEvi20rocsparse_direction_NS_24const_host_device_scalarIT2_EEPKiS8_PKS5_SA_S6_PS5_21rocsparse_index_base_b,comdat
	.globl	_ZN9rocsparseL19gebsrmvn_4xn_kernelILj128ELj3ELj8E21rocsparse_complex_numIdEEEvi20rocsparse_direction_NS_24const_host_device_scalarIT2_EEPKiS8_PKS5_SA_S6_PS5_21rocsparse_index_base_b ; -- Begin function _ZN9rocsparseL19gebsrmvn_4xn_kernelILj128ELj3ELj8E21rocsparse_complex_numIdEEEvi20rocsparse_direction_NS_24const_host_device_scalarIT2_EEPKiS8_PKS5_SA_S6_PS5_21rocsparse_index_base_b
	.p2align	8
	.type	_ZN9rocsparseL19gebsrmvn_4xn_kernelILj128ELj3ELj8E21rocsparse_complex_numIdEEEvi20rocsparse_direction_NS_24const_host_device_scalarIT2_EEPKiS8_PKS5_SA_S6_PS5_21rocsparse_index_base_b,@function
_ZN9rocsparseL19gebsrmvn_4xn_kernelILj128ELj3ELj8E21rocsparse_complex_numIdEEEvi20rocsparse_direction_NS_24const_host_device_scalarIT2_EEPKiS8_PKS5_SA_S6_PS5_21rocsparse_index_base_b: ; @_ZN9rocsparseL19gebsrmvn_4xn_kernelILj128ELj3ELj8E21rocsparse_complex_numIdEEEvi20rocsparse_direction_NS_24const_host_device_scalarIT2_EEPKiS8_PKS5_SA_S6_PS5_21rocsparse_index_base_b
; %bb.0:
	s_load_b64 s[12:13], s[2:3], 0x50
	s_load_b64 s[16:17], s[0:1], 0x4
	s_load_b128 s[8:11], s[2:3], 0x8
	v_bfe_u32 v1, v0, 10, 10
	s_mov_b64 s[0:1], src_shared_base
	s_load_b128 s[4:7], s[2:3], 0x38
	v_and_b32_e32 v10, 0x3ff, v0
	v_bfe_u32 v0, v0, 20, 10
	s_waitcnt lgkmcnt(0)
	s_bitcmp1_b32 s13, 0
	v_mul_u32_u24_e32 v1, s17, v1
	s_cselect_b32 s0, -1, 0
	s_delay_alu instid0(SALU_CYCLE_1)
	s_and_b32 vcc_lo, s0, exec_lo
	s_cselect_b32 s13, s1, s9
	s_lshr_b32 s14, s16, 16
	v_dual_mov_b32 v2, s4 :: v_dual_mov_b32 v3, s5
	s_mul_i32 s14, s14, s17
	v_mov_b32_e32 v6, s13
	v_mad_u32_u24 v1, s14, v10, v1
	s_delay_alu instid0(VALU_DEP_1) | instskip(SKIP_1) | instid1(VALU_DEP_2)
	v_add_lshl_u32 v4, v1, v0, 3
	v_dual_mov_b32 v0, s8 :: v_dual_mov_b32 v1, s9
	v_add_nc_u32_e32 v5, 0x400, v4
	ds_store_2addr_stride64_b64 v4, v[2:3], v[0:1] offset1:2
	v_dual_mov_b32 v2, s10 :: v_dual_mov_b32 v3, s11
	v_cndmask_b32_e64 v5, s8, v5, s0
	s_xor_b32 s10, s0, -1
	flat_load_b64 v[0:1], v[5:6]
	s_cbranch_vccnz .LBB122_2
; %bb.1:
	v_dual_mov_b32 v2, s8 :: v_dual_mov_b32 v3, s9
	flat_load_b64 v[2:3], v[2:3] offset:8
.LBB122_2:
	s_and_b32 s8, s0, exec_lo
	s_cselect_b32 s1, s1, s5
	v_cndmask_b32_e64 v4, s4, v4, s0
	v_dual_mov_b32 v5, s1 :: v_dual_mov_b32 v6, s6
	v_mov_b32_e32 v7, s7
	s_and_not1_b32 vcc_lo, exec_lo, s10
	flat_load_b64 v[4:5], v[4:5]
	s_cbranch_vccnz .LBB122_4
; %bb.3:
	v_dual_mov_b32 v7, s5 :: v_dual_mov_b32 v6, s4
	flat_load_b64 v[6:7], v[6:7] offset:8
.LBB122_4:
	s_waitcnt vmcnt(1) lgkmcnt(1)
	v_cmp_eq_f64_e32 vcc_lo, 0, v[0:1]
	v_cmp_eq_f64_e64 s0, 0, v[2:3]
	s_delay_alu instid0(VALU_DEP_1)
	s_and_b32 s4, vcc_lo, s0
	s_mov_b32 s0, -1
	s_and_saveexec_b32 s1, s4
	s_cbranch_execz .LBB122_6
; %bb.5:
	s_waitcnt vmcnt(0) lgkmcnt(0)
	v_cmp_neq_f64_e32 vcc_lo, 1.0, v[4:5]
	v_cmp_neq_f64_e64 s0, 0, v[6:7]
	s_delay_alu instid0(VALU_DEP_1) | instskip(NEXT) | instid1(SALU_CYCLE_1)
	s_or_b32 s0, vcc_lo, s0
	s_or_not1_b32 s0, s0, exec_lo
.LBB122_6:
	s_or_b32 exec_lo, exec_lo, s1
	s_and_saveexec_b32 s1, s0
	s_cbranch_execz .LBB122_25
; %bb.7:
	s_load_b64 s[0:1], s[2:3], 0x0
	v_lshrrev_b32_e32 v8, 3, v10
	s_delay_alu instid0(VALU_DEP_1) | instskip(SKIP_1) | instid1(VALU_DEP_1)
	v_lshl_or_b32 v8, s15, 4, v8
	s_waitcnt lgkmcnt(0)
	v_cmp_gt_i32_e32 vcc_lo, s0, v8
	s_and_b32 exec_lo, exec_lo, vcc_lo
	s_cbranch_execz .LBB122_25
; %bb.8:
	s_load_b256 s[4:11], s[2:3], 0x18
	v_ashrrev_i32_e32 v9, 31, v8
	v_and_b32_e32 v41, 7, v10
	s_cmp_lg_u32 s1, 0
	s_delay_alu instid0(VALU_DEP_2) | instskip(SKIP_1) | instid1(VALU_DEP_1)
	v_lshlrev_b64 v[11:12], 2, v[8:9]
	s_waitcnt lgkmcnt(0)
	v_add_co_u32 v11, vcc_lo, s4, v11
	s_delay_alu instid0(VALU_DEP_2) | instskip(SKIP_4) | instid1(VALU_DEP_2)
	v_add_co_ci_u32_e32 v12, vcc_lo, s5, v12, vcc_lo
	global_load_b64 v[11:12], v[11:12], off
	s_waitcnt vmcnt(0)
	v_subrev_nc_u32_e32 v9, s12, v11
	v_subrev_nc_u32_e32 v31, s12, v12
	v_add_nc_u32_e32 v13, v9, v41
	s_delay_alu instid0(VALU_DEP_1)
	v_cmp_lt_i32_e64 s0, v13, v31
	s_cbranch_scc0 .LBB122_14
; %bb.9:
	v_mov_b32_e32 v9, 0
	v_mov_b32_e32 v10, 0
	s_delay_alu instid0(VALU_DEP_1)
	v_dual_mov_b32 v16, v10 :: v_dual_mov_b32 v15, v9
	v_dual_mov_b32 v12, v10 :: v_dual_mov_b32 v11, v9
	;; [unrolled: 1-line block ×7, first 2 shown]
	s_and_saveexec_b32 s1, s0
	s_cbranch_execz .LBB122_13
; %bb.10:
	v_dual_mov_b32 v9, 0 :: v_dual_mov_b32 v28, 0
	v_dual_mov_b32 v10, 0 :: v_dual_mov_b32 v29, v13
	v_mul_lo_u32 v27, v13, 12
	s_mov_b32 s4, 0
	s_delay_alu instid0(VALU_DEP_2)
	v_dual_mov_b32 v16, v10 :: v_dual_mov_b32 v15, v9
	v_dual_mov_b32 v12, v10 :: v_dual_mov_b32 v11, v9
	;; [unrolled: 1-line block ×7, first 2 shown]
.LBB122_11:                             ; =>This Inner Loop Header: Depth=1
	v_ashrrev_i32_e32 v30, 31, v29
	v_dual_mov_b32 v91, v28 :: v_dual_add_nc_u32 v54, 4, v27
	v_dual_mov_b32 v71, v28 :: v_dual_add_nc_u32 v74, 8, v27
	s_delay_alu instid0(VALU_DEP_3) | instskip(SKIP_1) | instid1(VALU_DEP_2)
	v_lshlrev_b64 v[32:33], 2, v[29:30]
	v_add_nc_u32_e32 v29, 8, v29
	v_add_co_u32 v32, vcc_lo, s6, v32
	s_delay_alu instid0(VALU_DEP_3) | instskip(SKIP_3) | instid1(VALU_DEP_2)
	v_add_co_ci_u32_e32 v33, vcc_lo, s7, v33, vcc_lo
	global_load_b32 v14, v[32:33], off
	v_lshlrev_b64 v[32:33], 4, v[27:28]
	v_add_nc_u32_e32 v27, 0x60, v27
	v_add_co_u32 v46, vcc_lo, s8, v32
	s_delay_alu instid0(VALU_DEP_3)
	v_add_co_ci_u32_e32 v47, vcc_lo, s9, v33, vcc_lo
	s_clause 0x3
	global_load_b128 v[32:35], v[46:47], off offset:48
	global_load_b128 v[36:39], v[46:47], off offset:32
	;; [unrolled: 1-line block ×3, first 2 shown]
	global_load_b128 v[46:49], v[46:47], off
	s_waitcnt vmcnt(4)
	v_subrev_nc_u32_e32 v14, s12, v14
	s_delay_alu instid0(VALU_DEP_1) | instskip(SKIP_2) | instid1(VALU_DEP_3)
	v_lshl_add_u32 v90, v14, 1, v14
	v_mov_b32_e32 v55, v28
	v_mov_b32_e32 v75, v28
	v_lshlrev_b64 v[50:51], 4, v[90:91]
	v_add_nc_u32_e32 v70, 1, v90
	v_add_nc_u32_e32 v90, 2, v90
	v_lshlrev_b64 v[54:55], 4, v[54:55]
	v_lshlrev_b64 v[74:75], 4, v[74:75]
	s_delay_alu instid0(VALU_DEP_4)
	v_lshlrev_b64 v[70:71], 4, v[70:71]
	v_add_co_u32 v50, vcc_lo, s10, v50
	v_add_co_ci_u32_e32 v51, vcc_lo, s11, v51, vcc_lo
	v_add_co_u32 v66, vcc_lo, s8, v54
	v_add_co_ci_u32_e32 v67, vcc_lo, s9, v55, vcc_lo
	global_load_b128 v[50:53], v[50:51], off
	v_add_co_u32 v70, vcc_lo, s10, v70
	v_add_co_ci_u32_e32 v71, vcc_lo, s11, v71, vcc_lo
	s_clause 0x3
	global_load_b128 v[54:57], v[66:67], off offset:48
	global_load_b128 v[58:61], v[66:67], off offset:32
	;; [unrolled: 1-line block ×3, first 2 shown]
	global_load_b128 v[66:69], v[66:67], off
	v_lshlrev_b64 v[90:91], 4, v[90:91]
	v_add_co_u32 v86, vcc_lo, s8, v74
	global_load_b128 v[70:73], v[70:71], off
	v_add_co_ci_u32_e32 v87, vcc_lo, s9, v75, vcc_lo
	v_add_co_u32 v90, vcc_lo, s10, v90
	v_add_co_ci_u32_e32 v91, vcc_lo, s11, v91, vcc_lo
	s_clause 0x3
	global_load_b128 v[74:77], v[86:87], off offset:48
	global_load_b128 v[78:81], v[86:87], off offset:32
	;; [unrolled: 1-line block ×3, first 2 shown]
	global_load_b128 v[86:89], v[86:87], off
	v_cmp_ge_i32_e32 vcc_lo, v29, v31
	global_load_b128 v[90:93], v[90:91], off
	s_or_b32 s4, vcc_lo, s4
	s_waitcnt vmcnt(10)
	v_fma_f64 v[14:15], v[46:47], v[50:51], v[15:16]
	v_fma_f64 v[9:10], v[48:49], v[50:51], v[9:10]
	v_fma_f64 v[23:24], v[42:43], v[50:51], v[23:24]
	v_fma_f64 v[25:26], v[44:45], v[50:51], v[25:26]
	v_fma_f64 v[19:20], v[36:37], v[50:51], v[19:20]
	v_fma_f64 v[21:22], v[38:39], v[50:51], v[21:22]
	v_fma_f64 v[11:12], v[32:33], v[50:51], v[11:12]
	v_fma_f64 v[16:17], v[34:35], v[50:51], v[17:18]
	v_fma_f64 v[14:15], -v[48:49], v[52:53], v[14:15]
	v_fma_f64 v[9:10], v[46:47], v[52:53], v[9:10]
	v_fma_f64 v[23:24], -v[44:45], v[52:53], v[23:24]
	v_fma_f64 v[25:26], v[42:43], v[52:53], v[25:26]
	v_fma_f64 v[18:19], -v[38:39], v[52:53], v[19:20]
	v_fma_f64 v[20:21], v[36:37], v[52:53], v[21:22]
	v_fma_f64 v[11:12], -v[34:35], v[52:53], v[11:12]
	v_fma_f64 v[16:17], v[32:33], v[52:53], v[16:17]
	s_waitcnt vmcnt(5)
	v_fma_f64 v[14:15], v[66:67], v[70:71], v[14:15]
	v_fma_f64 v[9:10], v[68:69], v[70:71], v[9:10]
	v_fma_f64 v[22:23], v[62:63], v[70:71], v[23:24]
	v_fma_f64 v[24:25], v[64:65], v[70:71], v[25:26]
	v_fma_f64 v[18:19], v[58:59], v[70:71], v[18:19]
	v_fma_f64 v[20:21], v[60:61], v[70:71], v[20:21]
	v_fma_f64 v[11:12], v[54:55], v[70:71], v[11:12]
	v_fma_f64 v[16:17], v[56:57], v[70:71], v[16:17]
	v_fma_f64 v[14:15], -v[68:69], v[72:73], v[14:15]
	v_fma_f64 v[9:10], v[66:67], v[72:73], v[9:10]
	v_fma_f64 v[22:23], -v[64:65], v[72:73], v[22:23]
	v_fma_f64 v[24:25], v[62:63], v[72:73], v[24:25]
	v_fma_f64 v[18:19], -v[60:61], v[72:73], v[18:19]
	v_fma_f64 v[20:21], v[58:59], v[72:73], v[20:21]
	v_fma_f64 v[11:12], -v[56:57], v[72:73], v[11:12]
	v_fma_f64 v[16:17], v[54:55], v[72:73], v[16:17]
	;; [unrolled: 17-line block ×3, first 2 shown]
	s_and_not1_b32 exec_lo, exec_lo, s4
	s_cbranch_execnz .LBB122_11
; %bb.12:
	s_or_b32 exec_lo, exec_lo, s4
.LBB122_13:
	s_delay_alu instid0(SALU_CYCLE_1)
	s_or_b32 exec_lo, exec_lo, s1
	s_cbranch_execz .LBB122_15
	s_branch .LBB122_20
.LBB122_14:
                                        ; implicit-def: $vgpr9_vgpr10
                                        ; implicit-def: $vgpr15_vgpr16
                                        ; implicit-def: $vgpr11_vgpr12
                                        ; implicit-def: $vgpr17_vgpr18
                                        ; implicit-def: $vgpr19_vgpr20
                                        ; implicit-def: $vgpr21_vgpr22
                                        ; implicit-def: $vgpr23_vgpr24
                                        ; implicit-def: $vgpr25_vgpr26
.LBB122_15:
	v_mov_b32_e32 v9, 0
	v_mov_b32_e32 v10, 0
	s_delay_alu instid0(VALU_DEP_1)
	v_dual_mov_b32 v16, v10 :: v_dual_mov_b32 v15, v9
	v_dual_mov_b32 v12, v10 :: v_dual_mov_b32 v11, v9
	v_dual_mov_b32 v18, v10 :: v_dual_mov_b32 v17, v9
	v_dual_mov_b32 v20, v10 :: v_dual_mov_b32 v19, v9
	v_dual_mov_b32 v22, v10 :: v_dual_mov_b32 v21, v9
	v_dual_mov_b32 v24, v10 :: v_dual_mov_b32 v23, v9
	v_dual_mov_b32 v26, v10 :: v_dual_mov_b32 v25, v9
	s_and_saveexec_b32 s1, s0
	s_cbranch_execz .LBB122_19
; %bb.16:
	v_mov_b32_e32 v9, 0
	v_dual_mov_b32 v10, 0 :: v_dual_mov_b32 v29, 0
	v_mad_u64_u32 v[27:28], null, v13, 12, 11
	s_mov_b32 s0, 0
	s_delay_alu instid0(VALU_DEP_2)
	v_dual_mov_b32 v16, v10 :: v_dual_mov_b32 v15, v9
	v_dual_mov_b32 v12, v10 :: v_dual_mov_b32 v11, v9
	;; [unrolled: 1-line block ×7, first 2 shown]
.LBB122_17:                             ; =>This Inner Loop Header: Depth=1
	v_ashrrev_i32_e32 v14, 31, v13
	v_dual_mov_b32 v83, v29 :: v_dual_add_nc_u32 v28, -11, v27
	v_dual_mov_b32 v35, v29 :: v_dual_add_nc_u32 v34, -2, v27
	s_delay_alu instid0(VALU_DEP_3) | instskip(NEXT) | instid1(VALU_DEP_3)
	v_lshlrev_b64 v[32:33], 2, v[13:14]
	v_lshlrev_b64 v[36:37], 4, v[28:29]
	v_add_nc_u32_e32 v13, 8, v13
	s_delay_alu instid0(VALU_DEP_4) | instskip(NEXT) | instid1(VALU_DEP_4)
	v_lshlrev_b64 v[34:35], 4, v[34:35]
	v_add_co_u32 v32, vcc_lo, s6, v32
	v_add_co_ci_u32_e32 v33, vcc_lo, s7, v33, vcc_lo
	v_add_co_u32 v74, vcc_lo, s8, v36
	v_add_co_ci_u32_e32 v75, vcc_lo, s9, v37, vcc_lo
	global_load_b32 v14, v[32:33], off
	v_dual_mov_b32 v33, v29 :: v_dual_add_nc_u32 v32, -5, v27
	s_delay_alu instid0(VALU_DEP_1) | instskip(NEXT) | instid1(VALU_DEP_1)
	v_lshlrev_b64 v[32:33], 4, v[32:33]
	v_add_co_u32 v46, vcc_lo, s8, v32
	s_delay_alu instid0(VALU_DEP_2)
	v_add_co_ci_u32_e32 v47, vcc_lo, s9, v33, vcc_lo
	v_add_co_u32 v50, vcc_lo, s8, v34
	v_add_co_ci_u32_e32 v51, vcc_lo, s9, v35, vcc_lo
	s_clause 0x4
	global_load_b128 v[32:35], v[74:75], off offset:48
	global_load_b128 v[36:39], v[74:75], off offset:16
	global_load_b128 v[42:45], v[74:75], off
	global_load_b128 v[46:49], v[46:47], off
	;; [unrolled: 1-line block ×3, first 2 shown]
	s_waitcnt vmcnt(5)
	v_subrev_nc_u32_e32 v14, s12, v14
	s_delay_alu instid0(VALU_DEP_1) | instskip(NEXT) | instid1(VALU_DEP_1)
	v_lshl_add_u32 v82, v14, 1, v14
	v_lshlrev_b64 v[54:55], 4, v[82:83]
	v_add_nc_u32_e32 v28, 1, v82
	s_delay_alu instid0(VALU_DEP_2) | instskip(NEXT) | instid1(VALU_DEP_3)
	v_add_co_u32 v54, vcc_lo, s10, v54
	v_add_co_ci_u32_e32 v55, vcc_lo, s11, v55, vcc_lo
	s_delay_alu instid0(VALU_DEP_3)
	v_lshlrev_b64 v[58:59], 4, v[28:29]
	v_add_nc_u32_e32 v28, -7, v27
	global_load_b128 v[54:57], v[54:55], off
	v_lshlrev_b64 v[62:63], 4, v[28:29]
	v_add_nc_u32_e32 v28, -4, v27
	v_add_co_u32 v58, vcc_lo, s10, v58
	v_add_co_ci_u32_e32 v59, vcc_lo, s11, v59, vcc_lo
	s_delay_alu instid0(VALU_DEP_3)
	v_lshlrev_b64 v[64:65], 4, v[28:29]
	v_add_nc_u32_e32 v28, -1, v27
	v_add_co_u32 v62, vcc_lo, s8, v62
	global_load_b128 v[58:61], v[58:59], off
	v_add_co_ci_u32_e32 v63, vcc_lo, s9, v63, vcc_lo
	v_lshlrev_b64 v[66:67], 4, v[28:29]
	v_add_co_u32 v68, vcc_lo, s8, v64
	v_add_co_ci_u32_e32 v69, vcc_lo, s9, v65, vcc_lo
	v_mov_b32_e32 v28, v29
	s_delay_alu instid0(VALU_DEP_4)
	v_add_co_u32 v70, vcc_lo, s8, v66
	v_add_co_ci_u32_e32 v71, vcc_lo, s9, v67, vcc_lo
	s_clause 0x2
	global_load_b128 v[62:65], v[62:63], off
	global_load_b128 v[66:69], v[68:69], off
	global_load_b128 v[70:73], v[70:71], off
	v_lshlrev_b64 v[76:77], 4, v[27:28]
	v_add_nc_u32_e32 v28, 2, v82
	s_delay_alu instid0(VALU_DEP_1) | instskip(SKIP_1) | instid1(VALU_DEP_4)
	v_lshlrev_b64 v[82:83], 4, v[28:29]
	v_add_nc_u32_e32 v28, -6, v27
	v_add_co_u32 v78, vcc_lo, s8, v76
	v_add_co_ci_u32_e32 v79, vcc_lo, s9, v77, vcc_lo
	s_delay_alu instid0(VALU_DEP_3) | instskip(SKIP_3) | instid1(VALU_DEP_3)
	v_lshlrev_b64 v[86:87], 4, v[28:29]
	v_add_nc_u32_e32 v28, -3, v27
	v_add_co_u32 v82, vcc_lo, s10, v82
	v_add_co_ci_u32_e32 v83, vcc_lo, s11, v83, vcc_lo
	v_lshlrev_b64 v[88:89], 4, v[28:29]
	v_add_co_u32 v86, vcc_lo, s8, v86
	v_add_co_ci_u32_e32 v87, vcc_lo, s9, v87, vcc_lo
	s_clause 0x1
	global_load_b128 v[74:77], v[74:75], off offset:32
	global_load_b128 v[78:81], v[78:79], off
	v_add_co_u32 v90, vcc_lo, s8, v88
	v_add_co_ci_u32_e32 v91, vcc_lo, s9, v89, vcc_lo
	global_load_b128 v[82:85], v[82:83], off
	s_clause 0x1
	global_load_b128 v[86:89], v[86:87], off
	global_load_b128 v[90:93], v[90:91], off
	v_cmp_ge_i32_e32 vcc_lo, v13, v31
	v_add_nc_u32_e32 v27, 0x60, v27
	s_or_b32 s0, vcc_lo, s0
	s_waitcnt vmcnt(9)
	v_fma_f64 v[14:15], v[42:43], v[54:55], v[15:16]
	v_fma_f64 v[9:10], v[44:45], v[54:55], v[9:10]
	v_fma_f64 v[23:24], v[32:33], v[54:55], v[23:24]
	v_fma_f64 v[25:26], v[34:35], v[54:55], v[25:26]
	v_fma_f64 v[19:20], v[46:47], v[54:55], v[19:20]
	v_fma_f64 v[21:22], v[48:49], v[54:55], v[21:22]
	v_fma_f64 v[11:12], v[50:51], v[54:55], v[11:12]
	v_fma_f64 v[16:17], v[52:53], v[54:55], v[17:18]
	v_fma_f64 v[14:15], -v[44:45], v[56:57], v[14:15]
	v_fma_f64 v[9:10], v[42:43], v[56:57], v[9:10]
	v_fma_f64 v[23:24], -v[34:35], v[56:57], v[23:24]
	v_fma_f64 v[25:26], v[32:33], v[56:57], v[25:26]
	v_fma_f64 v[18:19], -v[48:49], v[56:57], v[19:20]
	v_fma_f64 v[20:21], v[46:47], v[56:57], v[21:22]
	v_fma_f64 v[11:12], -v[52:53], v[56:57], v[11:12]
	v_fma_f64 v[16:17], v[50:51], v[56:57], v[16:17]
	s_waitcnt vmcnt(8)
	v_fma_f64 v[14:15], v[36:37], v[58:59], v[14:15]
	v_fma_f64 v[9:10], v[38:39], v[58:59], v[9:10]
	s_waitcnt vmcnt(7)
	v_fma_f64 v[22:23], v[62:63], v[58:59], v[23:24]
	v_fma_f64 v[24:25], v[64:65], v[58:59], v[25:26]
	s_waitcnt vmcnt(6)
	v_fma_f64 v[18:19], v[66:67], v[58:59], v[18:19]
	v_fma_f64 v[20:21], v[68:69], v[58:59], v[20:21]
	s_waitcnt vmcnt(5)
	v_fma_f64 v[11:12], v[70:71], v[58:59], v[11:12]
	v_fma_f64 v[16:17], v[72:73], v[58:59], v[16:17]
	v_fma_f64 v[14:15], -v[38:39], v[60:61], v[14:15]
	v_fma_f64 v[9:10], v[36:37], v[60:61], v[9:10]
	v_fma_f64 v[22:23], -v[64:65], v[60:61], v[22:23]
	v_fma_f64 v[24:25], v[62:63], v[60:61], v[24:25]
	;; [unrolled: 2-line block ×4, first 2 shown]
	s_waitcnt vmcnt(2)
	v_fma_f64 v[14:15], v[74:75], v[82:83], v[14:15]
	v_fma_f64 v[9:10], v[76:77], v[82:83], v[9:10]
	s_waitcnt vmcnt(1)
	v_fma_f64 v[22:23], v[86:87], v[82:83], v[22:23]
	v_fma_f64 v[25:26], v[88:89], v[82:83], v[24:25]
	;; [unrolled: 3-line block ×3, first 2 shown]
	v_fma_f64 v[11:12], v[78:79], v[82:83], v[11:12]
	v_fma_f64 v[34:35], v[80:81], v[82:83], v[16:17]
	v_fma_f64 v[15:16], -v[76:77], v[84:85], v[14:15]
	v_fma_f64 v[9:10], v[74:75], v[84:85], v[9:10]
	v_fma_f64 v[23:24], -v[88:89], v[84:85], v[22:23]
	;; [unrolled: 2-line block ×4, first 2 shown]
	v_fma_f64 v[17:18], v[78:79], v[84:85], v[34:35]
	s_and_not1_b32 exec_lo, exec_lo, s0
	s_cbranch_execnz .LBB122_17
; %bb.18:
	s_or_b32 exec_lo, exec_lo, s0
.LBB122_19:
	s_delay_alu instid0(SALU_CYCLE_1)
	s_or_b32 exec_lo, exec_lo, s1
.LBB122_20:
	v_mbcnt_lo_u32_b32 v44, -1, 0
	s_delay_alu instid0(VALU_DEP_1) | instskip(NEXT) | instid1(VALU_DEP_1)
	v_xor_b32_e32 v13, 4, v44
	v_cmp_gt_i32_e32 vcc_lo, 32, v13
	v_cndmask_b32_e32 v13, v44, v13, vcc_lo
	s_delay_alu instid0(VALU_DEP_1)
	v_lshlrev_b32_e32 v40, 2, v13
	ds_bpermute_b32 v13, v40, v15
	ds_bpermute_b32 v14, v40, v16
	;; [unrolled: 1-line block ×16, first 2 shown]
	s_waitcnt lgkmcnt(14)
	v_add_f64 v[13:14], v[15:16], v[13:14]
	s_waitcnt lgkmcnt(12)
	v_add_f64 v[15:16], v[9:10], v[27:28]
	v_xor_b32_e32 v9, 2, v44
	s_waitcnt lgkmcnt(10)
	v_add_f64 v[27:28], v[23:24], v[29:30]
	s_waitcnt lgkmcnt(8)
	v_add_f64 v[25:26], v[25:26], v[31:32]
	;; [unrolled: 2-line block ×3, first 2 shown]
	v_cmp_gt_i32_e32 vcc_lo, 32, v9
	s_waitcnt lgkmcnt(4)
	v_add_f64 v[29:30], v[21:22], v[35:36]
	s_waitcnt lgkmcnt(2)
	v_add_f64 v[31:32], v[11:12], v[37:38]
	;; [unrolled: 2-line block ×3, first 2 shown]
	v_cndmask_b32_e32 v9, v44, v9, vcc_lo
	s_delay_alu instid0(VALU_DEP_1)
	v_lshlrev_b32_e32 v23, 2, v9
	ds_bpermute_b32 v9, v23, v13
	ds_bpermute_b32 v10, v23, v14
	;; [unrolled: 1-line block ×16, first 2 shown]
	s_waitcnt lgkmcnt(14)
	v_add_f64 v[9:10], v[13:14], v[9:10]
	s_waitcnt lgkmcnt(12)
	v_add_f64 v[23:24], v[15:16], v[11:12]
	;; [unrolled: 2-line block ×4, first 2 shown]
	v_xor_b32_e32 v25, 1, v44
	s_waitcnt lgkmcnt(6)
	v_add_f64 v[13:14], v[19:20], v[35:36]
	s_waitcnt lgkmcnt(4)
	v_add_f64 v[19:20], v[29:30], v[37:38]
	;; [unrolled: 2-line block ×3, first 2 shown]
	v_cmp_gt_i32_e32 vcc_lo, 32, v25
	s_waitcnt lgkmcnt(0)
	v_add_f64 v[17:18], v[17:18], v[42:43]
	v_cndmask_b32_e32 v25, v44, v25, vcc_lo
	v_cmp_eq_u32_e32 vcc_lo, 7, v41
	s_delay_alu instid0(VALU_DEP_2)
	v_lshlrev_b32_e32 v28, 2, v25
	ds_bpermute_b32 v39, v28, v9
	ds_bpermute_b32 v40, v28, v10
	;; [unrolled: 1-line block ×16, first 2 shown]
	s_and_b32 exec_lo, exec_lo, vcc_lo
	s_cbranch_execz .LBB122_25
; %bb.21:
	v_cmp_eq_f64_e32 vcc_lo, 0, v[4:5]
	v_cmp_eq_f64_e64 s0, 0, v[6:7]
	s_waitcnt lgkmcnt(14)
	v_add_f64 v[9:10], v[9:10], v[39:40]
	s_waitcnt lgkmcnt(12)
	v_add_f64 v[23:24], v[23:24], v[37:38]
	;; [unrolled: 2-line block ×8, first 2 shown]
	s_load_b64 s[2:3], s[2:3], 0x48
	s_and_b32 s0, vcc_lo, s0
	s_delay_alu instid0(SALU_CYCLE_1) | instskip(NEXT) | instid1(SALU_CYCLE_1)
	s_and_saveexec_b32 s1, s0
	s_xor_b32 s0, exec_lo, s1
	s_cbranch_execz .LBB122_23
; %bb.22:
	v_mul_f64 v[4:5], v[23:24], -v[2:3]
	v_mul_f64 v[6:7], v[0:1], v[23:24]
	v_mul_f64 v[23:24], v[21:22], -v[2:3]
	v_mul_f64 v[21:22], v[0:1], v[21:22]
	;; [unrolled: 2-line block ×4, first 2 shown]
	v_fma_f64 v[4:5], v[0:1], v[9:10], v[4:5]
	v_fma_f64 v[6:7], v[2:3], v[9:10], v[6:7]
	;; [unrolled: 1-line block ×8, first 2 shown]
	v_lshlrev_b32_e32 v13, 2, v8
                                        ; implicit-def: $vgpr8
                                        ; implicit-def: $vgpr23_vgpr24
                                        ; implicit-def: $vgpr21_vgpr22
                                        ; implicit-def: $vgpr15_vgpr16
	s_delay_alu instid0(VALU_DEP_1) | instskip(NEXT) | instid1(VALU_DEP_1)
	v_ashrrev_i32_e32 v14, 31, v13
	v_lshlrev_b64 v[13:14], 4, v[13:14]
	s_waitcnt lgkmcnt(0)
	s_delay_alu instid0(VALU_DEP_1) | instskip(NEXT) | instid1(VALU_DEP_2)
	v_add_co_u32 v13, vcc_lo, s2, v13
	v_add_co_ci_u32_e32 v14, vcc_lo, s3, v14, vcc_lo
	s_clause 0x3
	global_store_b128 v[13:14], v[4:7], off
	global_store_b128 v[13:14], v[9:12], off offset:16
	global_store_b128 v[13:14], v[17:20], off offset:32
	;; [unrolled: 1-line block ×3, first 2 shown]
                                        ; implicit-def: $vgpr0_vgpr1
                                        ; implicit-def: $vgpr2_vgpr3
                                        ; implicit-def: $vgpr4_vgpr5
                                        ; implicit-def: $vgpr6_vgpr7
                                        ; implicit-def: $vgpr9_vgpr10
                                        ; implicit-def: $vgpr11_vgpr12
                                        ; implicit-def: $vgpr13_vgpr14
                                        ; implicit-def: $vgpr19_vgpr20
                                        ; implicit-def: $vgpr17_vgpr18
.LBB122_23:
	s_and_not1_saveexec_b32 s0, s0
	s_cbranch_execz .LBB122_25
; %bb.24:
	v_lshlrev_b32_e32 v25, 2, v8
	v_mul_f64 v[43:44], v[23:24], -v[2:3]
	v_mul_f64 v[23:24], v[0:1], v[23:24]
	v_mul_f64 v[45:46], v[21:22], -v[2:3]
	v_mul_f64 v[21:22], v[0:1], v[21:22]
	v_ashrrev_i32_e32 v26, 31, v25
	v_mul_f64 v[47:48], v[19:20], -v[2:3]
	v_mul_f64 v[19:20], v[0:1], v[19:20]
	v_mul_f64 v[49:50], v[17:18], -v[2:3]
	v_mul_f64 v[17:18], v[0:1], v[17:18]
	v_lshlrev_b64 v[25:26], 4, v[25:26]
	s_waitcnt lgkmcnt(0)
	s_delay_alu instid0(VALU_DEP_1) | instskip(NEXT) | instid1(VALU_DEP_2)
	v_add_co_u32 v41, vcc_lo, s2, v25
	v_add_co_ci_u32_e32 v42, vcc_lo, s3, v26, vcc_lo
	s_clause 0x3
	global_load_b128 v[25:28], v[41:42], off
	global_load_b128 v[29:32], v[41:42], off offset:16
	global_load_b128 v[33:36], v[41:42], off offset:32
	;; [unrolled: 1-line block ×3, first 2 shown]
	v_fma_f64 v[43:44], v[0:1], v[9:10], v[43:44]
	v_fma_f64 v[8:9], v[2:3], v[9:10], v[23:24]
	;; [unrolled: 1-line block ×8, first 2 shown]
	s_waitcnt vmcnt(3)
	v_fma_f64 v[14:15], v[4:5], v[25:26], v[43:44]
	v_fma_f64 v[8:9], v[6:7], v[25:26], v[8:9]
	s_waitcnt vmcnt(2)
	v_fma_f64 v[16:17], v[4:5], v[29:30], v[23:24]
	v_fma_f64 v[10:11], v[6:7], v[29:30], v[10:11]
	;; [unrolled: 3-line block ×4, first 2 shown]
	v_fma_f64 v[0:1], -v[6:7], v[27:28], v[14:15]
	v_fma_f64 v[2:3], v[4:5], v[27:28], v[8:9]
	v_fma_f64 v[8:9], -v[6:7], v[31:32], v[16:17]
	v_fma_f64 v[10:11], v[4:5], v[31:32], v[10:11]
	;; [unrolled: 2-line block ×4, first 2 shown]
	s_clause 0x3
	global_store_b128 v[41:42], v[0:3], off
	global_store_b128 v[41:42], v[8:11], off offset:16
	global_store_b128 v[41:42], v[12:15], off offset:32
	;; [unrolled: 1-line block ×3, first 2 shown]
.LBB122_25:
	s_nop 0
	s_sendmsg sendmsg(MSG_DEALLOC_VGPRS)
	s_endpgm
	.section	.rodata,"a",@progbits
	.p2align	6, 0x0
	.amdhsa_kernel _ZN9rocsparseL19gebsrmvn_4xn_kernelILj128ELj3ELj8E21rocsparse_complex_numIdEEEvi20rocsparse_direction_NS_24const_host_device_scalarIT2_EEPKiS8_PKS5_SA_S6_PS5_21rocsparse_index_base_b
		.amdhsa_group_segment_fixed_size 2048
		.amdhsa_private_segment_fixed_size 0
		.amdhsa_kernarg_size 88
		.amdhsa_user_sgpr_count 15
		.amdhsa_user_sgpr_dispatch_ptr 1
		.amdhsa_user_sgpr_queue_ptr 0
		.amdhsa_user_sgpr_kernarg_segment_ptr 1
		.amdhsa_user_sgpr_dispatch_id 0
		.amdhsa_user_sgpr_private_segment_size 0
		.amdhsa_wavefront_size32 1
		.amdhsa_uses_dynamic_stack 0
		.amdhsa_enable_private_segment 0
		.amdhsa_system_sgpr_workgroup_id_x 1
		.amdhsa_system_sgpr_workgroup_id_y 0
		.amdhsa_system_sgpr_workgroup_id_z 0
		.amdhsa_system_sgpr_workgroup_info 0
		.amdhsa_system_vgpr_workitem_id 2
		.amdhsa_next_free_vgpr 94
		.amdhsa_next_free_sgpr 18
		.amdhsa_reserve_vcc 1
		.amdhsa_float_round_mode_32 0
		.amdhsa_float_round_mode_16_64 0
		.amdhsa_float_denorm_mode_32 3
		.amdhsa_float_denorm_mode_16_64 3
		.amdhsa_dx10_clamp 1
		.amdhsa_ieee_mode 1
		.amdhsa_fp16_overflow 0
		.amdhsa_workgroup_processor_mode 1
		.amdhsa_memory_ordered 1
		.amdhsa_forward_progress 0
		.amdhsa_shared_vgpr_count 0
		.amdhsa_exception_fp_ieee_invalid_op 0
		.amdhsa_exception_fp_denorm_src 0
		.amdhsa_exception_fp_ieee_div_zero 0
		.amdhsa_exception_fp_ieee_overflow 0
		.amdhsa_exception_fp_ieee_underflow 0
		.amdhsa_exception_fp_ieee_inexact 0
		.amdhsa_exception_int_div_zero 0
	.end_amdhsa_kernel
	.section	.text._ZN9rocsparseL19gebsrmvn_4xn_kernelILj128ELj3ELj8E21rocsparse_complex_numIdEEEvi20rocsparse_direction_NS_24const_host_device_scalarIT2_EEPKiS8_PKS5_SA_S6_PS5_21rocsparse_index_base_b,"axG",@progbits,_ZN9rocsparseL19gebsrmvn_4xn_kernelILj128ELj3ELj8E21rocsparse_complex_numIdEEEvi20rocsparse_direction_NS_24const_host_device_scalarIT2_EEPKiS8_PKS5_SA_S6_PS5_21rocsparse_index_base_b,comdat
.Lfunc_end122:
	.size	_ZN9rocsparseL19gebsrmvn_4xn_kernelILj128ELj3ELj8E21rocsparse_complex_numIdEEEvi20rocsparse_direction_NS_24const_host_device_scalarIT2_EEPKiS8_PKS5_SA_S6_PS5_21rocsparse_index_base_b, .Lfunc_end122-_ZN9rocsparseL19gebsrmvn_4xn_kernelILj128ELj3ELj8E21rocsparse_complex_numIdEEEvi20rocsparse_direction_NS_24const_host_device_scalarIT2_EEPKiS8_PKS5_SA_S6_PS5_21rocsparse_index_base_b
                                        ; -- End function
	.section	.AMDGPU.csdata,"",@progbits
; Kernel info:
; codeLenInByte = 3968
; NumSgprs: 20
; NumVgprs: 94
; ScratchSize: 0
; MemoryBound: 0
; FloatMode: 240
; IeeeMode: 1
; LDSByteSize: 2048 bytes/workgroup (compile time only)
; SGPRBlocks: 2
; VGPRBlocks: 11
; NumSGPRsForWavesPerEU: 20
; NumVGPRsForWavesPerEU: 94
; Occupancy: 16
; WaveLimiterHint : 1
; COMPUTE_PGM_RSRC2:SCRATCH_EN: 0
; COMPUTE_PGM_RSRC2:USER_SGPR: 15
; COMPUTE_PGM_RSRC2:TRAP_HANDLER: 0
; COMPUTE_PGM_RSRC2:TGID_X_EN: 1
; COMPUTE_PGM_RSRC2:TGID_Y_EN: 0
; COMPUTE_PGM_RSRC2:TGID_Z_EN: 0
; COMPUTE_PGM_RSRC2:TIDIG_COMP_CNT: 2
	.section	.text._ZN9rocsparseL19gebsrmvn_4xn_kernelILj128ELj3ELj16E21rocsparse_complex_numIdEEEvi20rocsparse_direction_NS_24const_host_device_scalarIT2_EEPKiS8_PKS5_SA_S6_PS5_21rocsparse_index_base_b,"axG",@progbits,_ZN9rocsparseL19gebsrmvn_4xn_kernelILj128ELj3ELj16E21rocsparse_complex_numIdEEEvi20rocsparse_direction_NS_24const_host_device_scalarIT2_EEPKiS8_PKS5_SA_S6_PS5_21rocsparse_index_base_b,comdat
	.globl	_ZN9rocsparseL19gebsrmvn_4xn_kernelILj128ELj3ELj16E21rocsparse_complex_numIdEEEvi20rocsparse_direction_NS_24const_host_device_scalarIT2_EEPKiS8_PKS5_SA_S6_PS5_21rocsparse_index_base_b ; -- Begin function _ZN9rocsparseL19gebsrmvn_4xn_kernelILj128ELj3ELj16E21rocsparse_complex_numIdEEEvi20rocsparse_direction_NS_24const_host_device_scalarIT2_EEPKiS8_PKS5_SA_S6_PS5_21rocsparse_index_base_b
	.p2align	8
	.type	_ZN9rocsparseL19gebsrmvn_4xn_kernelILj128ELj3ELj16E21rocsparse_complex_numIdEEEvi20rocsparse_direction_NS_24const_host_device_scalarIT2_EEPKiS8_PKS5_SA_S6_PS5_21rocsparse_index_base_b,@function
_ZN9rocsparseL19gebsrmvn_4xn_kernelILj128ELj3ELj16E21rocsparse_complex_numIdEEEvi20rocsparse_direction_NS_24const_host_device_scalarIT2_EEPKiS8_PKS5_SA_S6_PS5_21rocsparse_index_base_b: ; @_ZN9rocsparseL19gebsrmvn_4xn_kernelILj128ELj3ELj16E21rocsparse_complex_numIdEEEvi20rocsparse_direction_NS_24const_host_device_scalarIT2_EEPKiS8_PKS5_SA_S6_PS5_21rocsparse_index_base_b
; %bb.0:
	s_load_b64 s[12:13], s[2:3], 0x50
	s_load_b64 s[16:17], s[0:1], 0x4
	s_load_b128 s[8:11], s[2:3], 0x8
	v_bfe_u32 v1, v0, 10, 10
	s_mov_b64 s[0:1], src_shared_base
	s_load_b128 s[4:7], s[2:3], 0x38
	v_and_b32_e32 v10, 0x3ff, v0
	v_bfe_u32 v0, v0, 20, 10
	s_waitcnt lgkmcnt(0)
	s_bitcmp1_b32 s13, 0
	v_mul_u32_u24_e32 v1, s17, v1
	s_cselect_b32 s0, -1, 0
	s_delay_alu instid0(SALU_CYCLE_1)
	s_and_b32 vcc_lo, s0, exec_lo
	s_cselect_b32 s13, s1, s9
	s_lshr_b32 s14, s16, 16
	v_dual_mov_b32 v2, s4 :: v_dual_mov_b32 v3, s5
	s_mul_i32 s14, s14, s17
	v_mov_b32_e32 v6, s13
	v_mad_u32_u24 v1, s14, v10, v1
	s_delay_alu instid0(VALU_DEP_1) | instskip(SKIP_1) | instid1(VALU_DEP_2)
	v_add_lshl_u32 v4, v1, v0, 3
	v_dual_mov_b32 v0, s8 :: v_dual_mov_b32 v1, s9
	v_add_nc_u32_e32 v5, 0x400, v4
	ds_store_2addr_stride64_b64 v4, v[2:3], v[0:1] offset1:2
	v_dual_mov_b32 v2, s10 :: v_dual_mov_b32 v3, s11
	v_cndmask_b32_e64 v5, s8, v5, s0
	s_xor_b32 s10, s0, -1
	flat_load_b64 v[0:1], v[5:6]
	s_cbranch_vccnz .LBB123_2
; %bb.1:
	v_dual_mov_b32 v2, s8 :: v_dual_mov_b32 v3, s9
	flat_load_b64 v[2:3], v[2:3] offset:8
.LBB123_2:
	s_and_b32 s8, s0, exec_lo
	s_cselect_b32 s1, s1, s5
	v_cndmask_b32_e64 v4, s4, v4, s0
	v_dual_mov_b32 v5, s1 :: v_dual_mov_b32 v6, s6
	v_mov_b32_e32 v7, s7
	s_and_not1_b32 vcc_lo, exec_lo, s10
	flat_load_b64 v[4:5], v[4:5]
	s_cbranch_vccnz .LBB123_4
; %bb.3:
	v_dual_mov_b32 v7, s5 :: v_dual_mov_b32 v6, s4
	flat_load_b64 v[6:7], v[6:7] offset:8
.LBB123_4:
	s_waitcnt vmcnt(1) lgkmcnt(1)
	v_cmp_eq_f64_e32 vcc_lo, 0, v[0:1]
	v_cmp_eq_f64_e64 s0, 0, v[2:3]
	s_delay_alu instid0(VALU_DEP_1)
	s_and_b32 s4, vcc_lo, s0
	s_mov_b32 s0, -1
	s_and_saveexec_b32 s1, s4
	s_cbranch_execz .LBB123_6
; %bb.5:
	s_waitcnt vmcnt(0) lgkmcnt(0)
	v_cmp_neq_f64_e32 vcc_lo, 1.0, v[4:5]
	v_cmp_neq_f64_e64 s0, 0, v[6:7]
	s_delay_alu instid0(VALU_DEP_1) | instskip(NEXT) | instid1(SALU_CYCLE_1)
	s_or_b32 s0, vcc_lo, s0
	s_or_not1_b32 s0, s0, exec_lo
.LBB123_6:
	s_or_b32 exec_lo, exec_lo, s1
	s_and_saveexec_b32 s1, s0
	s_cbranch_execz .LBB123_25
; %bb.7:
	s_load_b64 s[0:1], s[2:3], 0x0
	v_lshrrev_b32_e32 v8, 4, v10
	s_delay_alu instid0(VALU_DEP_1) | instskip(SKIP_1) | instid1(VALU_DEP_1)
	v_lshl_or_b32 v8, s15, 3, v8
	s_waitcnt lgkmcnt(0)
	v_cmp_gt_i32_e32 vcc_lo, s0, v8
	s_and_b32 exec_lo, exec_lo, vcc_lo
	s_cbranch_execz .LBB123_25
; %bb.8:
	s_load_b256 s[4:11], s[2:3], 0x18
	v_ashrrev_i32_e32 v9, 31, v8
	v_and_b32_e32 v41, 15, v10
	s_cmp_lg_u32 s1, 0
	s_delay_alu instid0(VALU_DEP_2) | instskip(SKIP_1) | instid1(VALU_DEP_1)
	v_lshlrev_b64 v[11:12], 2, v[8:9]
	s_waitcnt lgkmcnt(0)
	v_add_co_u32 v11, vcc_lo, s4, v11
	s_delay_alu instid0(VALU_DEP_2) | instskip(SKIP_4) | instid1(VALU_DEP_2)
	v_add_co_ci_u32_e32 v12, vcc_lo, s5, v12, vcc_lo
	global_load_b64 v[11:12], v[11:12], off
	s_waitcnt vmcnt(0)
	v_subrev_nc_u32_e32 v9, s12, v11
	v_subrev_nc_u32_e32 v30, s12, v12
	v_add_nc_u32_e32 v25, v9, v41
	s_delay_alu instid0(VALU_DEP_1)
	v_cmp_lt_i32_e64 s0, v25, v30
	s_cbranch_scc0 .LBB123_14
; %bb.9:
	v_mov_b32_e32 v9, 0
	v_mov_b32_e32 v10, 0
	s_delay_alu instid0(VALU_DEP_1)
	v_dual_mov_b32 v14, v10 :: v_dual_mov_b32 v13, v9
	v_dual_mov_b32 v12, v10 :: v_dual_mov_b32 v11, v9
	;; [unrolled: 1-line block ×7, first 2 shown]
	s_and_saveexec_b32 s1, s0
	s_cbranch_execz .LBB123_13
; %bb.10:
	v_dual_mov_b32 v9, 0 :: v_dual_mov_b32 v28, v25
	v_dual_mov_b32 v10, 0 :: v_dual_mov_b32 v27, 0
	v_mul_lo_u32 v26, v25, 12
	s_mov_b32 s4, 0
	s_delay_alu instid0(VALU_DEP_2)
	v_dual_mov_b32 v14, v10 :: v_dual_mov_b32 v13, v9
	v_dual_mov_b32 v12, v10 :: v_dual_mov_b32 v11, v9
	;; [unrolled: 1-line block ×7, first 2 shown]
.LBB123_11:                             ; =>This Inner Loop Header: Depth=1
	v_ashrrev_i32_e32 v29, 31, v28
	v_dual_mov_b32 v55, v27 :: v_dual_add_nc_u32 v54, 4, v26
	v_dual_mov_b32 v75, v27 :: v_dual_add_nc_u32 v74, 8, v26
	s_delay_alu instid0(VALU_DEP_3) | instskip(SKIP_1) | instid1(VALU_DEP_4)
	v_lshlrev_b64 v[31:32], 2, v[28:29]
	v_add_nc_u32_e32 v28, 16, v28
	v_lshlrev_b64 v[54:55], 4, v[54:55]
	s_delay_alu instid0(VALU_DEP_4) | instskip(NEXT) | instid1(VALU_DEP_4)
	v_lshlrev_b64 v[74:75], 4, v[74:75]
	v_add_co_u32 v31, vcc_lo, s6, v31
	v_add_co_ci_u32_e32 v32, vcc_lo, s7, v32, vcc_lo
	global_load_b32 v29, v[31:32], off
	v_lshlrev_b64 v[31:32], 4, v[26:27]
	v_add_nc_u32_e32 v26, 0xc0, v26
	s_delay_alu instid0(VALU_DEP_2) | instskip(NEXT) | instid1(VALU_DEP_3)
	v_add_co_u32 v46, vcc_lo, s8, v31
	v_add_co_ci_u32_e32 v47, vcc_lo, s9, v32, vcc_lo
	s_clause 0x3
	global_load_b128 v[31:34], v[46:47], off offset:48
	global_load_b128 v[35:38], v[46:47], off offset:32
	;; [unrolled: 1-line block ×3, first 2 shown]
	global_load_b128 v[46:49], v[46:47], off
	s_waitcnt vmcnt(4)
	v_subrev_nc_u32_e32 v29, s12, v29
	s_delay_alu instid0(VALU_DEP_1) | instskip(SKIP_1) | instid1(VALU_DEP_2)
	v_lshl_add_u32 v39, v29, 1, v29
	v_mov_b32_e32 v40, v27
	v_dual_mov_b32 v71, v27 :: v_dual_add_nc_u32 v70, 1, v39
	s_delay_alu instid0(VALU_DEP_2) | instskip(SKIP_1) | instid1(VALU_DEP_3)
	v_lshlrev_b64 v[50:51], 4, v[39:40]
	v_add_nc_u32_e32 v39, 2, v39
	v_lshlrev_b64 v[70:71], 4, v[70:71]
	s_delay_alu instid0(VALU_DEP_3) | instskip(NEXT) | instid1(VALU_DEP_4)
	v_add_co_u32 v50, vcc_lo, s10, v50
	v_add_co_ci_u32_e32 v51, vcc_lo, s11, v51, vcc_lo
	v_add_co_u32 v66, vcc_lo, s8, v54
	v_add_co_ci_u32_e32 v67, vcc_lo, s9, v55, vcc_lo
	global_load_b128 v[50:53], v[50:51], off
	v_add_co_u32 v70, vcc_lo, s10, v70
	v_add_co_ci_u32_e32 v71, vcc_lo, s11, v71, vcc_lo
	s_clause 0x3
	global_load_b128 v[54:57], v[66:67], off offset:48
	global_load_b128 v[58:61], v[66:67], off offset:32
	;; [unrolled: 1-line block ×3, first 2 shown]
	global_load_b128 v[66:69], v[66:67], off
	v_lshlrev_b64 v[39:40], 4, v[39:40]
	v_add_co_u32 v86, vcc_lo, s8, v74
	global_load_b128 v[70:73], v[70:71], off
	v_add_co_ci_u32_e32 v87, vcc_lo, s9, v75, vcc_lo
	v_add_co_u32 v39, vcc_lo, s10, v39
	v_add_co_ci_u32_e32 v40, vcc_lo, s11, v40, vcc_lo
	s_clause 0x3
	global_load_b128 v[74:77], v[86:87], off offset:48
	global_load_b128 v[78:81], v[86:87], off offset:32
	;; [unrolled: 1-line block ×3, first 2 shown]
	global_load_b128 v[86:89], v[86:87], off
	v_cmp_ge_i32_e32 vcc_lo, v28, v30
	global_load_b128 v[90:93], v[39:40], off
	s_or_b32 s4, vcc_lo, s4
	s_waitcnt vmcnt(10)
	v_fma_f64 v[13:14], v[46:47], v[50:51], v[13:14]
	v_fma_f64 v[9:10], v[48:49], v[50:51], v[9:10]
	v_fma_f64 v[21:22], v[42:43], v[50:51], v[21:22]
	v_fma_f64 v[23:24], v[44:45], v[50:51], v[23:24]
	v_fma_f64 v[17:18], v[35:36], v[50:51], v[17:18]
	v_fma_f64 v[19:20], v[37:38], v[50:51], v[19:20]
	v_fma_f64 v[11:12], v[31:32], v[50:51], v[11:12]
	v_fma_f64 v[15:16], v[33:34], v[50:51], v[15:16]
	v_fma_f64 v[13:14], -v[48:49], v[52:53], v[13:14]
	v_fma_f64 v[9:10], v[46:47], v[52:53], v[9:10]
	v_fma_f64 v[21:22], -v[44:45], v[52:53], v[21:22]
	v_fma_f64 v[23:24], v[42:43], v[52:53], v[23:24]
	v_fma_f64 v[17:18], -v[37:38], v[52:53], v[17:18]
	v_fma_f64 v[19:20], v[35:36], v[52:53], v[19:20]
	v_fma_f64 v[11:12], -v[33:34], v[52:53], v[11:12]
	v_fma_f64 v[15:16], v[31:32], v[52:53], v[15:16]
	s_waitcnt vmcnt(5)
	v_fma_f64 v[13:14], v[66:67], v[70:71], v[13:14]
	v_fma_f64 v[9:10], v[68:69], v[70:71], v[9:10]
	v_fma_f64 v[21:22], v[62:63], v[70:71], v[21:22]
	v_fma_f64 v[23:24], v[64:65], v[70:71], v[23:24]
	v_fma_f64 v[17:18], v[58:59], v[70:71], v[17:18]
	v_fma_f64 v[19:20], v[60:61], v[70:71], v[19:20]
	v_fma_f64 v[11:12], v[54:55], v[70:71], v[11:12]
	v_fma_f64 v[15:16], v[56:57], v[70:71], v[15:16]
	v_fma_f64 v[13:14], -v[68:69], v[72:73], v[13:14]
	v_fma_f64 v[9:10], v[66:67], v[72:73], v[9:10]
	v_fma_f64 v[21:22], -v[64:65], v[72:73], v[21:22]
	v_fma_f64 v[23:24], v[62:63], v[72:73], v[23:24]
	v_fma_f64 v[17:18], -v[60:61], v[72:73], v[17:18]
	v_fma_f64 v[19:20], v[58:59], v[72:73], v[19:20]
	v_fma_f64 v[11:12], -v[56:57], v[72:73], v[11:12]
	v_fma_f64 v[15:16], v[54:55], v[72:73], v[15:16]
	s_waitcnt vmcnt(0)
	v_fma_f64 v[13:14], v[86:87], v[90:91], v[13:14]
	v_fma_f64 v[9:10], v[88:89], v[90:91], v[9:10]
	v_fma_f64 v[21:22], v[82:83], v[90:91], v[21:22]
	v_fma_f64 v[23:24], v[84:85], v[90:91], v[23:24]
	v_fma_f64 v[17:18], v[78:79], v[90:91], v[17:18]
	v_fma_f64 v[19:20], v[80:81], v[90:91], v[19:20]
	v_fma_f64 v[11:12], v[74:75], v[90:91], v[11:12]
	v_fma_f64 v[15:16], v[76:77], v[90:91], v[15:16]
	v_fma_f64 v[13:14], -v[88:89], v[92:93], v[13:14]
	v_fma_f64 v[9:10], v[86:87], v[92:93], v[9:10]
	v_fma_f64 v[21:22], -v[84:85], v[92:93], v[21:22]
	v_fma_f64 v[23:24], v[82:83], v[92:93], v[23:24]
	v_fma_f64 v[17:18], -v[80:81], v[92:93], v[17:18]
	v_fma_f64 v[19:20], v[78:79], v[92:93], v[19:20]
	v_fma_f64 v[11:12], -v[76:77], v[92:93], v[11:12]
	v_fma_f64 v[15:16], v[74:75], v[92:93], v[15:16]
	s_and_not1_b32 exec_lo, exec_lo, s4
	s_cbranch_execnz .LBB123_11
; %bb.12:
	s_or_b32 exec_lo, exec_lo, s4
.LBB123_13:
	s_delay_alu instid0(SALU_CYCLE_1)
	s_or_b32 exec_lo, exec_lo, s1
	s_cbranch_execz .LBB123_15
	s_branch .LBB123_20
.LBB123_14:
                                        ; implicit-def: $vgpr9_vgpr10
                                        ; implicit-def: $vgpr13_vgpr14
                                        ; implicit-def: $vgpr11_vgpr12
                                        ; implicit-def: $vgpr15_vgpr16
                                        ; implicit-def: $vgpr17_vgpr18
                                        ; implicit-def: $vgpr19_vgpr20
                                        ; implicit-def: $vgpr21_vgpr22
                                        ; implicit-def: $vgpr23_vgpr24
.LBB123_15:
	v_mov_b32_e32 v9, 0
	v_mov_b32_e32 v10, 0
	s_delay_alu instid0(VALU_DEP_1)
	v_dual_mov_b32 v14, v10 :: v_dual_mov_b32 v13, v9
	v_dual_mov_b32 v12, v10 :: v_dual_mov_b32 v11, v9
	;; [unrolled: 1-line block ×7, first 2 shown]
	s_and_saveexec_b32 s1, s0
	s_cbranch_execz .LBB123_19
; %bb.16:
	v_mov_b32_e32 v9, 0
	v_dual_mov_b32 v10, 0 :: v_dual_mov_b32 v29, 0
	v_mad_u64_u32 v[27:28], null, v25, 12, 11
	s_mov_b32 s0, 0
	s_delay_alu instid0(VALU_DEP_2)
	v_dual_mov_b32 v14, v10 :: v_dual_mov_b32 v13, v9
	v_dual_mov_b32 v12, v10 :: v_dual_mov_b32 v11, v9
	;; [unrolled: 1-line block ×7, first 2 shown]
.LBB123_17:                             ; =>This Inner Loop Header: Depth=1
	v_ashrrev_i32_e32 v26, 31, v25
	v_add_nc_u32_e32 v28, -11, v27
	v_dual_mov_b32 v34, v29 :: v_dual_add_nc_u32 v33, -2, v27
	v_mov_b32_e32 v40, v29
	s_delay_alu instid0(VALU_DEP_4) | instskip(SKIP_2) | instid1(VALU_DEP_3)
	v_lshlrev_b64 v[31:32], 2, v[25:26]
	v_add_nc_u32_e32 v25, 16, v25
	v_lshlrev_b64 v[35:36], 4, v[28:29]
	v_add_co_u32 v31, vcc_lo, s6, v31
	s_delay_alu instid0(VALU_DEP_4) | instskip(NEXT) | instid1(VALU_DEP_3)
	v_add_co_ci_u32_e32 v32, vcc_lo, s7, v32, vcc_lo
	v_add_co_u32 v74, vcc_lo, s8, v35
	s_delay_alu instid0(VALU_DEP_4) | instskip(SKIP_3) | instid1(VALU_DEP_2)
	v_add_co_ci_u32_e32 v75, vcc_lo, s9, v36, vcc_lo
	global_load_b32 v26, v[31:32], off
	v_dual_mov_b32 v32, v29 :: v_dual_add_nc_u32 v31, -5, v27
	v_lshlrev_b64 v[33:34], 4, v[33:34]
	v_lshlrev_b64 v[31:32], 4, v[31:32]
	s_delay_alu instid0(VALU_DEP_1) | instskip(NEXT) | instid1(VALU_DEP_2)
	v_add_co_u32 v46, vcc_lo, s8, v31
	v_add_co_ci_u32_e32 v47, vcc_lo, s9, v32, vcc_lo
	s_delay_alu instid0(VALU_DEP_4)
	v_add_co_u32 v50, vcc_lo, s8, v33
	v_add_co_ci_u32_e32 v51, vcc_lo, s9, v34, vcc_lo
	s_clause 0x4
	global_load_b128 v[31:34], v[74:75], off offset:48
	global_load_b128 v[35:38], v[74:75], off offset:16
	global_load_b128 v[42:45], v[74:75], off
	global_load_b128 v[46:49], v[46:47], off
	;; [unrolled: 1-line block ×3, first 2 shown]
	s_waitcnt vmcnt(5)
	v_subrev_nc_u32_e32 v26, s12, v26
	s_delay_alu instid0(VALU_DEP_1) | instskip(NEXT) | instid1(VALU_DEP_1)
	v_lshl_add_u32 v39, v26, 1, v26
	v_lshlrev_b64 v[54:55], 4, v[39:40]
	v_add_nc_u32_e32 v28, 1, v39
	s_delay_alu instid0(VALU_DEP_1) | instskip(NEXT) | instid1(VALU_DEP_3)
	v_lshlrev_b64 v[58:59], 4, v[28:29]
	v_add_co_u32 v54, vcc_lo, s10, v54
	s_delay_alu instid0(VALU_DEP_4) | instskip(SKIP_1) | instid1(VALU_DEP_4)
	v_add_co_ci_u32_e32 v55, vcc_lo, s11, v55, vcc_lo
	v_add_nc_u32_e32 v28, -7, v27
	v_add_co_u32 v58, vcc_lo, s10, v58
	global_load_b128 v[54:57], v[54:55], off
	v_add_co_ci_u32_e32 v59, vcc_lo, s11, v59, vcc_lo
	v_lshlrev_b64 v[62:63], 4, v[28:29]
	v_add_nc_u32_e32 v28, -4, v27
	global_load_b128 v[58:61], v[58:59], off
	v_lshlrev_b64 v[64:65], 4, v[28:29]
	v_add_nc_u32_e32 v28, -1, v27
	v_add_co_u32 v62, vcc_lo, s8, v62
	v_add_co_ci_u32_e32 v63, vcc_lo, s9, v63, vcc_lo
	s_delay_alu instid0(VALU_DEP_3) | instskip(SKIP_3) | instid1(VALU_DEP_4)
	v_lshlrev_b64 v[66:67], 4, v[28:29]
	v_add_co_u32 v68, vcc_lo, s8, v64
	v_add_co_ci_u32_e32 v69, vcc_lo, s9, v65, vcc_lo
	v_mov_b32_e32 v28, v29
	v_add_co_u32 v70, vcc_lo, s8, v66
	v_add_co_ci_u32_e32 v71, vcc_lo, s9, v67, vcc_lo
	s_clause 0x2
	global_load_b128 v[62:65], v[62:63], off
	global_load_b128 v[66:69], v[68:69], off
	;; [unrolled: 1-line block ×3, first 2 shown]
	v_lshlrev_b64 v[76:77], 4, v[27:28]
	v_add_nc_u32_e32 v28, 2, v39
	s_delay_alu instid0(VALU_DEP_1) | instskip(SKIP_1) | instid1(VALU_DEP_4)
	v_lshlrev_b64 v[39:40], 4, v[28:29]
	v_add_nc_u32_e32 v28, -6, v27
	v_add_co_u32 v78, vcc_lo, s8, v76
	v_add_co_ci_u32_e32 v79, vcc_lo, s9, v77, vcc_lo
	s_delay_alu instid0(VALU_DEP_3) | instskip(SKIP_4) | instid1(VALU_DEP_4)
	v_lshlrev_b64 v[86:87], 4, v[28:29]
	v_add_nc_u32_e32 v28, -3, v27
	v_add_nc_u32_e32 v27, 0xc0, v27
	v_add_co_u32 v39, vcc_lo, s10, v39
	v_add_co_ci_u32_e32 v40, vcc_lo, s11, v40, vcc_lo
	v_lshlrev_b64 v[88:89], 4, v[28:29]
	s_clause 0x1
	global_load_b128 v[74:77], v[74:75], off offset:32
	global_load_b128 v[78:81], v[78:79], off
	global_load_b128 v[82:85], v[39:40], off
	v_add_co_u32 v39, vcc_lo, s8, v86
	v_add_co_ci_u32_e32 v40, vcc_lo, s9, v87, vcc_lo
	v_add_co_u32 v90, vcc_lo, s8, v88
	v_add_co_ci_u32_e32 v91, vcc_lo, s9, v89, vcc_lo
	s_clause 0x1
	global_load_b128 v[86:89], v[39:40], off
	global_load_b128 v[90:93], v[90:91], off
	v_cmp_ge_i32_e32 vcc_lo, v25, v30
	s_or_b32 s0, vcc_lo, s0
	s_waitcnt vmcnt(9)
	v_fma_f64 v[13:14], v[42:43], v[54:55], v[13:14]
	v_fma_f64 v[9:10], v[44:45], v[54:55], v[9:10]
	;; [unrolled: 1-line block ×8, first 2 shown]
	v_fma_f64 v[13:14], -v[44:45], v[56:57], v[13:14]
	v_fma_f64 v[9:10], v[42:43], v[56:57], v[9:10]
	v_fma_f64 v[21:22], -v[33:34], v[56:57], v[21:22]
	v_fma_f64 v[23:24], v[31:32], v[56:57], v[23:24]
	;; [unrolled: 2-line block ×4, first 2 shown]
	s_waitcnt vmcnt(8)
	v_fma_f64 v[13:14], v[35:36], v[58:59], v[13:14]
	v_fma_f64 v[9:10], v[37:38], v[58:59], v[9:10]
	s_waitcnt vmcnt(7)
	v_fma_f64 v[21:22], v[62:63], v[58:59], v[21:22]
	v_fma_f64 v[23:24], v[64:65], v[58:59], v[23:24]
	;; [unrolled: 3-line block ×4, first 2 shown]
	v_fma_f64 v[13:14], -v[37:38], v[60:61], v[13:14]
	v_fma_f64 v[9:10], v[35:36], v[60:61], v[9:10]
	v_fma_f64 v[21:22], -v[64:65], v[60:61], v[21:22]
	v_fma_f64 v[23:24], v[62:63], v[60:61], v[23:24]
	;; [unrolled: 2-line block ×4, first 2 shown]
	s_waitcnt vmcnt(2)
	v_fma_f64 v[13:14], v[74:75], v[82:83], v[13:14]
	v_fma_f64 v[9:10], v[76:77], v[82:83], v[9:10]
	s_waitcnt vmcnt(1)
	v_fma_f64 v[21:22], v[86:87], v[82:83], v[21:22]
	v_fma_f64 v[23:24], v[88:89], v[82:83], v[23:24]
	;; [unrolled: 3-line block ×3, first 2 shown]
	v_fma_f64 v[11:12], v[78:79], v[82:83], v[11:12]
	v_fma_f64 v[15:16], v[80:81], v[82:83], v[15:16]
	v_fma_f64 v[13:14], -v[76:77], v[84:85], v[13:14]
	v_fma_f64 v[9:10], v[74:75], v[84:85], v[9:10]
	v_fma_f64 v[21:22], -v[88:89], v[84:85], v[21:22]
	;; [unrolled: 2-line block ×4, first 2 shown]
	v_fma_f64 v[15:16], v[78:79], v[84:85], v[15:16]
	s_and_not1_b32 exec_lo, exec_lo, s0
	s_cbranch_execnz .LBB123_17
; %bb.18:
	s_or_b32 exec_lo, exec_lo, s0
.LBB123_19:
	s_delay_alu instid0(SALU_CYCLE_1)
	s_or_b32 exec_lo, exec_lo, s1
.LBB123_20:
	v_mbcnt_lo_u32_b32 v44, -1, 0
	s_delay_alu instid0(VALU_DEP_1) | instskip(NEXT) | instid1(VALU_DEP_1)
	v_xor_b32_e32 v25, 8, v44
	v_cmp_gt_i32_e32 vcc_lo, 32, v25
	v_cndmask_b32_e32 v25, v44, v25, vcc_lo
	s_delay_alu instid0(VALU_DEP_1)
	v_lshlrev_b32_e32 v40, 2, v25
	ds_bpermute_b32 v25, v40, v13
	ds_bpermute_b32 v26, v40, v14
	;; [unrolled: 1-line block ×16, first 2 shown]
	s_waitcnt lgkmcnt(14)
	v_add_f64 v[13:14], v[13:14], v[25:26]
	v_xor_b32_e32 v25, 4, v44
	s_waitcnt lgkmcnt(12)
	v_add_f64 v[9:10], v[9:10], v[27:28]
	s_waitcnt lgkmcnt(10)
	v_add_f64 v[21:22], v[21:22], v[29:30]
	s_waitcnt lgkmcnt(8)
	v_add_f64 v[23:24], v[23:24], v[31:32]
	v_cmp_gt_i32_e32 vcc_lo, 32, v25
	s_waitcnt lgkmcnt(6)
	v_add_f64 v[17:18], v[17:18], v[33:34]
	s_waitcnt lgkmcnt(4)
	v_add_f64 v[19:20], v[19:20], v[35:36]
	;; [unrolled: 2-line block ×3, first 2 shown]
	v_cndmask_b32_e32 v25, v44, v25, vcc_lo
	s_waitcnt lgkmcnt(0)
	v_add_f64 v[15:16], v[15:16], v[39:40]
	s_delay_alu instid0(VALU_DEP_2)
	v_lshlrev_b32_e32 v40, 2, v25
	ds_bpermute_b32 v25, v40, v13
	ds_bpermute_b32 v26, v40, v14
	;; [unrolled: 1-line block ×16, first 2 shown]
	s_waitcnt lgkmcnt(14)
	v_add_f64 v[13:14], v[13:14], v[25:26]
	s_waitcnt lgkmcnt(12)
	v_add_f64 v[25:26], v[9:10], v[27:28]
	v_xor_b32_e32 v9, 2, v44
	s_waitcnt lgkmcnt(10)
	v_add_f64 v[21:22], v[21:22], v[29:30]
	s_waitcnt lgkmcnt(8)
	v_add_f64 v[27:28], v[23:24], v[31:32]
	s_waitcnt lgkmcnt(6)
	v_add_f64 v[17:18], v[17:18], v[33:34]
	v_cmp_gt_i32_e32 vcc_lo, 32, v9
	s_waitcnt lgkmcnt(4)
	v_add_f64 v[19:20], v[19:20], v[35:36]
	s_waitcnt lgkmcnt(2)
	v_add_f64 v[29:30], v[11:12], v[37:38]
	s_waitcnt lgkmcnt(0)
	v_add_f64 v[31:32], v[15:16], v[39:40]
	v_cndmask_b32_e32 v9, v44, v9, vcc_lo
	s_delay_alu instid0(VALU_DEP_1)
	v_lshlrev_b32_e32 v23, 2, v9
	ds_bpermute_b32 v9, v23, v13
	ds_bpermute_b32 v10, v23, v14
	;; [unrolled: 1-line block ×16, first 2 shown]
	s_waitcnt lgkmcnt(14)
	v_add_f64 v[9:10], v[13:14], v[9:10]
	s_waitcnt lgkmcnt(12)
	v_add_f64 v[23:24], v[25:26], v[11:12]
	v_xor_b32_e32 v25, 1, v44
	s_waitcnt lgkmcnt(10)
	v_add_f64 v[11:12], v[21:22], v[15:16]
	s_waitcnt lgkmcnt(8)
	v_add_f64 v[21:22], v[27:28], v[33:34]
	;; [unrolled: 2-line block ×3, first 2 shown]
	v_cmp_gt_i32_e32 vcc_lo, 32, v25
	s_waitcnt lgkmcnt(4)
	v_add_f64 v[19:20], v[19:20], v[37:38]
	s_waitcnt lgkmcnt(2)
	v_add_f64 v[15:16], v[29:30], v[39:40]
	;; [unrolled: 2-line block ×3, first 2 shown]
	v_cndmask_b32_e32 v25, v44, v25, vcc_lo
	v_cmp_eq_u32_e32 vcc_lo, 15, v41
	s_delay_alu instid0(VALU_DEP_2)
	v_lshlrev_b32_e32 v28, 2, v25
	ds_bpermute_b32 v39, v28, v9
	ds_bpermute_b32 v40, v28, v10
	;; [unrolled: 1-line block ×16, first 2 shown]
	s_and_b32 exec_lo, exec_lo, vcc_lo
	s_cbranch_execz .LBB123_25
; %bb.21:
	v_cmp_eq_f64_e32 vcc_lo, 0, v[4:5]
	v_cmp_eq_f64_e64 s0, 0, v[6:7]
	s_waitcnt lgkmcnt(14)
	v_add_f64 v[9:10], v[9:10], v[39:40]
	s_waitcnt lgkmcnt(12)
	v_add_f64 v[23:24], v[23:24], v[37:38]
	;; [unrolled: 2-line block ×8, first 2 shown]
	s_load_b64 s[2:3], s[2:3], 0x48
	s_and_b32 s0, vcc_lo, s0
	s_delay_alu instid0(SALU_CYCLE_1) | instskip(NEXT) | instid1(SALU_CYCLE_1)
	s_and_saveexec_b32 s1, s0
	s_xor_b32 s0, exec_lo, s1
	s_cbranch_execz .LBB123_23
; %bb.22:
	v_mul_f64 v[4:5], v[23:24], -v[2:3]
	v_mul_f64 v[6:7], v[0:1], v[23:24]
	v_mul_f64 v[23:24], v[21:22], -v[2:3]
	v_mul_f64 v[21:22], v[0:1], v[21:22]
	;; [unrolled: 2-line block ×4, first 2 shown]
	v_fma_f64 v[4:5], v[0:1], v[9:10], v[4:5]
	v_fma_f64 v[6:7], v[2:3], v[9:10], v[6:7]
	;; [unrolled: 1-line block ×8, first 2 shown]
	v_lshlrev_b32_e32 v13, 2, v8
                                        ; implicit-def: $vgpr8
                                        ; implicit-def: $vgpr23_vgpr24
                                        ; implicit-def: $vgpr21_vgpr22
                                        ; implicit-def: $vgpr15_vgpr16
	s_delay_alu instid0(VALU_DEP_1) | instskip(NEXT) | instid1(VALU_DEP_1)
	v_ashrrev_i32_e32 v14, 31, v13
	v_lshlrev_b64 v[13:14], 4, v[13:14]
	s_waitcnt lgkmcnt(0)
	s_delay_alu instid0(VALU_DEP_1) | instskip(NEXT) | instid1(VALU_DEP_2)
	v_add_co_u32 v13, vcc_lo, s2, v13
	v_add_co_ci_u32_e32 v14, vcc_lo, s3, v14, vcc_lo
	s_clause 0x3
	global_store_b128 v[13:14], v[4:7], off
	global_store_b128 v[13:14], v[9:12], off offset:16
	global_store_b128 v[13:14], v[17:20], off offset:32
	;; [unrolled: 1-line block ×3, first 2 shown]
                                        ; implicit-def: $vgpr0_vgpr1
                                        ; implicit-def: $vgpr2_vgpr3
                                        ; implicit-def: $vgpr4_vgpr5
                                        ; implicit-def: $vgpr6_vgpr7
                                        ; implicit-def: $vgpr9_vgpr10
                                        ; implicit-def: $vgpr11_vgpr12
                                        ; implicit-def: $vgpr13_vgpr14
                                        ; implicit-def: $vgpr19_vgpr20
                                        ; implicit-def: $vgpr17_vgpr18
.LBB123_23:
	s_and_not1_saveexec_b32 s0, s0
	s_cbranch_execz .LBB123_25
; %bb.24:
	v_lshlrev_b32_e32 v25, 2, v8
	v_mul_f64 v[43:44], v[23:24], -v[2:3]
	v_mul_f64 v[23:24], v[0:1], v[23:24]
	v_mul_f64 v[45:46], v[21:22], -v[2:3]
	v_mul_f64 v[21:22], v[0:1], v[21:22]
	v_ashrrev_i32_e32 v26, 31, v25
	v_mul_f64 v[47:48], v[19:20], -v[2:3]
	v_mul_f64 v[19:20], v[0:1], v[19:20]
	v_mul_f64 v[49:50], v[17:18], -v[2:3]
	v_mul_f64 v[17:18], v[0:1], v[17:18]
	v_lshlrev_b64 v[25:26], 4, v[25:26]
	s_waitcnt lgkmcnt(0)
	s_delay_alu instid0(VALU_DEP_1) | instskip(NEXT) | instid1(VALU_DEP_2)
	v_add_co_u32 v41, vcc_lo, s2, v25
	v_add_co_ci_u32_e32 v42, vcc_lo, s3, v26, vcc_lo
	s_clause 0x3
	global_load_b128 v[25:28], v[41:42], off
	global_load_b128 v[29:32], v[41:42], off offset:16
	global_load_b128 v[33:36], v[41:42], off offset:32
	;; [unrolled: 1-line block ×3, first 2 shown]
	v_fma_f64 v[43:44], v[0:1], v[9:10], v[43:44]
	v_fma_f64 v[8:9], v[2:3], v[9:10], v[23:24]
	;; [unrolled: 1-line block ×8, first 2 shown]
	s_waitcnt vmcnt(3)
	v_fma_f64 v[14:15], v[4:5], v[25:26], v[43:44]
	v_fma_f64 v[8:9], v[6:7], v[25:26], v[8:9]
	s_waitcnt vmcnt(2)
	v_fma_f64 v[16:17], v[4:5], v[29:30], v[23:24]
	v_fma_f64 v[10:11], v[6:7], v[29:30], v[10:11]
	;; [unrolled: 3-line block ×4, first 2 shown]
	v_fma_f64 v[0:1], -v[6:7], v[27:28], v[14:15]
	v_fma_f64 v[2:3], v[4:5], v[27:28], v[8:9]
	v_fma_f64 v[8:9], -v[6:7], v[31:32], v[16:17]
	v_fma_f64 v[10:11], v[4:5], v[31:32], v[10:11]
	;; [unrolled: 2-line block ×4, first 2 shown]
	s_clause 0x3
	global_store_b128 v[41:42], v[0:3], off
	global_store_b128 v[41:42], v[8:11], off offset:16
	global_store_b128 v[41:42], v[12:15], off offset:32
	;; [unrolled: 1-line block ×3, first 2 shown]
.LBB123_25:
	s_nop 0
	s_sendmsg sendmsg(MSG_DEALLOC_VGPRS)
	s_endpgm
	.section	.rodata,"a",@progbits
	.p2align	6, 0x0
	.amdhsa_kernel _ZN9rocsparseL19gebsrmvn_4xn_kernelILj128ELj3ELj16E21rocsparse_complex_numIdEEEvi20rocsparse_direction_NS_24const_host_device_scalarIT2_EEPKiS8_PKS5_SA_S6_PS5_21rocsparse_index_base_b
		.amdhsa_group_segment_fixed_size 2048
		.amdhsa_private_segment_fixed_size 0
		.amdhsa_kernarg_size 88
		.amdhsa_user_sgpr_count 15
		.amdhsa_user_sgpr_dispatch_ptr 1
		.amdhsa_user_sgpr_queue_ptr 0
		.amdhsa_user_sgpr_kernarg_segment_ptr 1
		.amdhsa_user_sgpr_dispatch_id 0
		.amdhsa_user_sgpr_private_segment_size 0
		.amdhsa_wavefront_size32 1
		.amdhsa_uses_dynamic_stack 0
		.amdhsa_enable_private_segment 0
		.amdhsa_system_sgpr_workgroup_id_x 1
		.amdhsa_system_sgpr_workgroup_id_y 0
		.amdhsa_system_sgpr_workgroup_id_z 0
		.amdhsa_system_sgpr_workgroup_info 0
		.amdhsa_system_vgpr_workitem_id 2
		.amdhsa_next_free_vgpr 94
		.amdhsa_next_free_sgpr 18
		.amdhsa_reserve_vcc 1
		.amdhsa_float_round_mode_32 0
		.amdhsa_float_round_mode_16_64 0
		.amdhsa_float_denorm_mode_32 3
		.amdhsa_float_denorm_mode_16_64 3
		.amdhsa_dx10_clamp 1
		.amdhsa_ieee_mode 1
		.amdhsa_fp16_overflow 0
		.amdhsa_workgroup_processor_mode 1
		.amdhsa_memory_ordered 1
		.amdhsa_forward_progress 0
		.amdhsa_shared_vgpr_count 0
		.amdhsa_exception_fp_ieee_invalid_op 0
		.amdhsa_exception_fp_denorm_src 0
		.amdhsa_exception_fp_ieee_div_zero 0
		.amdhsa_exception_fp_ieee_overflow 0
		.amdhsa_exception_fp_ieee_underflow 0
		.amdhsa_exception_fp_ieee_inexact 0
		.amdhsa_exception_int_div_zero 0
	.end_amdhsa_kernel
	.section	.text._ZN9rocsparseL19gebsrmvn_4xn_kernelILj128ELj3ELj16E21rocsparse_complex_numIdEEEvi20rocsparse_direction_NS_24const_host_device_scalarIT2_EEPKiS8_PKS5_SA_S6_PS5_21rocsparse_index_base_b,"axG",@progbits,_ZN9rocsparseL19gebsrmvn_4xn_kernelILj128ELj3ELj16E21rocsparse_complex_numIdEEEvi20rocsparse_direction_NS_24const_host_device_scalarIT2_EEPKiS8_PKS5_SA_S6_PS5_21rocsparse_index_base_b,comdat
.Lfunc_end123:
	.size	_ZN9rocsparseL19gebsrmvn_4xn_kernelILj128ELj3ELj16E21rocsparse_complex_numIdEEEvi20rocsparse_direction_NS_24const_host_device_scalarIT2_EEPKiS8_PKS5_SA_S6_PS5_21rocsparse_index_base_b, .Lfunc_end123-_ZN9rocsparseL19gebsrmvn_4xn_kernelILj128ELj3ELj16E21rocsparse_complex_numIdEEEvi20rocsparse_direction_NS_24const_host_device_scalarIT2_EEPKiS8_PKS5_SA_S6_PS5_21rocsparse_index_base_b
                                        ; -- End function
	.section	.AMDGPU.csdata,"",@progbits
; Kernel info:
; codeLenInByte = 4216
; NumSgprs: 20
; NumVgprs: 94
; ScratchSize: 0
; MemoryBound: 0
; FloatMode: 240
; IeeeMode: 1
; LDSByteSize: 2048 bytes/workgroup (compile time only)
; SGPRBlocks: 2
; VGPRBlocks: 11
; NumSGPRsForWavesPerEU: 20
; NumVGPRsForWavesPerEU: 94
; Occupancy: 16
; WaveLimiterHint : 1
; COMPUTE_PGM_RSRC2:SCRATCH_EN: 0
; COMPUTE_PGM_RSRC2:USER_SGPR: 15
; COMPUTE_PGM_RSRC2:TRAP_HANDLER: 0
; COMPUTE_PGM_RSRC2:TGID_X_EN: 1
; COMPUTE_PGM_RSRC2:TGID_Y_EN: 0
; COMPUTE_PGM_RSRC2:TGID_Z_EN: 0
; COMPUTE_PGM_RSRC2:TIDIG_COMP_CNT: 2
	.section	.text._ZN9rocsparseL19gebsrmvn_4xn_kernelILj128ELj3ELj32E21rocsparse_complex_numIdEEEvi20rocsparse_direction_NS_24const_host_device_scalarIT2_EEPKiS8_PKS5_SA_S6_PS5_21rocsparse_index_base_b,"axG",@progbits,_ZN9rocsparseL19gebsrmvn_4xn_kernelILj128ELj3ELj32E21rocsparse_complex_numIdEEEvi20rocsparse_direction_NS_24const_host_device_scalarIT2_EEPKiS8_PKS5_SA_S6_PS5_21rocsparse_index_base_b,comdat
	.globl	_ZN9rocsparseL19gebsrmvn_4xn_kernelILj128ELj3ELj32E21rocsparse_complex_numIdEEEvi20rocsparse_direction_NS_24const_host_device_scalarIT2_EEPKiS8_PKS5_SA_S6_PS5_21rocsparse_index_base_b ; -- Begin function _ZN9rocsparseL19gebsrmvn_4xn_kernelILj128ELj3ELj32E21rocsparse_complex_numIdEEEvi20rocsparse_direction_NS_24const_host_device_scalarIT2_EEPKiS8_PKS5_SA_S6_PS5_21rocsparse_index_base_b
	.p2align	8
	.type	_ZN9rocsparseL19gebsrmvn_4xn_kernelILj128ELj3ELj32E21rocsparse_complex_numIdEEEvi20rocsparse_direction_NS_24const_host_device_scalarIT2_EEPKiS8_PKS5_SA_S6_PS5_21rocsparse_index_base_b,@function
_ZN9rocsparseL19gebsrmvn_4xn_kernelILj128ELj3ELj32E21rocsparse_complex_numIdEEEvi20rocsparse_direction_NS_24const_host_device_scalarIT2_EEPKiS8_PKS5_SA_S6_PS5_21rocsparse_index_base_b: ; @_ZN9rocsparseL19gebsrmvn_4xn_kernelILj128ELj3ELj32E21rocsparse_complex_numIdEEEvi20rocsparse_direction_NS_24const_host_device_scalarIT2_EEPKiS8_PKS5_SA_S6_PS5_21rocsparse_index_base_b
; %bb.0:
	s_load_b64 s[12:13], s[2:3], 0x50
	s_load_b64 s[16:17], s[0:1], 0x4
	s_load_b128 s[8:11], s[2:3], 0x8
	v_bfe_u32 v1, v0, 10, 10
	s_mov_b64 s[0:1], src_shared_base
	s_load_b128 s[4:7], s[2:3], 0x38
	v_and_b32_e32 v10, 0x3ff, v0
	v_bfe_u32 v0, v0, 20, 10
	s_waitcnt lgkmcnt(0)
	s_bitcmp1_b32 s13, 0
	v_mul_u32_u24_e32 v1, s17, v1
	s_cselect_b32 s0, -1, 0
	s_delay_alu instid0(SALU_CYCLE_1)
	s_and_b32 vcc_lo, s0, exec_lo
	s_cselect_b32 s13, s1, s9
	s_lshr_b32 s14, s16, 16
	v_dual_mov_b32 v2, s4 :: v_dual_mov_b32 v3, s5
	s_mul_i32 s14, s14, s17
	v_mov_b32_e32 v6, s13
	v_mad_u32_u24 v1, s14, v10, v1
	s_delay_alu instid0(VALU_DEP_1) | instskip(SKIP_1) | instid1(VALU_DEP_2)
	v_add_lshl_u32 v4, v1, v0, 3
	v_dual_mov_b32 v0, s8 :: v_dual_mov_b32 v1, s9
	v_add_nc_u32_e32 v5, 0x400, v4
	ds_store_2addr_stride64_b64 v4, v[2:3], v[0:1] offset1:2
	v_dual_mov_b32 v2, s10 :: v_dual_mov_b32 v3, s11
	v_cndmask_b32_e64 v5, s8, v5, s0
	s_xor_b32 s10, s0, -1
	flat_load_b64 v[0:1], v[5:6]
	s_cbranch_vccnz .LBB124_2
; %bb.1:
	v_dual_mov_b32 v2, s8 :: v_dual_mov_b32 v3, s9
	flat_load_b64 v[2:3], v[2:3] offset:8
.LBB124_2:
	s_and_b32 s8, s0, exec_lo
	s_cselect_b32 s1, s1, s5
	v_cndmask_b32_e64 v4, s4, v4, s0
	v_dual_mov_b32 v5, s1 :: v_dual_mov_b32 v6, s6
	v_mov_b32_e32 v7, s7
	s_and_not1_b32 vcc_lo, exec_lo, s10
	flat_load_b64 v[4:5], v[4:5]
	s_cbranch_vccnz .LBB124_4
; %bb.3:
	v_dual_mov_b32 v7, s5 :: v_dual_mov_b32 v6, s4
	flat_load_b64 v[6:7], v[6:7] offset:8
.LBB124_4:
	s_waitcnt vmcnt(1) lgkmcnt(1)
	v_cmp_eq_f64_e32 vcc_lo, 0, v[0:1]
	v_cmp_eq_f64_e64 s0, 0, v[2:3]
	s_delay_alu instid0(VALU_DEP_1)
	s_and_b32 s4, vcc_lo, s0
	s_mov_b32 s0, -1
	s_and_saveexec_b32 s1, s4
	s_cbranch_execz .LBB124_6
; %bb.5:
	s_waitcnt vmcnt(0) lgkmcnt(0)
	v_cmp_neq_f64_e32 vcc_lo, 1.0, v[4:5]
	v_cmp_neq_f64_e64 s0, 0, v[6:7]
	s_delay_alu instid0(VALU_DEP_1) | instskip(NEXT) | instid1(SALU_CYCLE_1)
	s_or_b32 s0, vcc_lo, s0
	s_or_not1_b32 s0, s0, exec_lo
.LBB124_6:
	s_or_b32 exec_lo, exec_lo, s1
	s_and_saveexec_b32 s1, s0
	s_cbranch_execz .LBB124_25
; %bb.7:
	s_load_b64 s[0:1], s[2:3], 0x0
	v_lshrrev_b32_e32 v8, 5, v10
	s_delay_alu instid0(VALU_DEP_1) | instskip(SKIP_1) | instid1(VALU_DEP_1)
	v_lshl_or_b32 v8, s15, 2, v8
	s_waitcnt lgkmcnt(0)
	v_cmp_gt_i32_e32 vcc_lo, s0, v8
	s_and_b32 exec_lo, exec_lo, vcc_lo
	s_cbranch_execz .LBB124_25
; %bb.8:
	s_load_b256 s[4:11], s[2:3], 0x18
	v_ashrrev_i32_e32 v9, 31, v8
	v_and_b32_e32 v41, 31, v10
	s_cmp_lg_u32 s1, 0
	s_delay_alu instid0(VALU_DEP_2) | instskip(SKIP_1) | instid1(VALU_DEP_1)
	v_lshlrev_b64 v[11:12], 2, v[8:9]
	s_waitcnt lgkmcnt(0)
	v_add_co_u32 v11, vcc_lo, s4, v11
	s_delay_alu instid0(VALU_DEP_2) | instskip(SKIP_4) | instid1(VALU_DEP_2)
	v_add_co_ci_u32_e32 v12, vcc_lo, s5, v12, vcc_lo
	global_load_b64 v[11:12], v[11:12], off
	s_waitcnt vmcnt(0)
	v_subrev_nc_u32_e32 v9, s12, v11
	v_subrev_nc_u32_e32 v30, s12, v12
	v_add_nc_u32_e32 v25, v9, v41
	s_delay_alu instid0(VALU_DEP_1)
	v_cmp_lt_i32_e64 s0, v25, v30
	s_cbranch_scc0 .LBB124_14
; %bb.9:
	v_mov_b32_e32 v9, 0
	v_mov_b32_e32 v10, 0
	s_delay_alu instid0(VALU_DEP_1)
	v_dual_mov_b32 v14, v10 :: v_dual_mov_b32 v13, v9
	v_dual_mov_b32 v12, v10 :: v_dual_mov_b32 v11, v9
	;; [unrolled: 1-line block ×7, first 2 shown]
	s_and_saveexec_b32 s1, s0
	s_cbranch_execz .LBB124_13
; %bb.10:
	v_dual_mov_b32 v9, 0 :: v_dual_mov_b32 v28, v25
	v_dual_mov_b32 v10, 0 :: v_dual_mov_b32 v27, 0
	v_mul_lo_u32 v26, v25, 12
	s_mov_b32 s4, 0
	s_delay_alu instid0(VALU_DEP_2)
	v_dual_mov_b32 v14, v10 :: v_dual_mov_b32 v13, v9
	v_dual_mov_b32 v12, v10 :: v_dual_mov_b32 v11, v9
	;; [unrolled: 1-line block ×7, first 2 shown]
.LBB124_11:                             ; =>This Inner Loop Header: Depth=1
	v_ashrrev_i32_e32 v29, 31, v28
	v_dual_mov_b32 v55, v27 :: v_dual_add_nc_u32 v54, 4, v26
	v_dual_mov_b32 v75, v27 :: v_dual_add_nc_u32 v74, 8, v26
	s_delay_alu instid0(VALU_DEP_3) | instskip(SKIP_1) | instid1(VALU_DEP_4)
	v_lshlrev_b64 v[31:32], 2, v[28:29]
	v_add_nc_u32_e32 v28, 32, v28
	v_lshlrev_b64 v[54:55], 4, v[54:55]
	s_delay_alu instid0(VALU_DEP_4) | instskip(NEXT) | instid1(VALU_DEP_4)
	v_lshlrev_b64 v[74:75], 4, v[74:75]
	v_add_co_u32 v31, vcc_lo, s6, v31
	v_add_co_ci_u32_e32 v32, vcc_lo, s7, v32, vcc_lo
	global_load_b32 v29, v[31:32], off
	v_lshlrev_b64 v[31:32], 4, v[26:27]
	v_add_nc_u32_e32 v26, 0x180, v26
	s_delay_alu instid0(VALU_DEP_2) | instskip(NEXT) | instid1(VALU_DEP_3)
	v_add_co_u32 v46, vcc_lo, s8, v31
	v_add_co_ci_u32_e32 v47, vcc_lo, s9, v32, vcc_lo
	s_clause 0x3
	global_load_b128 v[31:34], v[46:47], off offset:48
	global_load_b128 v[35:38], v[46:47], off offset:32
	;; [unrolled: 1-line block ×3, first 2 shown]
	global_load_b128 v[46:49], v[46:47], off
	s_waitcnt vmcnt(4)
	v_subrev_nc_u32_e32 v29, s12, v29
	s_delay_alu instid0(VALU_DEP_1) | instskip(SKIP_1) | instid1(VALU_DEP_2)
	v_lshl_add_u32 v39, v29, 1, v29
	v_mov_b32_e32 v40, v27
	v_dual_mov_b32 v71, v27 :: v_dual_add_nc_u32 v70, 1, v39
	s_delay_alu instid0(VALU_DEP_2) | instskip(SKIP_1) | instid1(VALU_DEP_3)
	v_lshlrev_b64 v[50:51], 4, v[39:40]
	v_add_nc_u32_e32 v39, 2, v39
	v_lshlrev_b64 v[70:71], 4, v[70:71]
	s_delay_alu instid0(VALU_DEP_3) | instskip(NEXT) | instid1(VALU_DEP_4)
	v_add_co_u32 v50, vcc_lo, s10, v50
	v_add_co_ci_u32_e32 v51, vcc_lo, s11, v51, vcc_lo
	v_add_co_u32 v66, vcc_lo, s8, v54
	v_add_co_ci_u32_e32 v67, vcc_lo, s9, v55, vcc_lo
	global_load_b128 v[50:53], v[50:51], off
	v_add_co_u32 v70, vcc_lo, s10, v70
	v_add_co_ci_u32_e32 v71, vcc_lo, s11, v71, vcc_lo
	s_clause 0x3
	global_load_b128 v[54:57], v[66:67], off offset:48
	global_load_b128 v[58:61], v[66:67], off offset:32
	;; [unrolled: 1-line block ×3, first 2 shown]
	global_load_b128 v[66:69], v[66:67], off
	v_lshlrev_b64 v[39:40], 4, v[39:40]
	v_add_co_u32 v86, vcc_lo, s8, v74
	global_load_b128 v[70:73], v[70:71], off
	v_add_co_ci_u32_e32 v87, vcc_lo, s9, v75, vcc_lo
	v_add_co_u32 v39, vcc_lo, s10, v39
	v_add_co_ci_u32_e32 v40, vcc_lo, s11, v40, vcc_lo
	s_clause 0x3
	global_load_b128 v[74:77], v[86:87], off offset:48
	global_load_b128 v[78:81], v[86:87], off offset:32
	;; [unrolled: 1-line block ×3, first 2 shown]
	global_load_b128 v[86:89], v[86:87], off
	v_cmp_ge_i32_e32 vcc_lo, v28, v30
	global_load_b128 v[90:93], v[39:40], off
	s_or_b32 s4, vcc_lo, s4
	s_waitcnt vmcnt(10)
	v_fma_f64 v[13:14], v[46:47], v[50:51], v[13:14]
	v_fma_f64 v[9:10], v[48:49], v[50:51], v[9:10]
	v_fma_f64 v[21:22], v[42:43], v[50:51], v[21:22]
	v_fma_f64 v[23:24], v[44:45], v[50:51], v[23:24]
	v_fma_f64 v[17:18], v[35:36], v[50:51], v[17:18]
	v_fma_f64 v[19:20], v[37:38], v[50:51], v[19:20]
	v_fma_f64 v[11:12], v[31:32], v[50:51], v[11:12]
	v_fma_f64 v[15:16], v[33:34], v[50:51], v[15:16]
	v_fma_f64 v[13:14], -v[48:49], v[52:53], v[13:14]
	v_fma_f64 v[9:10], v[46:47], v[52:53], v[9:10]
	v_fma_f64 v[21:22], -v[44:45], v[52:53], v[21:22]
	v_fma_f64 v[23:24], v[42:43], v[52:53], v[23:24]
	v_fma_f64 v[17:18], -v[37:38], v[52:53], v[17:18]
	v_fma_f64 v[19:20], v[35:36], v[52:53], v[19:20]
	v_fma_f64 v[11:12], -v[33:34], v[52:53], v[11:12]
	v_fma_f64 v[15:16], v[31:32], v[52:53], v[15:16]
	s_waitcnt vmcnt(5)
	v_fma_f64 v[13:14], v[66:67], v[70:71], v[13:14]
	v_fma_f64 v[9:10], v[68:69], v[70:71], v[9:10]
	v_fma_f64 v[21:22], v[62:63], v[70:71], v[21:22]
	v_fma_f64 v[23:24], v[64:65], v[70:71], v[23:24]
	v_fma_f64 v[17:18], v[58:59], v[70:71], v[17:18]
	v_fma_f64 v[19:20], v[60:61], v[70:71], v[19:20]
	v_fma_f64 v[11:12], v[54:55], v[70:71], v[11:12]
	v_fma_f64 v[15:16], v[56:57], v[70:71], v[15:16]
	v_fma_f64 v[13:14], -v[68:69], v[72:73], v[13:14]
	v_fma_f64 v[9:10], v[66:67], v[72:73], v[9:10]
	v_fma_f64 v[21:22], -v[64:65], v[72:73], v[21:22]
	v_fma_f64 v[23:24], v[62:63], v[72:73], v[23:24]
	v_fma_f64 v[17:18], -v[60:61], v[72:73], v[17:18]
	v_fma_f64 v[19:20], v[58:59], v[72:73], v[19:20]
	v_fma_f64 v[11:12], -v[56:57], v[72:73], v[11:12]
	v_fma_f64 v[15:16], v[54:55], v[72:73], v[15:16]
	;; [unrolled: 17-line block ×3, first 2 shown]
	s_and_not1_b32 exec_lo, exec_lo, s4
	s_cbranch_execnz .LBB124_11
; %bb.12:
	s_or_b32 exec_lo, exec_lo, s4
.LBB124_13:
	s_delay_alu instid0(SALU_CYCLE_1)
	s_or_b32 exec_lo, exec_lo, s1
	s_cbranch_execz .LBB124_15
	s_branch .LBB124_20
.LBB124_14:
                                        ; implicit-def: $vgpr9_vgpr10
                                        ; implicit-def: $vgpr13_vgpr14
                                        ; implicit-def: $vgpr11_vgpr12
                                        ; implicit-def: $vgpr15_vgpr16
                                        ; implicit-def: $vgpr17_vgpr18
                                        ; implicit-def: $vgpr19_vgpr20
                                        ; implicit-def: $vgpr21_vgpr22
                                        ; implicit-def: $vgpr23_vgpr24
.LBB124_15:
	v_mov_b32_e32 v9, 0
	v_mov_b32_e32 v10, 0
	s_delay_alu instid0(VALU_DEP_1)
	v_dual_mov_b32 v14, v10 :: v_dual_mov_b32 v13, v9
	v_dual_mov_b32 v12, v10 :: v_dual_mov_b32 v11, v9
	;; [unrolled: 1-line block ×7, first 2 shown]
	s_and_saveexec_b32 s1, s0
	s_cbranch_execz .LBB124_19
; %bb.16:
	v_mov_b32_e32 v9, 0
	v_dual_mov_b32 v10, 0 :: v_dual_mov_b32 v29, 0
	v_mad_u64_u32 v[27:28], null, v25, 12, 11
	s_mov_b32 s0, 0
	s_delay_alu instid0(VALU_DEP_2)
	v_dual_mov_b32 v14, v10 :: v_dual_mov_b32 v13, v9
	v_dual_mov_b32 v12, v10 :: v_dual_mov_b32 v11, v9
	;; [unrolled: 1-line block ×7, first 2 shown]
.LBB124_17:                             ; =>This Inner Loop Header: Depth=1
	v_ashrrev_i32_e32 v26, 31, v25
	v_add_nc_u32_e32 v28, -11, v27
	v_dual_mov_b32 v34, v29 :: v_dual_add_nc_u32 v33, -2, v27
	v_mov_b32_e32 v40, v29
	s_delay_alu instid0(VALU_DEP_4) | instskip(SKIP_2) | instid1(VALU_DEP_3)
	v_lshlrev_b64 v[31:32], 2, v[25:26]
	v_add_nc_u32_e32 v25, 32, v25
	v_lshlrev_b64 v[35:36], 4, v[28:29]
	v_add_co_u32 v31, vcc_lo, s6, v31
	s_delay_alu instid0(VALU_DEP_4) | instskip(NEXT) | instid1(VALU_DEP_3)
	v_add_co_ci_u32_e32 v32, vcc_lo, s7, v32, vcc_lo
	v_add_co_u32 v74, vcc_lo, s8, v35
	s_delay_alu instid0(VALU_DEP_4) | instskip(SKIP_3) | instid1(VALU_DEP_2)
	v_add_co_ci_u32_e32 v75, vcc_lo, s9, v36, vcc_lo
	global_load_b32 v26, v[31:32], off
	v_dual_mov_b32 v32, v29 :: v_dual_add_nc_u32 v31, -5, v27
	v_lshlrev_b64 v[33:34], 4, v[33:34]
	v_lshlrev_b64 v[31:32], 4, v[31:32]
	s_delay_alu instid0(VALU_DEP_1) | instskip(NEXT) | instid1(VALU_DEP_2)
	v_add_co_u32 v46, vcc_lo, s8, v31
	v_add_co_ci_u32_e32 v47, vcc_lo, s9, v32, vcc_lo
	s_delay_alu instid0(VALU_DEP_4)
	v_add_co_u32 v50, vcc_lo, s8, v33
	v_add_co_ci_u32_e32 v51, vcc_lo, s9, v34, vcc_lo
	s_clause 0x4
	global_load_b128 v[31:34], v[74:75], off offset:48
	global_load_b128 v[35:38], v[74:75], off offset:16
	global_load_b128 v[42:45], v[74:75], off
	global_load_b128 v[46:49], v[46:47], off
	global_load_b128 v[50:53], v[50:51], off
	s_waitcnt vmcnt(5)
	v_subrev_nc_u32_e32 v26, s12, v26
	s_delay_alu instid0(VALU_DEP_1) | instskip(NEXT) | instid1(VALU_DEP_1)
	v_lshl_add_u32 v39, v26, 1, v26
	v_lshlrev_b64 v[54:55], 4, v[39:40]
	v_add_nc_u32_e32 v28, 1, v39
	s_delay_alu instid0(VALU_DEP_1) | instskip(NEXT) | instid1(VALU_DEP_3)
	v_lshlrev_b64 v[58:59], 4, v[28:29]
	v_add_co_u32 v54, vcc_lo, s10, v54
	s_delay_alu instid0(VALU_DEP_4) | instskip(SKIP_1) | instid1(VALU_DEP_4)
	v_add_co_ci_u32_e32 v55, vcc_lo, s11, v55, vcc_lo
	v_add_nc_u32_e32 v28, -7, v27
	v_add_co_u32 v58, vcc_lo, s10, v58
	global_load_b128 v[54:57], v[54:55], off
	v_add_co_ci_u32_e32 v59, vcc_lo, s11, v59, vcc_lo
	v_lshlrev_b64 v[62:63], 4, v[28:29]
	v_add_nc_u32_e32 v28, -4, v27
	global_load_b128 v[58:61], v[58:59], off
	v_lshlrev_b64 v[64:65], 4, v[28:29]
	v_add_nc_u32_e32 v28, -1, v27
	v_add_co_u32 v62, vcc_lo, s8, v62
	v_add_co_ci_u32_e32 v63, vcc_lo, s9, v63, vcc_lo
	s_delay_alu instid0(VALU_DEP_3) | instskip(SKIP_3) | instid1(VALU_DEP_4)
	v_lshlrev_b64 v[66:67], 4, v[28:29]
	v_add_co_u32 v68, vcc_lo, s8, v64
	v_add_co_ci_u32_e32 v69, vcc_lo, s9, v65, vcc_lo
	v_mov_b32_e32 v28, v29
	v_add_co_u32 v70, vcc_lo, s8, v66
	v_add_co_ci_u32_e32 v71, vcc_lo, s9, v67, vcc_lo
	s_clause 0x2
	global_load_b128 v[62:65], v[62:63], off
	global_load_b128 v[66:69], v[68:69], off
	;; [unrolled: 1-line block ×3, first 2 shown]
	v_lshlrev_b64 v[76:77], 4, v[27:28]
	v_add_nc_u32_e32 v28, 2, v39
	s_delay_alu instid0(VALU_DEP_1) | instskip(SKIP_1) | instid1(VALU_DEP_4)
	v_lshlrev_b64 v[39:40], 4, v[28:29]
	v_add_nc_u32_e32 v28, -6, v27
	v_add_co_u32 v78, vcc_lo, s8, v76
	v_add_co_ci_u32_e32 v79, vcc_lo, s9, v77, vcc_lo
	s_delay_alu instid0(VALU_DEP_3) | instskip(SKIP_4) | instid1(VALU_DEP_4)
	v_lshlrev_b64 v[86:87], 4, v[28:29]
	v_add_nc_u32_e32 v28, -3, v27
	v_add_nc_u32_e32 v27, 0x180, v27
	v_add_co_u32 v39, vcc_lo, s10, v39
	v_add_co_ci_u32_e32 v40, vcc_lo, s11, v40, vcc_lo
	v_lshlrev_b64 v[88:89], 4, v[28:29]
	s_clause 0x1
	global_load_b128 v[74:77], v[74:75], off offset:32
	global_load_b128 v[78:81], v[78:79], off
	global_load_b128 v[82:85], v[39:40], off
	v_add_co_u32 v39, vcc_lo, s8, v86
	v_add_co_ci_u32_e32 v40, vcc_lo, s9, v87, vcc_lo
	v_add_co_u32 v90, vcc_lo, s8, v88
	v_add_co_ci_u32_e32 v91, vcc_lo, s9, v89, vcc_lo
	s_clause 0x1
	global_load_b128 v[86:89], v[39:40], off
	global_load_b128 v[90:93], v[90:91], off
	v_cmp_ge_i32_e32 vcc_lo, v25, v30
	s_or_b32 s0, vcc_lo, s0
	s_waitcnt vmcnt(9)
	v_fma_f64 v[13:14], v[42:43], v[54:55], v[13:14]
	v_fma_f64 v[9:10], v[44:45], v[54:55], v[9:10]
	;; [unrolled: 1-line block ×8, first 2 shown]
	v_fma_f64 v[13:14], -v[44:45], v[56:57], v[13:14]
	v_fma_f64 v[9:10], v[42:43], v[56:57], v[9:10]
	v_fma_f64 v[21:22], -v[33:34], v[56:57], v[21:22]
	v_fma_f64 v[23:24], v[31:32], v[56:57], v[23:24]
	;; [unrolled: 2-line block ×4, first 2 shown]
	s_waitcnt vmcnt(8)
	v_fma_f64 v[13:14], v[35:36], v[58:59], v[13:14]
	v_fma_f64 v[9:10], v[37:38], v[58:59], v[9:10]
	s_waitcnt vmcnt(7)
	v_fma_f64 v[21:22], v[62:63], v[58:59], v[21:22]
	v_fma_f64 v[23:24], v[64:65], v[58:59], v[23:24]
	;; [unrolled: 3-line block ×4, first 2 shown]
	v_fma_f64 v[13:14], -v[37:38], v[60:61], v[13:14]
	v_fma_f64 v[9:10], v[35:36], v[60:61], v[9:10]
	v_fma_f64 v[21:22], -v[64:65], v[60:61], v[21:22]
	v_fma_f64 v[23:24], v[62:63], v[60:61], v[23:24]
	;; [unrolled: 2-line block ×4, first 2 shown]
	s_waitcnt vmcnt(2)
	v_fma_f64 v[13:14], v[74:75], v[82:83], v[13:14]
	v_fma_f64 v[9:10], v[76:77], v[82:83], v[9:10]
	s_waitcnt vmcnt(1)
	v_fma_f64 v[21:22], v[86:87], v[82:83], v[21:22]
	v_fma_f64 v[23:24], v[88:89], v[82:83], v[23:24]
	;; [unrolled: 3-line block ×3, first 2 shown]
	v_fma_f64 v[11:12], v[78:79], v[82:83], v[11:12]
	v_fma_f64 v[15:16], v[80:81], v[82:83], v[15:16]
	v_fma_f64 v[13:14], -v[76:77], v[84:85], v[13:14]
	v_fma_f64 v[9:10], v[74:75], v[84:85], v[9:10]
	v_fma_f64 v[21:22], -v[88:89], v[84:85], v[21:22]
	;; [unrolled: 2-line block ×4, first 2 shown]
	v_fma_f64 v[15:16], v[78:79], v[84:85], v[15:16]
	s_and_not1_b32 exec_lo, exec_lo, s0
	s_cbranch_execnz .LBB124_17
; %bb.18:
	s_or_b32 exec_lo, exec_lo, s0
.LBB124_19:
	s_delay_alu instid0(SALU_CYCLE_1)
	s_or_b32 exec_lo, exec_lo, s1
.LBB124_20:
	v_mbcnt_lo_u32_b32 v44, -1, 0
	s_delay_alu instid0(VALU_DEP_1) | instskip(NEXT) | instid1(VALU_DEP_1)
	v_xor_b32_e32 v25, 16, v44
	v_cmp_gt_i32_e32 vcc_lo, 32, v25
	v_cndmask_b32_e32 v25, v44, v25, vcc_lo
	s_delay_alu instid0(VALU_DEP_1)
	v_lshlrev_b32_e32 v40, 2, v25
	ds_bpermute_b32 v25, v40, v13
	ds_bpermute_b32 v26, v40, v14
	;; [unrolled: 1-line block ×16, first 2 shown]
	s_waitcnt lgkmcnt(14)
	v_add_f64 v[13:14], v[13:14], v[25:26]
	v_xor_b32_e32 v25, 8, v44
	s_waitcnt lgkmcnt(12)
	v_add_f64 v[9:10], v[9:10], v[27:28]
	s_waitcnt lgkmcnt(10)
	v_add_f64 v[21:22], v[21:22], v[29:30]
	s_waitcnt lgkmcnt(8)
	v_add_f64 v[23:24], v[23:24], v[31:32]
	v_cmp_gt_i32_e32 vcc_lo, 32, v25
	s_waitcnt lgkmcnt(6)
	v_add_f64 v[17:18], v[17:18], v[33:34]
	s_waitcnt lgkmcnt(4)
	v_add_f64 v[19:20], v[19:20], v[35:36]
	;; [unrolled: 2-line block ×3, first 2 shown]
	v_cndmask_b32_e32 v25, v44, v25, vcc_lo
	s_waitcnt lgkmcnt(0)
	v_add_f64 v[15:16], v[15:16], v[39:40]
	s_delay_alu instid0(VALU_DEP_2)
	v_lshlrev_b32_e32 v40, 2, v25
	ds_bpermute_b32 v25, v40, v13
	ds_bpermute_b32 v26, v40, v14
	;; [unrolled: 1-line block ×16, first 2 shown]
	s_waitcnt lgkmcnt(14)
	v_add_f64 v[13:14], v[13:14], v[25:26]
	v_xor_b32_e32 v25, 4, v44
	s_waitcnt lgkmcnt(12)
	v_add_f64 v[9:10], v[9:10], v[27:28]
	s_waitcnt lgkmcnt(10)
	v_add_f64 v[21:22], v[21:22], v[29:30]
	;; [unrolled: 2-line block ×3, first 2 shown]
	v_cmp_gt_i32_e32 vcc_lo, 32, v25
	s_waitcnt lgkmcnt(6)
	v_add_f64 v[17:18], v[17:18], v[33:34]
	s_waitcnt lgkmcnt(4)
	v_add_f64 v[19:20], v[19:20], v[35:36]
	;; [unrolled: 2-line block ×3, first 2 shown]
	v_cndmask_b32_e32 v25, v44, v25, vcc_lo
	s_waitcnt lgkmcnt(0)
	v_add_f64 v[15:16], v[15:16], v[39:40]
	s_delay_alu instid0(VALU_DEP_2)
	v_lshlrev_b32_e32 v40, 2, v25
	ds_bpermute_b32 v25, v40, v13
	ds_bpermute_b32 v26, v40, v14
	;; [unrolled: 1-line block ×16, first 2 shown]
	s_waitcnt lgkmcnt(14)
	v_add_f64 v[13:14], v[13:14], v[25:26]
	s_waitcnt lgkmcnt(12)
	v_add_f64 v[25:26], v[9:10], v[27:28]
	v_xor_b32_e32 v9, 2, v44
	s_waitcnt lgkmcnt(10)
	v_add_f64 v[21:22], v[21:22], v[29:30]
	s_waitcnt lgkmcnt(8)
	v_add_f64 v[27:28], v[23:24], v[31:32]
	;; [unrolled: 2-line block ×3, first 2 shown]
	v_cmp_gt_i32_e32 vcc_lo, 32, v9
	s_waitcnt lgkmcnt(4)
	v_add_f64 v[19:20], v[19:20], v[35:36]
	s_waitcnt lgkmcnt(2)
	v_add_f64 v[29:30], v[11:12], v[37:38]
	;; [unrolled: 2-line block ×3, first 2 shown]
	v_cndmask_b32_e32 v9, v44, v9, vcc_lo
	s_delay_alu instid0(VALU_DEP_1)
	v_lshlrev_b32_e32 v23, 2, v9
	ds_bpermute_b32 v9, v23, v13
	ds_bpermute_b32 v10, v23, v14
	;; [unrolled: 1-line block ×16, first 2 shown]
	s_waitcnt lgkmcnt(14)
	v_add_f64 v[9:10], v[13:14], v[9:10]
	s_waitcnt lgkmcnt(12)
	v_add_f64 v[23:24], v[25:26], v[11:12]
	v_xor_b32_e32 v25, 1, v44
	s_waitcnt lgkmcnt(10)
	v_add_f64 v[11:12], v[21:22], v[15:16]
	s_waitcnt lgkmcnt(8)
	v_add_f64 v[21:22], v[27:28], v[33:34]
	;; [unrolled: 2-line block ×3, first 2 shown]
	v_cmp_gt_i32_e32 vcc_lo, 32, v25
	s_waitcnt lgkmcnt(4)
	v_add_f64 v[19:20], v[19:20], v[37:38]
	s_waitcnt lgkmcnt(2)
	v_add_f64 v[15:16], v[29:30], v[39:40]
	;; [unrolled: 2-line block ×3, first 2 shown]
	v_cndmask_b32_e32 v25, v44, v25, vcc_lo
	v_cmp_eq_u32_e32 vcc_lo, 31, v41
	s_delay_alu instid0(VALU_DEP_2)
	v_lshlrev_b32_e32 v28, 2, v25
	ds_bpermute_b32 v39, v28, v9
	ds_bpermute_b32 v40, v28, v10
	;; [unrolled: 1-line block ×16, first 2 shown]
	s_and_b32 exec_lo, exec_lo, vcc_lo
	s_cbranch_execz .LBB124_25
; %bb.21:
	v_cmp_eq_f64_e32 vcc_lo, 0, v[4:5]
	v_cmp_eq_f64_e64 s0, 0, v[6:7]
	s_waitcnt lgkmcnt(14)
	v_add_f64 v[9:10], v[9:10], v[39:40]
	s_waitcnt lgkmcnt(12)
	v_add_f64 v[23:24], v[23:24], v[37:38]
	;; [unrolled: 2-line block ×8, first 2 shown]
	s_load_b64 s[2:3], s[2:3], 0x48
	s_and_b32 s0, vcc_lo, s0
	s_delay_alu instid0(SALU_CYCLE_1) | instskip(NEXT) | instid1(SALU_CYCLE_1)
	s_and_saveexec_b32 s1, s0
	s_xor_b32 s0, exec_lo, s1
	s_cbranch_execz .LBB124_23
; %bb.22:
	v_mul_f64 v[4:5], v[23:24], -v[2:3]
	v_mul_f64 v[6:7], v[0:1], v[23:24]
	v_mul_f64 v[23:24], v[21:22], -v[2:3]
	v_mul_f64 v[21:22], v[0:1], v[21:22]
	;; [unrolled: 2-line block ×4, first 2 shown]
	v_fma_f64 v[4:5], v[0:1], v[9:10], v[4:5]
	v_fma_f64 v[6:7], v[2:3], v[9:10], v[6:7]
	;; [unrolled: 1-line block ×8, first 2 shown]
	v_lshlrev_b32_e32 v13, 2, v8
                                        ; implicit-def: $vgpr8
                                        ; implicit-def: $vgpr23_vgpr24
                                        ; implicit-def: $vgpr21_vgpr22
                                        ; implicit-def: $vgpr15_vgpr16
	s_delay_alu instid0(VALU_DEP_1) | instskip(NEXT) | instid1(VALU_DEP_1)
	v_ashrrev_i32_e32 v14, 31, v13
	v_lshlrev_b64 v[13:14], 4, v[13:14]
	s_waitcnt lgkmcnt(0)
	s_delay_alu instid0(VALU_DEP_1) | instskip(NEXT) | instid1(VALU_DEP_2)
	v_add_co_u32 v13, vcc_lo, s2, v13
	v_add_co_ci_u32_e32 v14, vcc_lo, s3, v14, vcc_lo
	s_clause 0x3
	global_store_b128 v[13:14], v[4:7], off
	global_store_b128 v[13:14], v[9:12], off offset:16
	global_store_b128 v[13:14], v[17:20], off offset:32
	global_store_b128 v[13:14], v[0:3], off offset:48
                                        ; implicit-def: $vgpr0_vgpr1
                                        ; implicit-def: $vgpr2_vgpr3
                                        ; implicit-def: $vgpr4_vgpr5
                                        ; implicit-def: $vgpr6_vgpr7
                                        ; implicit-def: $vgpr9_vgpr10
                                        ; implicit-def: $vgpr11_vgpr12
                                        ; implicit-def: $vgpr13_vgpr14
                                        ; implicit-def: $vgpr19_vgpr20
                                        ; implicit-def: $vgpr17_vgpr18
.LBB124_23:
	s_and_not1_saveexec_b32 s0, s0
	s_cbranch_execz .LBB124_25
; %bb.24:
	v_lshlrev_b32_e32 v25, 2, v8
	v_mul_f64 v[43:44], v[23:24], -v[2:3]
	v_mul_f64 v[23:24], v[0:1], v[23:24]
	v_mul_f64 v[45:46], v[21:22], -v[2:3]
	v_mul_f64 v[21:22], v[0:1], v[21:22]
	v_ashrrev_i32_e32 v26, 31, v25
	v_mul_f64 v[47:48], v[19:20], -v[2:3]
	v_mul_f64 v[19:20], v[0:1], v[19:20]
	v_mul_f64 v[49:50], v[17:18], -v[2:3]
	v_mul_f64 v[17:18], v[0:1], v[17:18]
	v_lshlrev_b64 v[25:26], 4, v[25:26]
	s_waitcnt lgkmcnt(0)
	s_delay_alu instid0(VALU_DEP_1) | instskip(NEXT) | instid1(VALU_DEP_2)
	v_add_co_u32 v41, vcc_lo, s2, v25
	v_add_co_ci_u32_e32 v42, vcc_lo, s3, v26, vcc_lo
	s_clause 0x3
	global_load_b128 v[25:28], v[41:42], off
	global_load_b128 v[29:32], v[41:42], off offset:16
	global_load_b128 v[33:36], v[41:42], off offset:32
	;; [unrolled: 1-line block ×3, first 2 shown]
	v_fma_f64 v[43:44], v[0:1], v[9:10], v[43:44]
	v_fma_f64 v[8:9], v[2:3], v[9:10], v[23:24]
	;; [unrolled: 1-line block ×8, first 2 shown]
	s_waitcnt vmcnt(3)
	v_fma_f64 v[14:15], v[4:5], v[25:26], v[43:44]
	v_fma_f64 v[8:9], v[6:7], v[25:26], v[8:9]
	s_waitcnt vmcnt(2)
	v_fma_f64 v[16:17], v[4:5], v[29:30], v[23:24]
	v_fma_f64 v[10:11], v[6:7], v[29:30], v[10:11]
	;; [unrolled: 3-line block ×4, first 2 shown]
	v_fma_f64 v[0:1], -v[6:7], v[27:28], v[14:15]
	v_fma_f64 v[2:3], v[4:5], v[27:28], v[8:9]
	v_fma_f64 v[8:9], -v[6:7], v[31:32], v[16:17]
	v_fma_f64 v[10:11], v[4:5], v[31:32], v[10:11]
	;; [unrolled: 2-line block ×4, first 2 shown]
	s_clause 0x3
	global_store_b128 v[41:42], v[0:3], off
	global_store_b128 v[41:42], v[8:11], off offset:16
	global_store_b128 v[41:42], v[12:15], off offset:32
	;; [unrolled: 1-line block ×3, first 2 shown]
.LBB124_25:
	s_nop 0
	s_sendmsg sendmsg(MSG_DEALLOC_VGPRS)
	s_endpgm
	.section	.rodata,"a",@progbits
	.p2align	6, 0x0
	.amdhsa_kernel _ZN9rocsparseL19gebsrmvn_4xn_kernelILj128ELj3ELj32E21rocsparse_complex_numIdEEEvi20rocsparse_direction_NS_24const_host_device_scalarIT2_EEPKiS8_PKS5_SA_S6_PS5_21rocsparse_index_base_b
		.amdhsa_group_segment_fixed_size 2048
		.amdhsa_private_segment_fixed_size 0
		.amdhsa_kernarg_size 88
		.amdhsa_user_sgpr_count 15
		.amdhsa_user_sgpr_dispatch_ptr 1
		.amdhsa_user_sgpr_queue_ptr 0
		.amdhsa_user_sgpr_kernarg_segment_ptr 1
		.amdhsa_user_sgpr_dispatch_id 0
		.amdhsa_user_sgpr_private_segment_size 0
		.amdhsa_wavefront_size32 1
		.amdhsa_uses_dynamic_stack 0
		.amdhsa_enable_private_segment 0
		.amdhsa_system_sgpr_workgroup_id_x 1
		.amdhsa_system_sgpr_workgroup_id_y 0
		.amdhsa_system_sgpr_workgroup_id_z 0
		.amdhsa_system_sgpr_workgroup_info 0
		.amdhsa_system_vgpr_workitem_id 2
		.amdhsa_next_free_vgpr 94
		.amdhsa_next_free_sgpr 18
		.amdhsa_reserve_vcc 1
		.amdhsa_float_round_mode_32 0
		.amdhsa_float_round_mode_16_64 0
		.amdhsa_float_denorm_mode_32 3
		.amdhsa_float_denorm_mode_16_64 3
		.amdhsa_dx10_clamp 1
		.amdhsa_ieee_mode 1
		.amdhsa_fp16_overflow 0
		.amdhsa_workgroup_processor_mode 1
		.amdhsa_memory_ordered 1
		.amdhsa_forward_progress 0
		.amdhsa_shared_vgpr_count 0
		.amdhsa_exception_fp_ieee_invalid_op 0
		.amdhsa_exception_fp_denorm_src 0
		.amdhsa_exception_fp_ieee_div_zero 0
		.amdhsa_exception_fp_ieee_overflow 0
		.amdhsa_exception_fp_ieee_underflow 0
		.amdhsa_exception_fp_ieee_inexact 0
		.amdhsa_exception_int_div_zero 0
	.end_amdhsa_kernel
	.section	.text._ZN9rocsparseL19gebsrmvn_4xn_kernelILj128ELj3ELj32E21rocsparse_complex_numIdEEEvi20rocsparse_direction_NS_24const_host_device_scalarIT2_EEPKiS8_PKS5_SA_S6_PS5_21rocsparse_index_base_b,"axG",@progbits,_ZN9rocsparseL19gebsrmvn_4xn_kernelILj128ELj3ELj32E21rocsparse_complex_numIdEEEvi20rocsparse_direction_NS_24const_host_device_scalarIT2_EEPKiS8_PKS5_SA_S6_PS5_21rocsparse_index_base_b,comdat
.Lfunc_end124:
	.size	_ZN9rocsparseL19gebsrmvn_4xn_kernelILj128ELj3ELj32E21rocsparse_complex_numIdEEEvi20rocsparse_direction_NS_24const_host_device_scalarIT2_EEPKiS8_PKS5_SA_S6_PS5_21rocsparse_index_base_b, .Lfunc_end124-_ZN9rocsparseL19gebsrmvn_4xn_kernelILj128ELj3ELj32E21rocsparse_complex_numIdEEEvi20rocsparse_direction_NS_24const_host_device_scalarIT2_EEPKiS8_PKS5_SA_S6_PS5_21rocsparse_index_base_b
                                        ; -- End function
	.section	.AMDGPU.csdata,"",@progbits
; Kernel info:
; codeLenInByte = 4460
; NumSgprs: 20
; NumVgprs: 94
; ScratchSize: 0
; MemoryBound: 0
; FloatMode: 240
; IeeeMode: 1
; LDSByteSize: 2048 bytes/workgroup (compile time only)
; SGPRBlocks: 2
; VGPRBlocks: 11
; NumSGPRsForWavesPerEU: 20
; NumVGPRsForWavesPerEU: 94
; Occupancy: 16
; WaveLimiterHint : 1
; COMPUTE_PGM_RSRC2:SCRATCH_EN: 0
; COMPUTE_PGM_RSRC2:USER_SGPR: 15
; COMPUTE_PGM_RSRC2:TRAP_HANDLER: 0
; COMPUTE_PGM_RSRC2:TGID_X_EN: 1
; COMPUTE_PGM_RSRC2:TGID_Y_EN: 0
; COMPUTE_PGM_RSRC2:TGID_Z_EN: 0
; COMPUTE_PGM_RSRC2:TIDIG_COMP_CNT: 2
	.section	.text._ZN9rocsparseL19gebsrmvn_4xn_kernelILj128ELj3ELj64E21rocsparse_complex_numIdEEEvi20rocsparse_direction_NS_24const_host_device_scalarIT2_EEPKiS8_PKS5_SA_S6_PS5_21rocsparse_index_base_b,"axG",@progbits,_ZN9rocsparseL19gebsrmvn_4xn_kernelILj128ELj3ELj64E21rocsparse_complex_numIdEEEvi20rocsparse_direction_NS_24const_host_device_scalarIT2_EEPKiS8_PKS5_SA_S6_PS5_21rocsparse_index_base_b,comdat
	.globl	_ZN9rocsparseL19gebsrmvn_4xn_kernelILj128ELj3ELj64E21rocsparse_complex_numIdEEEvi20rocsparse_direction_NS_24const_host_device_scalarIT2_EEPKiS8_PKS5_SA_S6_PS5_21rocsparse_index_base_b ; -- Begin function _ZN9rocsparseL19gebsrmvn_4xn_kernelILj128ELj3ELj64E21rocsparse_complex_numIdEEEvi20rocsparse_direction_NS_24const_host_device_scalarIT2_EEPKiS8_PKS5_SA_S6_PS5_21rocsparse_index_base_b
	.p2align	8
	.type	_ZN9rocsparseL19gebsrmvn_4xn_kernelILj128ELj3ELj64E21rocsparse_complex_numIdEEEvi20rocsparse_direction_NS_24const_host_device_scalarIT2_EEPKiS8_PKS5_SA_S6_PS5_21rocsparse_index_base_b,@function
_ZN9rocsparseL19gebsrmvn_4xn_kernelILj128ELj3ELj64E21rocsparse_complex_numIdEEEvi20rocsparse_direction_NS_24const_host_device_scalarIT2_EEPKiS8_PKS5_SA_S6_PS5_21rocsparse_index_base_b: ; @_ZN9rocsparseL19gebsrmvn_4xn_kernelILj128ELj3ELj64E21rocsparse_complex_numIdEEEvi20rocsparse_direction_NS_24const_host_device_scalarIT2_EEPKiS8_PKS5_SA_S6_PS5_21rocsparse_index_base_b
; %bb.0:
	s_load_b64 s[12:13], s[2:3], 0x50
	s_load_b64 s[16:17], s[0:1], 0x4
	s_load_b128 s[8:11], s[2:3], 0x8
	v_bfe_u32 v1, v0, 10, 10
	s_mov_b64 s[0:1], src_shared_base
	s_load_b128 s[4:7], s[2:3], 0x38
	v_and_b32_e32 v10, 0x3ff, v0
	v_bfe_u32 v0, v0, 20, 10
	s_waitcnt lgkmcnt(0)
	s_bitcmp1_b32 s13, 0
	v_mul_u32_u24_e32 v1, s17, v1
	s_cselect_b32 s0, -1, 0
	s_delay_alu instid0(SALU_CYCLE_1)
	s_and_b32 vcc_lo, s0, exec_lo
	s_cselect_b32 s13, s1, s9
	s_lshr_b32 s14, s16, 16
	v_dual_mov_b32 v2, s4 :: v_dual_mov_b32 v3, s5
	s_mul_i32 s14, s14, s17
	v_mov_b32_e32 v6, s13
	v_mad_u32_u24 v1, s14, v10, v1
	s_delay_alu instid0(VALU_DEP_1) | instskip(SKIP_1) | instid1(VALU_DEP_2)
	v_add_lshl_u32 v4, v1, v0, 3
	v_dual_mov_b32 v0, s8 :: v_dual_mov_b32 v1, s9
	v_add_nc_u32_e32 v5, 0x400, v4
	ds_store_2addr_stride64_b64 v4, v[2:3], v[0:1] offset1:2
	v_dual_mov_b32 v2, s10 :: v_dual_mov_b32 v3, s11
	v_cndmask_b32_e64 v5, s8, v5, s0
	s_xor_b32 s10, s0, -1
	flat_load_b64 v[0:1], v[5:6]
	s_cbranch_vccnz .LBB125_2
; %bb.1:
	v_dual_mov_b32 v2, s8 :: v_dual_mov_b32 v3, s9
	flat_load_b64 v[2:3], v[2:3] offset:8
.LBB125_2:
	s_and_b32 s8, s0, exec_lo
	s_cselect_b32 s1, s1, s5
	v_cndmask_b32_e64 v4, s4, v4, s0
	v_dual_mov_b32 v5, s1 :: v_dual_mov_b32 v6, s6
	v_mov_b32_e32 v7, s7
	s_and_not1_b32 vcc_lo, exec_lo, s10
	flat_load_b64 v[4:5], v[4:5]
	s_cbranch_vccnz .LBB125_4
; %bb.3:
	v_dual_mov_b32 v7, s5 :: v_dual_mov_b32 v6, s4
	flat_load_b64 v[6:7], v[6:7] offset:8
.LBB125_4:
	s_waitcnt vmcnt(1) lgkmcnt(1)
	v_cmp_eq_f64_e32 vcc_lo, 0, v[0:1]
	v_cmp_eq_f64_e64 s0, 0, v[2:3]
	s_delay_alu instid0(VALU_DEP_1)
	s_and_b32 s4, vcc_lo, s0
	s_mov_b32 s0, -1
	s_and_saveexec_b32 s1, s4
	s_cbranch_execz .LBB125_6
; %bb.5:
	s_waitcnt vmcnt(0) lgkmcnt(0)
	v_cmp_neq_f64_e32 vcc_lo, 1.0, v[4:5]
	v_cmp_neq_f64_e64 s0, 0, v[6:7]
	s_delay_alu instid0(VALU_DEP_1) | instskip(NEXT) | instid1(SALU_CYCLE_1)
	s_or_b32 s0, vcc_lo, s0
	s_or_not1_b32 s0, s0, exec_lo
.LBB125_6:
	s_or_b32 exec_lo, exec_lo, s1
	s_and_saveexec_b32 s1, s0
	s_cbranch_execz .LBB125_25
; %bb.7:
	s_load_b64 s[0:1], s[2:3], 0x0
	v_lshrrev_b32_e32 v8, 6, v10
	s_delay_alu instid0(VALU_DEP_1) | instskip(SKIP_1) | instid1(VALU_DEP_1)
	v_lshl_or_b32 v8, s15, 1, v8
	s_waitcnt lgkmcnt(0)
	v_cmp_gt_i32_e32 vcc_lo, s0, v8
	s_and_b32 exec_lo, exec_lo, vcc_lo
	s_cbranch_execz .LBB125_25
; %bb.8:
	s_load_b256 s[4:11], s[2:3], 0x18
	v_ashrrev_i32_e32 v9, 31, v8
	v_and_b32_e32 v41, 63, v10
	s_cmp_lg_u32 s1, 0
	s_delay_alu instid0(VALU_DEP_2) | instskip(SKIP_1) | instid1(VALU_DEP_1)
	v_lshlrev_b64 v[11:12], 2, v[8:9]
	s_waitcnt lgkmcnt(0)
	v_add_co_u32 v11, vcc_lo, s4, v11
	s_delay_alu instid0(VALU_DEP_2) | instskip(SKIP_4) | instid1(VALU_DEP_2)
	v_add_co_ci_u32_e32 v12, vcc_lo, s5, v12, vcc_lo
	global_load_b64 v[11:12], v[11:12], off
	s_waitcnt vmcnt(0)
	v_subrev_nc_u32_e32 v9, s12, v11
	v_subrev_nc_u32_e32 v30, s12, v12
	v_add_nc_u32_e32 v25, v9, v41
	s_delay_alu instid0(VALU_DEP_1)
	v_cmp_lt_i32_e64 s0, v25, v30
	s_cbranch_scc0 .LBB125_14
; %bb.9:
	v_mov_b32_e32 v9, 0
	v_mov_b32_e32 v10, 0
	s_delay_alu instid0(VALU_DEP_1)
	v_dual_mov_b32 v14, v10 :: v_dual_mov_b32 v13, v9
	v_dual_mov_b32 v12, v10 :: v_dual_mov_b32 v11, v9
	;; [unrolled: 1-line block ×7, first 2 shown]
	s_and_saveexec_b32 s1, s0
	s_cbranch_execz .LBB125_13
; %bb.10:
	v_dual_mov_b32 v9, 0 :: v_dual_mov_b32 v28, v25
	v_dual_mov_b32 v10, 0 :: v_dual_mov_b32 v27, 0
	v_mul_lo_u32 v26, v25, 12
	s_mov_b32 s4, 0
	s_delay_alu instid0(VALU_DEP_2)
	v_dual_mov_b32 v14, v10 :: v_dual_mov_b32 v13, v9
	v_dual_mov_b32 v12, v10 :: v_dual_mov_b32 v11, v9
	;; [unrolled: 1-line block ×7, first 2 shown]
.LBB125_11:                             ; =>This Inner Loop Header: Depth=1
	v_ashrrev_i32_e32 v29, 31, v28
	v_dual_mov_b32 v55, v27 :: v_dual_add_nc_u32 v54, 4, v26
	v_dual_mov_b32 v75, v27 :: v_dual_add_nc_u32 v74, 8, v26
	s_delay_alu instid0(VALU_DEP_3) | instskip(SKIP_1) | instid1(VALU_DEP_4)
	v_lshlrev_b64 v[31:32], 2, v[28:29]
	v_add_nc_u32_e32 v28, 64, v28
	v_lshlrev_b64 v[54:55], 4, v[54:55]
	s_delay_alu instid0(VALU_DEP_4) | instskip(NEXT) | instid1(VALU_DEP_4)
	v_lshlrev_b64 v[74:75], 4, v[74:75]
	v_add_co_u32 v31, vcc_lo, s6, v31
	v_add_co_ci_u32_e32 v32, vcc_lo, s7, v32, vcc_lo
	global_load_b32 v29, v[31:32], off
	v_lshlrev_b64 v[31:32], 4, v[26:27]
	v_add_nc_u32_e32 v26, 0x300, v26
	s_delay_alu instid0(VALU_DEP_2) | instskip(NEXT) | instid1(VALU_DEP_3)
	v_add_co_u32 v46, vcc_lo, s8, v31
	v_add_co_ci_u32_e32 v47, vcc_lo, s9, v32, vcc_lo
	s_clause 0x3
	global_load_b128 v[31:34], v[46:47], off offset:48
	global_load_b128 v[35:38], v[46:47], off offset:32
	;; [unrolled: 1-line block ×3, first 2 shown]
	global_load_b128 v[46:49], v[46:47], off
	s_waitcnt vmcnt(4)
	v_subrev_nc_u32_e32 v29, s12, v29
	s_delay_alu instid0(VALU_DEP_1) | instskip(SKIP_1) | instid1(VALU_DEP_2)
	v_lshl_add_u32 v39, v29, 1, v29
	v_mov_b32_e32 v40, v27
	v_dual_mov_b32 v71, v27 :: v_dual_add_nc_u32 v70, 1, v39
	s_delay_alu instid0(VALU_DEP_2) | instskip(SKIP_1) | instid1(VALU_DEP_3)
	v_lshlrev_b64 v[50:51], 4, v[39:40]
	v_add_nc_u32_e32 v39, 2, v39
	v_lshlrev_b64 v[70:71], 4, v[70:71]
	s_delay_alu instid0(VALU_DEP_3) | instskip(NEXT) | instid1(VALU_DEP_4)
	v_add_co_u32 v50, vcc_lo, s10, v50
	v_add_co_ci_u32_e32 v51, vcc_lo, s11, v51, vcc_lo
	v_add_co_u32 v66, vcc_lo, s8, v54
	v_add_co_ci_u32_e32 v67, vcc_lo, s9, v55, vcc_lo
	global_load_b128 v[50:53], v[50:51], off
	v_add_co_u32 v70, vcc_lo, s10, v70
	v_add_co_ci_u32_e32 v71, vcc_lo, s11, v71, vcc_lo
	s_clause 0x3
	global_load_b128 v[54:57], v[66:67], off offset:48
	global_load_b128 v[58:61], v[66:67], off offset:32
	;; [unrolled: 1-line block ×3, first 2 shown]
	global_load_b128 v[66:69], v[66:67], off
	v_lshlrev_b64 v[39:40], 4, v[39:40]
	v_add_co_u32 v86, vcc_lo, s8, v74
	global_load_b128 v[70:73], v[70:71], off
	v_add_co_ci_u32_e32 v87, vcc_lo, s9, v75, vcc_lo
	v_add_co_u32 v39, vcc_lo, s10, v39
	v_add_co_ci_u32_e32 v40, vcc_lo, s11, v40, vcc_lo
	s_clause 0x3
	global_load_b128 v[74:77], v[86:87], off offset:48
	global_load_b128 v[78:81], v[86:87], off offset:32
	;; [unrolled: 1-line block ×3, first 2 shown]
	global_load_b128 v[86:89], v[86:87], off
	v_cmp_ge_i32_e32 vcc_lo, v28, v30
	global_load_b128 v[90:93], v[39:40], off
	s_or_b32 s4, vcc_lo, s4
	s_waitcnt vmcnt(10)
	v_fma_f64 v[13:14], v[46:47], v[50:51], v[13:14]
	v_fma_f64 v[9:10], v[48:49], v[50:51], v[9:10]
	v_fma_f64 v[21:22], v[42:43], v[50:51], v[21:22]
	v_fma_f64 v[23:24], v[44:45], v[50:51], v[23:24]
	v_fma_f64 v[17:18], v[35:36], v[50:51], v[17:18]
	v_fma_f64 v[19:20], v[37:38], v[50:51], v[19:20]
	v_fma_f64 v[11:12], v[31:32], v[50:51], v[11:12]
	v_fma_f64 v[15:16], v[33:34], v[50:51], v[15:16]
	v_fma_f64 v[13:14], -v[48:49], v[52:53], v[13:14]
	v_fma_f64 v[9:10], v[46:47], v[52:53], v[9:10]
	v_fma_f64 v[21:22], -v[44:45], v[52:53], v[21:22]
	v_fma_f64 v[23:24], v[42:43], v[52:53], v[23:24]
	v_fma_f64 v[17:18], -v[37:38], v[52:53], v[17:18]
	v_fma_f64 v[19:20], v[35:36], v[52:53], v[19:20]
	v_fma_f64 v[11:12], -v[33:34], v[52:53], v[11:12]
	v_fma_f64 v[15:16], v[31:32], v[52:53], v[15:16]
	s_waitcnt vmcnt(5)
	v_fma_f64 v[13:14], v[66:67], v[70:71], v[13:14]
	v_fma_f64 v[9:10], v[68:69], v[70:71], v[9:10]
	v_fma_f64 v[21:22], v[62:63], v[70:71], v[21:22]
	v_fma_f64 v[23:24], v[64:65], v[70:71], v[23:24]
	v_fma_f64 v[17:18], v[58:59], v[70:71], v[17:18]
	v_fma_f64 v[19:20], v[60:61], v[70:71], v[19:20]
	v_fma_f64 v[11:12], v[54:55], v[70:71], v[11:12]
	v_fma_f64 v[15:16], v[56:57], v[70:71], v[15:16]
	v_fma_f64 v[13:14], -v[68:69], v[72:73], v[13:14]
	v_fma_f64 v[9:10], v[66:67], v[72:73], v[9:10]
	v_fma_f64 v[21:22], -v[64:65], v[72:73], v[21:22]
	v_fma_f64 v[23:24], v[62:63], v[72:73], v[23:24]
	v_fma_f64 v[17:18], -v[60:61], v[72:73], v[17:18]
	v_fma_f64 v[19:20], v[58:59], v[72:73], v[19:20]
	v_fma_f64 v[11:12], -v[56:57], v[72:73], v[11:12]
	v_fma_f64 v[15:16], v[54:55], v[72:73], v[15:16]
	s_waitcnt vmcnt(0)
	v_fma_f64 v[13:14], v[86:87], v[90:91], v[13:14]
	v_fma_f64 v[9:10], v[88:89], v[90:91], v[9:10]
	v_fma_f64 v[21:22], v[82:83], v[90:91], v[21:22]
	v_fma_f64 v[23:24], v[84:85], v[90:91], v[23:24]
	v_fma_f64 v[17:18], v[78:79], v[90:91], v[17:18]
	v_fma_f64 v[19:20], v[80:81], v[90:91], v[19:20]
	v_fma_f64 v[11:12], v[74:75], v[90:91], v[11:12]
	v_fma_f64 v[15:16], v[76:77], v[90:91], v[15:16]
	v_fma_f64 v[13:14], -v[88:89], v[92:93], v[13:14]
	v_fma_f64 v[9:10], v[86:87], v[92:93], v[9:10]
	v_fma_f64 v[21:22], -v[84:85], v[92:93], v[21:22]
	v_fma_f64 v[23:24], v[82:83], v[92:93], v[23:24]
	v_fma_f64 v[17:18], -v[80:81], v[92:93], v[17:18]
	v_fma_f64 v[19:20], v[78:79], v[92:93], v[19:20]
	v_fma_f64 v[11:12], -v[76:77], v[92:93], v[11:12]
	v_fma_f64 v[15:16], v[74:75], v[92:93], v[15:16]
	s_and_not1_b32 exec_lo, exec_lo, s4
	s_cbranch_execnz .LBB125_11
; %bb.12:
	s_or_b32 exec_lo, exec_lo, s4
.LBB125_13:
	s_delay_alu instid0(SALU_CYCLE_1)
	s_or_b32 exec_lo, exec_lo, s1
	s_cbranch_execz .LBB125_15
	s_branch .LBB125_20
.LBB125_14:
                                        ; implicit-def: $vgpr9_vgpr10
                                        ; implicit-def: $vgpr13_vgpr14
                                        ; implicit-def: $vgpr11_vgpr12
                                        ; implicit-def: $vgpr15_vgpr16
                                        ; implicit-def: $vgpr17_vgpr18
                                        ; implicit-def: $vgpr19_vgpr20
                                        ; implicit-def: $vgpr21_vgpr22
                                        ; implicit-def: $vgpr23_vgpr24
.LBB125_15:
	v_mov_b32_e32 v9, 0
	v_mov_b32_e32 v10, 0
	s_delay_alu instid0(VALU_DEP_1)
	v_dual_mov_b32 v14, v10 :: v_dual_mov_b32 v13, v9
	v_dual_mov_b32 v12, v10 :: v_dual_mov_b32 v11, v9
	v_dual_mov_b32 v16, v10 :: v_dual_mov_b32 v15, v9
	v_dual_mov_b32 v18, v10 :: v_dual_mov_b32 v17, v9
	v_dual_mov_b32 v20, v10 :: v_dual_mov_b32 v19, v9
	v_dual_mov_b32 v22, v10 :: v_dual_mov_b32 v21, v9
	v_dual_mov_b32 v24, v10 :: v_dual_mov_b32 v23, v9
	s_and_saveexec_b32 s1, s0
	s_cbranch_execz .LBB125_19
; %bb.16:
	v_mov_b32_e32 v9, 0
	v_dual_mov_b32 v10, 0 :: v_dual_mov_b32 v29, 0
	v_mad_u64_u32 v[27:28], null, v25, 12, 11
	s_mov_b32 s0, 0
	s_delay_alu instid0(VALU_DEP_2)
	v_dual_mov_b32 v14, v10 :: v_dual_mov_b32 v13, v9
	v_dual_mov_b32 v12, v10 :: v_dual_mov_b32 v11, v9
	v_dual_mov_b32 v16, v10 :: v_dual_mov_b32 v15, v9
	v_dual_mov_b32 v18, v10 :: v_dual_mov_b32 v17, v9
	v_dual_mov_b32 v20, v10 :: v_dual_mov_b32 v19, v9
	v_dual_mov_b32 v22, v10 :: v_dual_mov_b32 v21, v9
	v_dual_mov_b32 v24, v10 :: v_dual_mov_b32 v23, v9
.LBB125_17:                             ; =>This Inner Loop Header: Depth=1
	v_ashrrev_i32_e32 v26, 31, v25
	v_add_nc_u32_e32 v28, -11, v27
	v_dual_mov_b32 v34, v29 :: v_dual_add_nc_u32 v33, -2, v27
	v_mov_b32_e32 v40, v29
	s_delay_alu instid0(VALU_DEP_4) | instskip(SKIP_2) | instid1(VALU_DEP_3)
	v_lshlrev_b64 v[31:32], 2, v[25:26]
	v_add_nc_u32_e32 v25, 64, v25
	v_lshlrev_b64 v[35:36], 4, v[28:29]
	v_add_co_u32 v31, vcc_lo, s6, v31
	s_delay_alu instid0(VALU_DEP_4) | instskip(NEXT) | instid1(VALU_DEP_3)
	v_add_co_ci_u32_e32 v32, vcc_lo, s7, v32, vcc_lo
	v_add_co_u32 v74, vcc_lo, s8, v35
	s_delay_alu instid0(VALU_DEP_4) | instskip(SKIP_3) | instid1(VALU_DEP_2)
	v_add_co_ci_u32_e32 v75, vcc_lo, s9, v36, vcc_lo
	global_load_b32 v26, v[31:32], off
	v_dual_mov_b32 v32, v29 :: v_dual_add_nc_u32 v31, -5, v27
	v_lshlrev_b64 v[33:34], 4, v[33:34]
	v_lshlrev_b64 v[31:32], 4, v[31:32]
	s_delay_alu instid0(VALU_DEP_1) | instskip(NEXT) | instid1(VALU_DEP_2)
	v_add_co_u32 v46, vcc_lo, s8, v31
	v_add_co_ci_u32_e32 v47, vcc_lo, s9, v32, vcc_lo
	s_delay_alu instid0(VALU_DEP_4)
	v_add_co_u32 v50, vcc_lo, s8, v33
	v_add_co_ci_u32_e32 v51, vcc_lo, s9, v34, vcc_lo
	s_clause 0x4
	global_load_b128 v[31:34], v[74:75], off offset:48
	global_load_b128 v[35:38], v[74:75], off offset:16
	global_load_b128 v[42:45], v[74:75], off
	global_load_b128 v[46:49], v[46:47], off
	;; [unrolled: 1-line block ×3, first 2 shown]
	s_waitcnt vmcnt(5)
	v_subrev_nc_u32_e32 v26, s12, v26
	s_delay_alu instid0(VALU_DEP_1) | instskip(NEXT) | instid1(VALU_DEP_1)
	v_lshl_add_u32 v39, v26, 1, v26
	v_lshlrev_b64 v[54:55], 4, v[39:40]
	v_add_nc_u32_e32 v28, 1, v39
	s_delay_alu instid0(VALU_DEP_1) | instskip(NEXT) | instid1(VALU_DEP_3)
	v_lshlrev_b64 v[58:59], 4, v[28:29]
	v_add_co_u32 v54, vcc_lo, s10, v54
	s_delay_alu instid0(VALU_DEP_4) | instskip(SKIP_1) | instid1(VALU_DEP_4)
	v_add_co_ci_u32_e32 v55, vcc_lo, s11, v55, vcc_lo
	v_add_nc_u32_e32 v28, -7, v27
	v_add_co_u32 v58, vcc_lo, s10, v58
	global_load_b128 v[54:57], v[54:55], off
	v_add_co_ci_u32_e32 v59, vcc_lo, s11, v59, vcc_lo
	v_lshlrev_b64 v[62:63], 4, v[28:29]
	v_add_nc_u32_e32 v28, -4, v27
	global_load_b128 v[58:61], v[58:59], off
	v_lshlrev_b64 v[64:65], 4, v[28:29]
	v_add_nc_u32_e32 v28, -1, v27
	v_add_co_u32 v62, vcc_lo, s8, v62
	v_add_co_ci_u32_e32 v63, vcc_lo, s9, v63, vcc_lo
	s_delay_alu instid0(VALU_DEP_3) | instskip(SKIP_3) | instid1(VALU_DEP_4)
	v_lshlrev_b64 v[66:67], 4, v[28:29]
	v_add_co_u32 v68, vcc_lo, s8, v64
	v_add_co_ci_u32_e32 v69, vcc_lo, s9, v65, vcc_lo
	v_mov_b32_e32 v28, v29
	v_add_co_u32 v70, vcc_lo, s8, v66
	v_add_co_ci_u32_e32 v71, vcc_lo, s9, v67, vcc_lo
	s_clause 0x2
	global_load_b128 v[62:65], v[62:63], off
	global_load_b128 v[66:69], v[68:69], off
	;; [unrolled: 1-line block ×3, first 2 shown]
	v_lshlrev_b64 v[76:77], 4, v[27:28]
	v_add_nc_u32_e32 v28, 2, v39
	s_delay_alu instid0(VALU_DEP_1) | instskip(SKIP_1) | instid1(VALU_DEP_4)
	v_lshlrev_b64 v[39:40], 4, v[28:29]
	v_add_nc_u32_e32 v28, -6, v27
	v_add_co_u32 v78, vcc_lo, s8, v76
	v_add_co_ci_u32_e32 v79, vcc_lo, s9, v77, vcc_lo
	s_delay_alu instid0(VALU_DEP_3) | instskip(SKIP_4) | instid1(VALU_DEP_4)
	v_lshlrev_b64 v[86:87], 4, v[28:29]
	v_add_nc_u32_e32 v28, -3, v27
	v_add_nc_u32_e32 v27, 0x300, v27
	v_add_co_u32 v39, vcc_lo, s10, v39
	v_add_co_ci_u32_e32 v40, vcc_lo, s11, v40, vcc_lo
	v_lshlrev_b64 v[88:89], 4, v[28:29]
	s_clause 0x1
	global_load_b128 v[74:77], v[74:75], off offset:32
	global_load_b128 v[78:81], v[78:79], off
	global_load_b128 v[82:85], v[39:40], off
	v_add_co_u32 v39, vcc_lo, s8, v86
	v_add_co_ci_u32_e32 v40, vcc_lo, s9, v87, vcc_lo
	v_add_co_u32 v90, vcc_lo, s8, v88
	v_add_co_ci_u32_e32 v91, vcc_lo, s9, v89, vcc_lo
	s_clause 0x1
	global_load_b128 v[86:89], v[39:40], off
	global_load_b128 v[90:93], v[90:91], off
	v_cmp_ge_i32_e32 vcc_lo, v25, v30
	s_or_b32 s0, vcc_lo, s0
	s_waitcnt vmcnt(9)
	v_fma_f64 v[13:14], v[42:43], v[54:55], v[13:14]
	v_fma_f64 v[9:10], v[44:45], v[54:55], v[9:10]
	;; [unrolled: 1-line block ×8, first 2 shown]
	v_fma_f64 v[13:14], -v[44:45], v[56:57], v[13:14]
	v_fma_f64 v[9:10], v[42:43], v[56:57], v[9:10]
	v_fma_f64 v[21:22], -v[33:34], v[56:57], v[21:22]
	v_fma_f64 v[23:24], v[31:32], v[56:57], v[23:24]
	;; [unrolled: 2-line block ×4, first 2 shown]
	s_waitcnt vmcnt(8)
	v_fma_f64 v[13:14], v[35:36], v[58:59], v[13:14]
	v_fma_f64 v[9:10], v[37:38], v[58:59], v[9:10]
	s_waitcnt vmcnt(7)
	v_fma_f64 v[21:22], v[62:63], v[58:59], v[21:22]
	v_fma_f64 v[23:24], v[64:65], v[58:59], v[23:24]
	;; [unrolled: 3-line block ×4, first 2 shown]
	v_fma_f64 v[13:14], -v[37:38], v[60:61], v[13:14]
	v_fma_f64 v[9:10], v[35:36], v[60:61], v[9:10]
	v_fma_f64 v[21:22], -v[64:65], v[60:61], v[21:22]
	v_fma_f64 v[23:24], v[62:63], v[60:61], v[23:24]
	;; [unrolled: 2-line block ×4, first 2 shown]
	s_waitcnt vmcnt(2)
	v_fma_f64 v[13:14], v[74:75], v[82:83], v[13:14]
	v_fma_f64 v[9:10], v[76:77], v[82:83], v[9:10]
	s_waitcnt vmcnt(1)
	v_fma_f64 v[21:22], v[86:87], v[82:83], v[21:22]
	v_fma_f64 v[23:24], v[88:89], v[82:83], v[23:24]
	;; [unrolled: 3-line block ×3, first 2 shown]
	v_fma_f64 v[11:12], v[78:79], v[82:83], v[11:12]
	v_fma_f64 v[15:16], v[80:81], v[82:83], v[15:16]
	v_fma_f64 v[13:14], -v[76:77], v[84:85], v[13:14]
	v_fma_f64 v[9:10], v[74:75], v[84:85], v[9:10]
	v_fma_f64 v[21:22], -v[88:89], v[84:85], v[21:22]
	;; [unrolled: 2-line block ×4, first 2 shown]
	v_fma_f64 v[15:16], v[78:79], v[84:85], v[15:16]
	s_and_not1_b32 exec_lo, exec_lo, s0
	s_cbranch_execnz .LBB125_17
; %bb.18:
	s_or_b32 exec_lo, exec_lo, s0
.LBB125_19:
	s_delay_alu instid0(SALU_CYCLE_1)
	s_or_b32 exec_lo, exec_lo, s1
.LBB125_20:
	v_mbcnt_lo_u32_b32 v44, -1, 0
	s_delay_alu instid0(VALU_DEP_1) | instskip(NEXT) | instid1(VALU_DEP_1)
	v_or_b32_e32 v25, 32, v44
	v_cmp_gt_i32_e32 vcc_lo, 32, v25
	v_cndmask_b32_e32 v25, v44, v25, vcc_lo
	s_delay_alu instid0(VALU_DEP_1)
	v_lshlrev_b32_e32 v40, 2, v25
	ds_bpermute_b32 v25, v40, v13
	ds_bpermute_b32 v26, v40, v14
	ds_bpermute_b32 v27, v40, v9
	ds_bpermute_b32 v28, v40, v10
	ds_bpermute_b32 v29, v40, v21
	ds_bpermute_b32 v30, v40, v22
	ds_bpermute_b32 v31, v40, v23
	ds_bpermute_b32 v32, v40, v24
	ds_bpermute_b32 v33, v40, v17
	ds_bpermute_b32 v34, v40, v18
	ds_bpermute_b32 v35, v40, v19
	ds_bpermute_b32 v36, v40, v20
	ds_bpermute_b32 v37, v40, v11
	ds_bpermute_b32 v38, v40, v12
	ds_bpermute_b32 v39, v40, v15
	ds_bpermute_b32 v40, v40, v16
	s_waitcnt lgkmcnt(14)
	v_add_f64 v[13:14], v[13:14], v[25:26]
	v_xor_b32_e32 v25, 16, v44
	s_waitcnt lgkmcnt(12)
	v_add_f64 v[9:10], v[9:10], v[27:28]
	s_waitcnt lgkmcnt(10)
	v_add_f64 v[21:22], v[21:22], v[29:30]
	s_waitcnt lgkmcnt(8)
	v_add_f64 v[23:24], v[23:24], v[31:32]
	v_cmp_gt_i32_e32 vcc_lo, 32, v25
	s_waitcnt lgkmcnt(6)
	v_add_f64 v[17:18], v[17:18], v[33:34]
	s_waitcnt lgkmcnt(4)
	v_add_f64 v[19:20], v[19:20], v[35:36]
	s_waitcnt lgkmcnt(2)
	v_add_f64 v[11:12], v[11:12], v[37:38]
	v_cndmask_b32_e32 v25, v44, v25, vcc_lo
	s_waitcnt lgkmcnt(0)
	v_add_f64 v[15:16], v[15:16], v[39:40]
	s_delay_alu instid0(VALU_DEP_2)
	v_lshlrev_b32_e32 v40, 2, v25
	ds_bpermute_b32 v25, v40, v13
	ds_bpermute_b32 v26, v40, v14
	ds_bpermute_b32 v27, v40, v9
	ds_bpermute_b32 v28, v40, v10
	ds_bpermute_b32 v29, v40, v21
	ds_bpermute_b32 v30, v40, v22
	ds_bpermute_b32 v31, v40, v23
	ds_bpermute_b32 v32, v40, v24
	ds_bpermute_b32 v33, v40, v17
	ds_bpermute_b32 v34, v40, v18
	ds_bpermute_b32 v35, v40, v19
	ds_bpermute_b32 v36, v40, v20
	ds_bpermute_b32 v37, v40, v11
	ds_bpermute_b32 v38, v40, v12
	ds_bpermute_b32 v39, v40, v15
	ds_bpermute_b32 v40, v40, v16
	s_waitcnt lgkmcnt(14)
	v_add_f64 v[13:14], v[13:14], v[25:26]
	v_xor_b32_e32 v25, 8, v44
	s_waitcnt lgkmcnt(12)
	v_add_f64 v[9:10], v[9:10], v[27:28]
	s_waitcnt lgkmcnt(10)
	v_add_f64 v[21:22], v[21:22], v[29:30]
	s_waitcnt lgkmcnt(8)
	v_add_f64 v[23:24], v[23:24], v[31:32]
	v_cmp_gt_i32_e32 vcc_lo, 32, v25
	s_waitcnt lgkmcnt(6)
	v_add_f64 v[17:18], v[17:18], v[33:34]
	s_waitcnt lgkmcnt(4)
	v_add_f64 v[19:20], v[19:20], v[35:36]
	s_waitcnt lgkmcnt(2)
	v_add_f64 v[11:12], v[11:12], v[37:38]
	v_cndmask_b32_e32 v25, v44, v25, vcc_lo
	s_waitcnt lgkmcnt(0)
	v_add_f64 v[15:16], v[15:16], v[39:40]
	s_delay_alu instid0(VALU_DEP_2)
	;; [unrolled: 37-line block ×3, first 2 shown]
	v_lshlrev_b32_e32 v40, 2, v25
	ds_bpermute_b32 v25, v40, v13
	ds_bpermute_b32 v26, v40, v14
	;; [unrolled: 1-line block ×16, first 2 shown]
	s_waitcnt lgkmcnt(14)
	v_add_f64 v[13:14], v[13:14], v[25:26]
	s_waitcnt lgkmcnt(12)
	v_add_f64 v[25:26], v[9:10], v[27:28]
	v_xor_b32_e32 v9, 2, v44
	s_waitcnt lgkmcnt(10)
	v_add_f64 v[21:22], v[21:22], v[29:30]
	s_waitcnt lgkmcnt(8)
	v_add_f64 v[27:28], v[23:24], v[31:32]
	;; [unrolled: 2-line block ×3, first 2 shown]
	v_cmp_gt_i32_e32 vcc_lo, 32, v9
	s_waitcnt lgkmcnt(4)
	v_add_f64 v[19:20], v[19:20], v[35:36]
	s_waitcnt lgkmcnt(2)
	v_add_f64 v[29:30], v[11:12], v[37:38]
	;; [unrolled: 2-line block ×3, first 2 shown]
	v_cndmask_b32_e32 v9, v44, v9, vcc_lo
	s_delay_alu instid0(VALU_DEP_1)
	v_lshlrev_b32_e32 v23, 2, v9
	ds_bpermute_b32 v9, v23, v13
	ds_bpermute_b32 v10, v23, v14
	;; [unrolled: 1-line block ×16, first 2 shown]
	s_waitcnt lgkmcnt(14)
	v_add_f64 v[9:10], v[13:14], v[9:10]
	s_waitcnt lgkmcnt(12)
	v_add_f64 v[23:24], v[25:26], v[11:12]
	v_xor_b32_e32 v25, 1, v44
	s_waitcnt lgkmcnt(10)
	v_add_f64 v[11:12], v[21:22], v[15:16]
	s_waitcnt lgkmcnt(8)
	v_add_f64 v[21:22], v[27:28], v[33:34]
	;; [unrolled: 2-line block ×3, first 2 shown]
	v_cmp_gt_i32_e32 vcc_lo, 32, v25
	s_waitcnt lgkmcnt(4)
	v_add_f64 v[19:20], v[19:20], v[37:38]
	s_waitcnt lgkmcnt(2)
	v_add_f64 v[15:16], v[29:30], v[39:40]
	;; [unrolled: 2-line block ×3, first 2 shown]
	v_cndmask_b32_e32 v25, v44, v25, vcc_lo
	v_cmp_eq_u32_e32 vcc_lo, 63, v41
	s_delay_alu instid0(VALU_DEP_2)
	v_lshlrev_b32_e32 v28, 2, v25
	ds_bpermute_b32 v39, v28, v9
	ds_bpermute_b32 v40, v28, v10
	;; [unrolled: 1-line block ×16, first 2 shown]
	s_and_b32 exec_lo, exec_lo, vcc_lo
	s_cbranch_execz .LBB125_25
; %bb.21:
	v_cmp_eq_f64_e32 vcc_lo, 0, v[4:5]
	v_cmp_eq_f64_e64 s0, 0, v[6:7]
	s_waitcnt lgkmcnt(14)
	v_add_f64 v[9:10], v[9:10], v[39:40]
	s_waitcnt lgkmcnt(12)
	v_add_f64 v[23:24], v[23:24], v[37:38]
	;; [unrolled: 2-line block ×8, first 2 shown]
	s_load_b64 s[2:3], s[2:3], 0x48
	s_and_b32 s0, vcc_lo, s0
	s_delay_alu instid0(SALU_CYCLE_1) | instskip(NEXT) | instid1(SALU_CYCLE_1)
	s_and_saveexec_b32 s1, s0
	s_xor_b32 s0, exec_lo, s1
	s_cbranch_execz .LBB125_23
; %bb.22:
	v_mul_f64 v[4:5], v[23:24], -v[2:3]
	v_mul_f64 v[6:7], v[0:1], v[23:24]
	v_mul_f64 v[23:24], v[21:22], -v[2:3]
	v_mul_f64 v[21:22], v[0:1], v[21:22]
	;; [unrolled: 2-line block ×4, first 2 shown]
	v_fma_f64 v[4:5], v[0:1], v[9:10], v[4:5]
	v_fma_f64 v[6:7], v[2:3], v[9:10], v[6:7]
	;; [unrolled: 1-line block ×8, first 2 shown]
	v_lshlrev_b32_e32 v13, 2, v8
                                        ; implicit-def: $vgpr8
                                        ; implicit-def: $vgpr23_vgpr24
                                        ; implicit-def: $vgpr21_vgpr22
                                        ; implicit-def: $vgpr15_vgpr16
	s_delay_alu instid0(VALU_DEP_1) | instskip(NEXT) | instid1(VALU_DEP_1)
	v_ashrrev_i32_e32 v14, 31, v13
	v_lshlrev_b64 v[13:14], 4, v[13:14]
	s_waitcnt lgkmcnt(0)
	s_delay_alu instid0(VALU_DEP_1) | instskip(NEXT) | instid1(VALU_DEP_2)
	v_add_co_u32 v13, vcc_lo, s2, v13
	v_add_co_ci_u32_e32 v14, vcc_lo, s3, v14, vcc_lo
	s_clause 0x3
	global_store_b128 v[13:14], v[4:7], off
	global_store_b128 v[13:14], v[9:12], off offset:16
	global_store_b128 v[13:14], v[17:20], off offset:32
	;; [unrolled: 1-line block ×3, first 2 shown]
                                        ; implicit-def: $vgpr0_vgpr1
                                        ; implicit-def: $vgpr2_vgpr3
                                        ; implicit-def: $vgpr4_vgpr5
                                        ; implicit-def: $vgpr6_vgpr7
                                        ; implicit-def: $vgpr9_vgpr10
                                        ; implicit-def: $vgpr11_vgpr12
                                        ; implicit-def: $vgpr13_vgpr14
                                        ; implicit-def: $vgpr19_vgpr20
                                        ; implicit-def: $vgpr17_vgpr18
.LBB125_23:
	s_and_not1_saveexec_b32 s0, s0
	s_cbranch_execz .LBB125_25
; %bb.24:
	v_lshlrev_b32_e32 v25, 2, v8
	v_mul_f64 v[43:44], v[23:24], -v[2:3]
	v_mul_f64 v[23:24], v[0:1], v[23:24]
	v_mul_f64 v[45:46], v[21:22], -v[2:3]
	v_mul_f64 v[21:22], v[0:1], v[21:22]
	v_ashrrev_i32_e32 v26, 31, v25
	v_mul_f64 v[47:48], v[19:20], -v[2:3]
	v_mul_f64 v[19:20], v[0:1], v[19:20]
	v_mul_f64 v[49:50], v[17:18], -v[2:3]
	v_mul_f64 v[17:18], v[0:1], v[17:18]
	v_lshlrev_b64 v[25:26], 4, v[25:26]
	s_waitcnt lgkmcnt(0)
	s_delay_alu instid0(VALU_DEP_1) | instskip(NEXT) | instid1(VALU_DEP_2)
	v_add_co_u32 v41, vcc_lo, s2, v25
	v_add_co_ci_u32_e32 v42, vcc_lo, s3, v26, vcc_lo
	s_clause 0x3
	global_load_b128 v[25:28], v[41:42], off
	global_load_b128 v[29:32], v[41:42], off offset:16
	global_load_b128 v[33:36], v[41:42], off offset:32
	;; [unrolled: 1-line block ×3, first 2 shown]
	v_fma_f64 v[43:44], v[0:1], v[9:10], v[43:44]
	v_fma_f64 v[8:9], v[2:3], v[9:10], v[23:24]
	;; [unrolled: 1-line block ×8, first 2 shown]
	s_waitcnt vmcnt(3)
	v_fma_f64 v[14:15], v[4:5], v[25:26], v[43:44]
	v_fma_f64 v[8:9], v[6:7], v[25:26], v[8:9]
	s_waitcnt vmcnt(2)
	v_fma_f64 v[16:17], v[4:5], v[29:30], v[23:24]
	v_fma_f64 v[10:11], v[6:7], v[29:30], v[10:11]
	;; [unrolled: 3-line block ×4, first 2 shown]
	v_fma_f64 v[0:1], -v[6:7], v[27:28], v[14:15]
	v_fma_f64 v[2:3], v[4:5], v[27:28], v[8:9]
	v_fma_f64 v[8:9], -v[6:7], v[31:32], v[16:17]
	v_fma_f64 v[10:11], v[4:5], v[31:32], v[10:11]
	v_fma_f64 v[12:13], -v[6:7], v[35:36], v[18:19]
	v_fma_f64 v[14:15], v[4:5], v[35:36], v[20:21]
	v_fma_f64 v[16:17], -v[6:7], v[39:40], v[22:23]
	v_fma_f64 v[18:19], v[4:5], v[39:40], v[24:25]
	s_clause 0x3
	global_store_b128 v[41:42], v[0:3], off
	global_store_b128 v[41:42], v[8:11], off offset:16
	global_store_b128 v[41:42], v[12:15], off offset:32
	;; [unrolled: 1-line block ×3, first 2 shown]
.LBB125_25:
	s_nop 0
	s_sendmsg sendmsg(MSG_DEALLOC_VGPRS)
	s_endpgm
	.section	.rodata,"a",@progbits
	.p2align	6, 0x0
	.amdhsa_kernel _ZN9rocsparseL19gebsrmvn_4xn_kernelILj128ELj3ELj64E21rocsparse_complex_numIdEEEvi20rocsparse_direction_NS_24const_host_device_scalarIT2_EEPKiS8_PKS5_SA_S6_PS5_21rocsparse_index_base_b
		.amdhsa_group_segment_fixed_size 2048
		.amdhsa_private_segment_fixed_size 0
		.amdhsa_kernarg_size 88
		.amdhsa_user_sgpr_count 15
		.amdhsa_user_sgpr_dispatch_ptr 1
		.amdhsa_user_sgpr_queue_ptr 0
		.amdhsa_user_sgpr_kernarg_segment_ptr 1
		.amdhsa_user_sgpr_dispatch_id 0
		.amdhsa_user_sgpr_private_segment_size 0
		.amdhsa_wavefront_size32 1
		.amdhsa_uses_dynamic_stack 0
		.amdhsa_enable_private_segment 0
		.amdhsa_system_sgpr_workgroup_id_x 1
		.amdhsa_system_sgpr_workgroup_id_y 0
		.amdhsa_system_sgpr_workgroup_id_z 0
		.amdhsa_system_sgpr_workgroup_info 0
		.amdhsa_system_vgpr_workitem_id 2
		.amdhsa_next_free_vgpr 94
		.amdhsa_next_free_sgpr 18
		.amdhsa_reserve_vcc 1
		.amdhsa_float_round_mode_32 0
		.amdhsa_float_round_mode_16_64 0
		.amdhsa_float_denorm_mode_32 3
		.amdhsa_float_denorm_mode_16_64 3
		.amdhsa_dx10_clamp 1
		.amdhsa_ieee_mode 1
		.amdhsa_fp16_overflow 0
		.amdhsa_workgroup_processor_mode 1
		.amdhsa_memory_ordered 1
		.amdhsa_forward_progress 0
		.amdhsa_shared_vgpr_count 0
		.amdhsa_exception_fp_ieee_invalid_op 0
		.amdhsa_exception_fp_denorm_src 0
		.amdhsa_exception_fp_ieee_div_zero 0
		.amdhsa_exception_fp_ieee_overflow 0
		.amdhsa_exception_fp_ieee_underflow 0
		.amdhsa_exception_fp_ieee_inexact 0
		.amdhsa_exception_int_div_zero 0
	.end_amdhsa_kernel
	.section	.text._ZN9rocsparseL19gebsrmvn_4xn_kernelILj128ELj3ELj64E21rocsparse_complex_numIdEEEvi20rocsparse_direction_NS_24const_host_device_scalarIT2_EEPKiS8_PKS5_SA_S6_PS5_21rocsparse_index_base_b,"axG",@progbits,_ZN9rocsparseL19gebsrmvn_4xn_kernelILj128ELj3ELj64E21rocsparse_complex_numIdEEEvi20rocsparse_direction_NS_24const_host_device_scalarIT2_EEPKiS8_PKS5_SA_S6_PS5_21rocsparse_index_base_b,comdat
.Lfunc_end125:
	.size	_ZN9rocsparseL19gebsrmvn_4xn_kernelILj128ELj3ELj64E21rocsparse_complex_numIdEEEvi20rocsparse_direction_NS_24const_host_device_scalarIT2_EEPKiS8_PKS5_SA_S6_PS5_21rocsparse_index_base_b, .Lfunc_end125-_ZN9rocsparseL19gebsrmvn_4xn_kernelILj128ELj3ELj64E21rocsparse_complex_numIdEEEvi20rocsparse_direction_NS_24const_host_device_scalarIT2_EEPKiS8_PKS5_SA_S6_PS5_21rocsparse_index_base_b
                                        ; -- End function
	.section	.AMDGPU.csdata,"",@progbits
; Kernel info:
; codeLenInByte = 4704
; NumSgprs: 20
; NumVgprs: 94
; ScratchSize: 0
; MemoryBound: 0
; FloatMode: 240
; IeeeMode: 1
; LDSByteSize: 2048 bytes/workgroup (compile time only)
; SGPRBlocks: 2
; VGPRBlocks: 11
; NumSGPRsForWavesPerEU: 20
; NumVGPRsForWavesPerEU: 94
; Occupancy: 16
; WaveLimiterHint : 1
; COMPUTE_PGM_RSRC2:SCRATCH_EN: 0
; COMPUTE_PGM_RSRC2:USER_SGPR: 15
; COMPUTE_PGM_RSRC2:TRAP_HANDLER: 0
; COMPUTE_PGM_RSRC2:TGID_X_EN: 1
; COMPUTE_PGM_RSRC2:TGID_Y_EN: 0
; COMPUTE_PGM_RSRC2:TGID_Z_EN: 0
; COMPUTE_PGM_RSRC2:TIDIG_COMP_CNT: 2
	.section	.text._ZN9rocsparseL19gebsrmvn_4xn_kernelILj128ELj5ELj4E21rocsparse_complex_numIdEEEvi20rocsparse_direction_NS_24const_host_device_scalarIT2_EEPKiS8_PKS5_SA_S6_PS5_21rocsparse_index_base_b,"axG",@progbits,_ZN9rocsparseL19gebsrmvn_4xn_kernelILj128ELj5ELj4E21rocsparse_complex_numIdEEEvi20rocsparse_direction_NS_24const_host_device_scalarIT2_EEPKiS8_PKS5_SA_S6_PS5_21rocsparse_index_base_b,comdat
	.globl	_ZN9rocsparseL19gebsrmvn_4xn_kernelILj128ELj5ELj4E21rocsparse_complex_numIdEEEvi20rocsparse_direction_NS_24const_host_device_scalarIT2_EEPKiS8_PKS5_SA_S6_PS5_21rocsparse_index_base_b ; -- Begin function _ZN9rocsparseL19gebsrmvn_4xn_kernelILj128ELj5ELj4E21rocsparse_complex_numIdEEEvi20rocsparse_direction_NS_24const_host_device_scalarIT2_EEPKiS8_PKS5_SA_S6_PS5_21rocsparse_index_base_b
	.p2align	8
	.type	_ZN9rocsparseL19gebsrmvn_4xn_kernelILj128ELj5ELj4E21rocsparse_complex_numIdEEEvi20rocsparse_direction_NS_24const_host_device_scalarIT2_EEPKiS8_PKS5_SA_S6_PS5_21rocsparse_index_base_b,@function
_ZN9rocsparseL19gebsrmvn_4xn_kernelILj128ELj5ELj4E21rocsparse_complex_numIdEEEvi20rocsparse_direction_NS_24const_host_device_scalarIT2_EEPKiS8_PKS5_SA_S6_PS5_21rocsparse_index_base_b: ; @_ZN9rocsparseL19gebsrmvn_4xn_kernelILj128ELj5ELj4E21rocsparse_complex_numIdEEEvi20rocsparse_direction_NS_24const_host_device_scalarIT2_EEPKiS8_PKS5_SA_S6_PS5_21rocsparse_index_base_b
; %bb.0:
	s_load_b64 s[12:13], s[2:3], 0x50
	s_load_b64 s[16:17], s[0:1], 0x4
	s_load_b128 s[8:11], s[2:3], 0x8
	v_bfe_u32 v1, v0, 10, 10
	s_mov_b64 s[0:1], src_shared_base
	s_load_b128 s[4:7], s[2:3], 0x38
	v_and_b32_e32 v10, 0x3ff, v0
	v_bfe_u32 v0, v0, 20, 10
	s_waitcnt lgkmcnt(0)
	s_bitcmp1_b32 s13, 0
	v_mul_u32_u24_e32 v1, s17, v1
	s_cselect_b32 s0, -1, 0
	s_delay_alu instid0(SALU_CYCLE_1)
	s_and_b32 vcc_lo, s0, exec_lo
	s_cselect_b32 s13, s1, s9
	s_lshr_b32 s14, s16, 16
	v_dual_mov_b32 v2, s4 :: v_dual_mov_b32 v3, s5
	s_mul_i32 s14, s14, s17
	v_mov_b32_e32 v6, s13
	v_mad_u32_u24 v1, s14, v10, v1
	s_delay_alu instid0(VALU_DEP_1) | instskip(SKIP_1) | instid1(VALU_DEP_2)
	v_add_lshl_u32 v4, v1, v0, 3
	v_dual_mov_b32 v0, s8 :: v_dual_mov_b32 v1, s9
	v_add_nc_u32_e32 v5, 0x400, v4
	ds_store_2addr_stride64_b64 v4, v[2:3], v[0:1] offset1:2
	v_dual_mov_b32 v2, s10 :: v_dual_mov_b32 v3, s11
	v_cndmask_b32_e64 v5, s8, v5, s0
	s_xor_b32 s10, s0, -1
	flat_load_b64 v[0:1], v[5:6]
	s_cbranch_vccnz .LBB126_2
; %bb.1:
	v_dual_mov_b32 v2, s8 :: v_dual_mov_b32 v3, s9
	flat_load_b64 v[2:3], v[2:3] offset:8
.LBB126_2:
	s_and_b32 s8, s0, exec_lo
	s_cselect_b32 s1, s1, s5
	v_cndmask_b32_e64 v4, s4, v4, s0
	v_dual_mov_b32 v5, s1 :: v_dual_mov_b32 v6, s6
	v_mov_b32_e32 v7, s7
	s_and_not1_b32 vcc_lo, exec_lo, s10
	flat_load_b64 v[4:5], v[4:5]
	s_cbranch_vccnz .LBB126_4
; %bb.3:
	v_dual_mov_b32 v7, s5 :: v_dual_mov_b32 v6, s4
	flat_load_b64 v[6:7], v[6:7] offset:8
.LBB126_4:
	s_waitcnt vmcnt(1) lgkmcnt(1)
	v_cmp_eq_f64_e32 vcc_lo, 0, v[0:1]
	v_cmp_eq_f64_e64 s0, 0, v[2:3]
	s_delay_alu instid0(VALU_DEP_1)
	s_and_b32 s4, vcc_lo, s0
	s_mov_b32 s0, -1
	s_and_saveexec_b32 s1, s4
	s_cbranch_execz .LBB126_6
; %bb.5:
	s_waitcnt vmcnt(0) lgkmcnt(0)
	v_cmp_neq_f64_e32 vcc_lo, 1.0, v[4:5]
	v_cmp_neq_f64_e64 s0, 0, v[6:7]
	s_delay_alu instid0(VALU_DEP_1) | instskip(NEXT) | instid1(SALU_CYCLE_1)
	s_or_b32 s0, vcc_lo, s0
	s_or_not1_b32 s0, s0, exec_lo
.LBB126_6:
	s_or_b32 exec_lo, exec_lo, s1
	s_and_saveexec_b32 s1, s0
	s_cbranch_execz .LBB126_25
; %bb.7:
	s_load_b64 s[0:1], s[2:3], 0x0
	v_lshrrev_b32_e32 v8, 2, v10
	s_delay_alu instid0(VALU_DEP_1) | instskip(SKIP_1) | instid1(VALU_DEP_1)
	v_lshl_or_b32 v8, s15, 5, v8
	s_waitcnt lgkmcnt(0)
	v_cmp_gt_i32_e32 vcc_lo, s0, v8
	s_and_b32 exec_lo, exec_lo, vcc_lo
	s_cbranch_execz .LBB126_25
; %bb.8:
	s_load_b256 s[4:11], s[2:3], 0x18
	v_ashrrev_i32_e32 v9, 31, v8
	v_and_b32_e32 v41, 3, v10
	s_cmp_lg_u32 s1, 0
	s_delay_alu instid0(VALU_DEP_2) | instskip(SKIP_1) | instid1(VALU_DEP_1)
	v_lshlrev_b64 v[11:12], 2, v[8:9]
	s_waitcnt lgkmcnt(0)
	v_add_co_u32 v11, vcc_lo, s4, v11
	s_delay_alu instid0(VALU_DEP_2) | instskip(SKIP_4) | instid1(VALU_DEP_2)
	v_add_co_ci_u32_e32 v12, vcc_lo, s5, v12, vcc_lo
	global_load_b64 v[11:12], v[11:12], off
	s_waitcnt vmcnt(0)
	v_subrev_nc_u32_e32 v9, s12, v11
	v_subrev_nc_u32_e32 v32, s12, v12
	v_add_nc_u32_e32 v9, v9, v41
	s_delay_alu instid0(VALU_DEP_1)
	v_cmp_lt_i32_e64 s0, v9, v32
	s_cbranch_scc0 .LBB126_14
; %bb.9:
	v_mov_b32_e32 v13, 0
	v_mov_b32_e32 v14, 0
	s_delay_alu instid0(VALU_DEP_1)
	v_dual_mov_b32 v11, v13 :: v_dual_mov_b32 v12, v14
	v_dual_mov_b32 v22, v14 :: v_dual_mov_b32 v21, v13
	;; [unrolled: 1-line block ×7, first 2 shown]
	s_and_saveexec_b32 s1, s0
	s_cbranch_execz .LBB126_13
; %bb.10:
	v_dual_mov_b32 v13, 0 :: v_dual_mov_b32 v30, v9
	v_dual_mov_b32 v14, 0 :: v_dual_mov_b32 v29, 0
	v_mad_u64_u32 v[27:28], null, v9, 20, 16
	s_delay_alu instid0(VALU_DEP_2)
	v_dual_mov_b32 v11, v13 :: v_dual_mov_b32 v12, v14
	v_dual_mov_b32 v22, v14 :: v_dual_mov_b32 v21, v13
	;; [unrolled: 1-line block ×7, first 2 shown]
	s_mov_b32 s4, 0
.LBB126_11:                             ; =>This Inner Loop Header: Depth=1
	v_ashrrev_i32_e32 v31, 31, v30
	v_dual_mov_b32 v131, v29 :: v_dual_add_nc_u32 v28, -16, v27
	s_delay_alu instid0(VALU_DEP_2) | instskip(SKIP_1) | instid1(VALU_DEP_2)
	v_lshlrev_b64 v[33:34], 2, v[30:31]
	v_add_nc_u32_e32 v30, 4, v30
	v_add_co_u32 v33, vcc_lo, s6, v33
	s_delay_alu instid0(VALU_DEP_3) | instskip(SKIP_3) | instid1(VALU_DEP_1)
	v_add_co_ci_u32_e32 v34, vcc_lo, s7, v34, vcc_lo
	global_load_b32 v10, v[33:34], off
	v_lshlrev_b64 v[33:34], 4, v[28:29]
	v_add_nc_u32_e32 v28, -12, v27
	v_lshlrev_b64 v[54:55], 4, v[28:29]
	s_delay_alu instid0(VALU_DEP_3) | instskip(NEXT) | instid1(VALU_DEP_4)
	v_add_co_u32 v46, vcc_lo, s8, v33
	v_add_co_ci_u32_e32 v47, vcc_lo, s9, v34, vcc_lo
	s_clause 0x3
	global_load_b128 v[33:36], v[46:47], off offset:48
	global_load_b128 v[37:40], v[46:47], off offset:32
	global_load_b128 v[42:45], v[46:47], off offset:16
	global_load_b128 v[46:49], v[46:47], off
	s_waitcnt vmcnt(4)
	v_subrev_nc_u32_e32 v10, s12, v10
	s_delay_alu instid0(VALU_DEP_1) | instskip(NEXT) | instid1(VALU_DEP_1)
	v_lshl_add_u32 v130, v10, 2, v10
	v_lshlrev_b64 v[50:51], 4, v[130:131]
	v_add_nc_u32_e32 v28, 1, v130
	s_delay_alu instid0(VALU_DEP_1) | instskip(NEXT) | instid1(VALU_DEP_3)
	v_lshlrev_b64 v[70:71], 4, v[28:29]
	v_add_co_u32 v50, vcc_lo, s10, v50
	s_delay_alu instid0(VALU_DEP_4)
	v_add_co_ci_u32_e32 v51, vcc_lo, s11, v51, vcc_lo
	v_add_co_u32 v66, vcc_lo, s8, v54
	v_add_co_ci_u32_e32 v67, vcc_lo, s9, v55, vcc_lo
	global_load_b128 v[50:53], v[50:51], off
	v_add_co_u32 v70, vcc_lo, s10, v70
	v_add_co_ci_u32_e32 v71, vcc_lo, s11, v71, vcc_lo
	s_clause 0x3
	global_load_b128 v[54:57], v[66:67], off offset:48
	global_load_b128 v[58:61], v[66:67], off offset:32
	;; [unrolled: 1-line block ×3, first 2 shown]
	global_load_b128 v[66:69], v[66:67], off
	v_add_nc_u32_e32 v28, -8, v27
	global_load_b128 v[70:73], v[70:71], off
	v_lshlrev_b64 v[74:75], 4, v[28:29]
	v_add_nc_u32_e32 v28, 2, v130
	s_delay_alu instid0(VALU_DEP_1) | instskip(NEXT) | instid1(VALU_DEP_3)
	v_lshlrev_b64 v[76:77], 4, v[28:29]
	v_add_co_u32 v86, vcc_lo, s8, v74
	s_delay_alu instid0(VALU_DEP_4) | instskip(SKIP_1) | instid1(VALU_DEP_4)
	v_add_co_ci_u32_e32 v87, vcc_lo, s9, v75, vcc_lo
	v_add_nc_u32_e32 v28, -4, v27
	v_add_co_u32 v90, vcc_lo, s10, v76
	v_add_co_ci_u32_e32 v91, vcc_lo, s11, v77, vcc_lo
	s_clause 0x3
	global_load_b128 v[74:77], v[86:87], off offset:48
	global_load_b128 v[78:81], v[86:87], off offset:32
	;; [unrolled: 1-line block ×3, first 2 shown]
	global_load_b128 v[86:89], v[86:87], off
	global_load_b128 v[90:93], v[90:91], off
	v_lshlrev_b64 v[94:95], 4, v[28:29]
	v_add_nc_u32_e32 v28, 3, v130
	s_delay_alu instid0(VALU_DEP_1) | instskip(NEXT) | instid1(VALU_DEP_3)
	v_lshlrev_b64 v[96:97], 4, v[28:29]
	v_add_co_u32 v106, vcc_lo, s8, v94
	s_delay_alu instid0(VALU_DEP_4) | instskip(SKIP_1) | instid1(VALU_DEP_4)
	v_add_co_ci_u32_e32 v107, vcc_lo, s9, v95, vcc_lo
	v_mov_b32_e32 v28, v29
	v_add_co_u32 v110, vcc_lo, s10, v96
	v_add_co_ci_u32_e32 v111, vcc_lo, s11, v97, vcc_lo
	s_clause 0x3
	global_load_b128 v[94:97], v[106:107], off offset:48
	global_load_b128 v[98:101], v[106:107], off offset:32
	;; [unrolled: 1-line block ×3, first 2 shown]
	global_load_b128 v[106:109], v[106:107], off
	global_load_b128 v[110:113], v[110:111], off
	v_lshlrev_b64 v[114:115], 4, v[27:28]
	v_add_nc_u32_e32 v27, 0x50, v27
	v_add_nc_u32_e32 v28, 4, v130
	s_delay_alu instid0(VALU_DEP_3) | instskip(NEXT) | instid1(VALU_DEP_2)
	v_add_co_u32 v126, vcc_lo, s8, v114
	v_lshlrev_b64 v[130:131], 4, v[28:29]
	v_add_co_ci_u32_e32 v127, vcc_lo, s9, v115, vcc_lo
	s_clause 0x3
	global_load_b128 v[114:117], v[126:127], off offset:48
	global_load_b128 v[118:121], v[126:127], off offset:32
	;; [unrolled: 1-line block ×3, first 2 shown]
	global_load_b128 v[126:129], v[126:127], off
	v_add_co_u32 v130, vcc_lo, s10, v130
	v_add_co_ci_u32_e32 v131, vcc_lo, s11, v131, vcc_lo
	v_cmp_ge_i32_e32 vcc_lo, v30, v32
	global_load_b128 v[130:133], v[130:131], off
	s_or_b32 s4, vcc_lo, s4
	s_waitcnt vmcnt(20)
	v_fma_f64 v[21:22], v[46:47], v[50:51], v[21:22]
	v_fma_f64 v[13:14], v[48:49], v[50:51], v[13:14]
	v_fma_f64 v[23:24], v[42:43], v[50:51], v[23:24]
	v_fma_f64 v[25:26], v[44:45], v[50:51], v[25:26]
	v_fma_f64 v[17:18], v[37:38], v[50:51], v[17:18]
	v_fma_f64 v[19:20], v[39:40], v[50:51], v[19:20]
	v_fma_f64 v[10:11], v[33:34], v[50:51], v[11:12]
	v_fma_f64 v[15:16], v[35:36], v[50:51], v[15:16]
	v_fma_f64 v[21:22], -v[48:49], v[52:53], v[21:22]
	v_fma_f64 v[12:13], v[46:47], v[52:53], v[13:14]
	v_fma_f64 v[23:24], -v[44:45], v[52:53], v[23:24]
	v_fma_f64 v[25:26], v[42:43], v[52:53], v[25:26]
	v_fma_f64 v[17:18], -v[39:40], v[52:53], v[17:18]
	v_fma_f64 v[19:20], v[37:38], v[52:53], v[19:20]
	v_fma_f64 v[10:11], -v[35:36], v[52:53], v[10:11]
	v_fma_f64 v[14:15], v[33:34], v[52:53], v[15:16]
	s_waitcnt vmcnt(15)
	v_fma_f64 v[21:22], v[66:67], v[70:71], v[21:22]
	v_fma_f64 v[12:13], v[68:69], v[70:71], v[12:13]
	v_fma_f64 v[23:24], v[62:63], v[70:71], v[23:24]
	v_fma_f64 v[25:26], v[64:65], v[70:71], v[25:26]
	v_fma_f64 v[16:17], v[58:59], v[70:71], v[17:18]
	v_fma_f64 v[18:19], v[60:61], v[70:71], v[19:20]
	v_fma_f64 v[10:11], v[54:55], v[70:71], v[10:11]
	v_fma_f64 v[14:15], v[56:57], v[70:71], v[14:15]
	v_fma_f64 v[20:21], -v[68:69], v[72:73], v[21:22]
	v_fma_f64 v[12:13], v[66:67], v[72:73], v[12:13]
	v_fma_f64 v[22:23], -v[64:65], v[72:73], v[23:24]
	v_fma_f64 v[24:25], v[62:63], v[72:73], v[25:26]
	v_fma_f64 v[16:17], -v[60:61], v[72:73], v[16:17]
	v_fma_f64 v[18:19], v[58:59], v[72:73], v[18:19]
	v_fma_f64 v[10:11], -v[56:57], v[72:73], v[10:11]
	v_fma_f64 v[14:15], v[54:55], v[72:73], v[14:15]
	;; [unrolled: 17-line block ×5, first 2 shown]
	s_and_not1_b32 exec_lo, exec_lo, s4
	s_cbranch_execnz .LBB126_11
; %bb.12:
	s_or_b32 exec_lo, exec_lo, s4
.LBB126_13:
	s_delay_alu instid0(SALU_CYCLE_1)
	s_or_b32 exec_lo, exec_lo, s1
	s_cbranch_execz .LBB126_15
	s_branch .LBB126_20
.LBB126_14:
                                        ; implicit-def: $vgpr13_vgpr14
                                        ; implicit-def: $vgpr21_vgpr22
                                        ; implicit-def: $vgpr11_vgpr12
                                        ; implicit-def: $vgpr15_vgpr16
                                        ; implicit-def: $vgpr17_vgpr18
                                        ; implicit-def: $vgpr19_vgpr20
                                        ; implicit-def: $vgpr23_vgpr24
                                        ; implicit-def: $vgpr25_vgpr26
.LBB126_15:
	v_mov_b32_e32 v13, 0
	v_mov_b32_e32 v14, 0
	s_delay_alu instid0(VALU_DEP_1)
	v_dual_mov_b32 v11, v13 :: v_dual_mov_b32 v12, v14
	v_dual_mov_b32 v22, v14 :: v_dual_mov_b32 v21, v13
	v_dual_mov_b32 v16, v14 :: v_dual_mov_b32 v15, v13
	v_dual_mov_b32 v18, v14 :: v_dual_mov_b32 v17, v13
	v_dual_mov_b32 v20, v14 :: v_dual_mov_b32 v19, v13
	v_dual_mov_b32 v24, v14 :: v_dual_mov_b32 v23, v13
	v_dual_mov_b32 v26, v14 :: v_dual_mov_b32 v25, v13
	s_and_saveexec_b32 s1, s0
	s_cbranch_execz .LBB126_19
; %bb.16:
	v_mov_b32_e32 v13, 0
	v_dual_mov_b32 v14, 0 :: v_dual_mov_b32 v29, 0
	v_mad_u64_u32 v[27:28], null, v9, 20, 19
	s_delay_alu instid0(VALU_DEP_2)
	v_dual_mov_b32 v11, v13 :: v_dual_mov_b32 v12, v14
	v_dual_mov_b32 v22, v14 :: v_dual_mov_b32 v21, v13
	v_dual_mov_b32 v16, v14 :: v_dual_mov_b32 v15, v13
	v_dual_mov_b32 v18, v14 :: v_dual_mov_b32 v17, v13
	v_dual_mov_b32 v20, v14 :: v_dual_mov_b32 v19, v13
	v_dual_mov_b32 v24, v14 :: v_dual_mov_b32 v23, v13
	v_dual_mov_b32 v26, v14 :: v_dual_mov_b32 v25, v13
	s_mov_b32 s0, 0
.LBB126_17:                             ; =>This Inner Loop Header: Depth=1
	v_ashrrev_i32_e32 v10, 31, v9
	v_subrev_nc_u32_e32 v28, 19, v27
	v_dual_mov_b32 v34, v29 :: v_dual_add_nc_u32 v33, -9, v27
	v_dual_mov_b32 v36, v29 :: v_dual_add_nc_u32 v35, -4, v27
	s_delay_alu instid0(VALU_DEP_4) | instskip(NEXT) | instid1(VALU_DEP_4)
	v_lshlrev_b64 v[30:31], 2, v[9:10]
	v_lshlrev_b64 v[37:38], 4, v[28:29]
	s_delay_alu instid0(VALU_DEP_4)
	v_lshlrev_b64 v[33:34], 4, v[33:34]
	v_mov_b32_e32 v111, v29
	v_lshlrev_b64 v[35:36], 4, v[35:36]
	v_add_nc_u32_e32 v9, 4, v9
	v_add_co_u32 v30, vcc_lo, s6, v30
	v_add_co_ci_u32_e32 v31, vcc_lo, s7, v31, vcc_lo
	v_add_co_u32 v78, vcc_lo, s8, v37
	v_add_co_ci_u32_e32 v79, vcc_lo, s9, v38, vcc_lo
	global_load_b32 v10, v[30:31], off
	v_add_nc_u32_e32 v30, -14, v27
	s_waitcnt vmcnt(0)
	v_subrev_nc_u32_e32 v10, s12, v10
	s_delay_alu instid0(VALU_DEP_1) | instskip(NEXT) | instid1(VALU_DEP_1)
	v_lshl_add_u32 v110, v10, 2, v10
	v_dual_mov_b32 v31, v29 :: v_dual_add_nc_u32 v28, 1, v110
	s_delay_alu instid0(VALU_DEP_1) | instskip(NEXT) | instid1(VALU_DEP_1)
	v_lshlrev_b64 v[30:31], 4, v[30:31]
	v_add_co_u32 v30, vcc_lo, s8, v30
	s_delay_alu instid0(VALU_DEP_2)
	v_add_co_ci_u32_e32 v31, vcc_lo, s9, v31, vcc_lo
	v_add_co_u32 v46, vcc_lo, s8, v33
	v_add_co_ci_u32_e32 v47, vcc_lo, s9, v34, vcc_lo
	v_add_co_u32 v50, vcc_lo, s8, v35
	v_add_co_ci_u32_e32 v51, vcc_lo, s9, v36, vcc_lo
	s_clause 0x4
	global_load_b128 v[33:36], v[78:79], off offset:16
	global_load_b128 v[37:40], v[78:79], off
	global_load_b128 v[42:45], v[30:31], off
	;; [unrolled: 1-line block ×4, first 2 shown]
	v_lshlrev_b64 v[30:31], 4, v[110:111]
	s_delay_alu instid0(VALU_DEP_1) | instskip(NEXT) | instid1(VALU_DEP_2)
	v_add_co_u32 v30, vcc_lo, s10, v30
	v_add_co_ci_u32_e32 v31, vcc_lo, s11, v31, vcc_lo
	global_load_b128 v[54:57], v[30:31], off
	v_lshlrev_b64 v[30:31], 4, v[28:29]
	v_add_nc_u32_e32 v28, -13, v27
	s_delay_alu instid0(VALU_DEP_1) | instskip(SKIP_1) | instid1(VALU_DEP_4)
	v_lshlrev_b64 v[62:63], 4, v[28:29]
	v_add_nc_u32_e32 v28, -8, v27
	v_add_co_u32 v30, vcc_lo, s10, v30
	v_add_co_ci_u32_e32 v31, vcc_lo, s11, v31, vcc_lo
	s_delay_alu instid0(VALU_DEP_3)
	v_lshlrev_b64 v[64:65], 4, v[28:29]
	v_add_nc_u32_e32 v28, -3, v27
	global_load_b128 v[58:61], v[30:31], off
	v_add_co_u32 v30, vcc_lo, s8, v62
	v_add_co_ci_u32_e32 v31, vcc_lo, s9, v63, vcc_lo
	v_lshlrev_b64 v[62:63], 4, v[28:29]
	v_add_co_u32 v66, vcc_lo, s8, v64
	v_add_co_ci_u32_e32 v67, vcc_lo, s9, v65, vcc_lo
	v_mov_b32_e32 v28, v29
	s_delay_alu instid0(VALU_DEP_4)
	v_add_co_u32 v70, vcc_lo, s8, v62
	v_add_co_ci_u32_e32 v71, vcc_lo, s9, v63, vcc_lo
	s_clause 0x2
	global_load_b128 v[62:65], v[30:31], off
	global_load_b128 v[66:69], v[66:67], off
	;; [unrolled: 1-line block ×3, first 2 shown]
	v_lshlrev_b64 v[30:31], 4, v[27:28]
	v_add_nc_u32_e32 v28, 2, v110
	s_clause 0x1
	global_load_b128 v[74:77], v[78:79], off offset:48
	global_load_b128 v[78:81], v[78:79], off offset:32
	v_lshlrev_b64 v[82:83], 4, v[28:29]
	v_add_nc_u32_e32 v28, -12, v27
	v_add_co_u32 v30, vcc_lo, s8, v30
	v_add_co_ci_u32_e32 v31, vcc_lo, s9, v31, vcc_lo
	s_delay_alu instid0(VALU_DEP_3) | instskip(SKIP_3) | instid1(VALU_DEP_3)
	v_lshlrev_b64 v[86:87], 4, v[28:29]
	v_add_nc_u32_e32 v28, -7, v27
	v_add_co_u32 v82, vcc_lo, s10, v82
	v_add_co_ci_u32_e32 v83, vcc_lo, s11, v83, vcc_lo
	v_lshlrev_b64 v[88:89], 4, v[28:29]
	v_add_nc_u32_e32 v28, -2, v27
	v_add_co_u32 v86, vcc_lo, s8, v86
	v_add_co_ci_u32_e32 v87, vcc_lo, s9, v87, vcc_lo
	s_delay_alu instid0(VALU_DEP_3)
	v_lshlrev_b64 v[90:91], 4, v[28:29]
	v_add_co_u32 v92, vcc_lo, s8, v88
	v_add_co_ci_u32_e32 v93, vcc_lo, s9, v89, vcc_lo
	global_load_b128 v[82:85], v[82:83], off
	v_add_co_u32 v94, vcc_lo, s8, v90
	v_add_co_ci_u32_e32 v95, vcc_lo, s9, v91, vcc_lo
	s_clause 0x3
	global_load_b128 v[86:89], v[86:87], off
	global_load_b128 v[90:93], v[92:93], off
	;; [unrolled: 1-line block ×4, first 2 shown]
	v_add_nc_u32_e32 v28, 3, v110
	s_delay_alu instid0(VALU_DEP_1) | instskip(SKIP_1) | instid1(VALU_DEP_1)
	v_lshlrev_b64 v[30:31], 4, v[28:29]
	v_add_nc_u32_e32 v28, -11, v27
	v_lshlrev_b64 v[106:107], 4, v[28:29]
	v_add_nc_u32_e32 v28, -6, v27
	s_delay_alu instid0(VALU_DEP_4) | instskip(SKIP_1) | instid1(VALU_DEP_3)
	v_add_co_u32 v30, vcc_lo, s10, v30
	v_add_co_ci_u32_e32 v31, vcc_lo, s11, v31, vcc_lo
	v_lshlrev_b64 v[108:109], 4, v[28:29]
	v_add_nc_u32_e32 v28, -1, v27
	global_load_b128 v[102:105], v[30:31], off
	v_add_co_u32 v30, vcc_lo, s8, v106
	v_lshlrev_b64 v[114:115], 4, v[28:29]
	v_add_co_ci_u32_e32 v31, vcc_lo, s9, v107, vcc_lo
	v_add_co_u32 v111, vcc_lo, s8, v108
	v_add_co_ci_u32_e32 v112, vcc_lo, s9, v109, vcc_lo
	s_delay_alu instid0(VALU_DEP_4)
	v_add_co_u32 v114, vcc_lo, s8, v114
	v_add_nc_u32_e32 v28, -15, v27
	v_add_co_ci_u32_e32 v115, vcc_lo, s9, v115, vcc_lo
	s_clause 0x1
	global_load_b128 v[106:109], v[30:31], off
	global_load_b128 v[114:117], v[114:115], off
	v_lshlrev_b64 v[30:31], 4, v[28:29]
	v_add_nc_u32_e32 v28, 4, v110
	global_load_b128 v[110:113], v[111:112], off
	v_lshlrev_b64 v[118:119], 4, v[28:29]
	v_add_nc_u32_e32 v28, -10, v27
	v_add_co_u32 v30, vcc_lo, s8, v30
	v_add_co_ci_u32_e32 v31, vcc_lo, s9, v31, vcc_lo
	s_delay_alu instid0(VALU_DEP_3)
	v_lshlrev_b64 v[122:123], 4, v[28:29]
	v_add_nc_u32_e32 v28, -5, v27
	v_add_co_u32 v124, vcc_lo, s10, v118
	v_add_co_ci_u32_e32 v125, vcc_lo, s11, v119, vcc_lo
	global_load_b128 v[118:121], v[30:31], off
	v_lshlrev_b64 v[30:31], 4, v[28:29]
	v_add_co_u32 v122, vcc_lo, s8, v122
	v_add_co_ci_u32_e32 v123, vcc_lo, s9, v123, vcc_lo
	v_add_nc_u32_e32 v27, 0x50, v27
	s_delay_alu instid0(VALU_DEP_4)
	v_add_co_u32 v30, vcc_lo, s8, v30
	v_add_co_ci_u32_e32 v31, vcc_lo, s9, v31, vcc_lo
	v_cmp_ge_i32_e32 vcc_lo, v9, v32
	s_or_b32 s0, vcc_lo, s0
	s_waitcnt vmcnt(16)
	v_fma_f64 v[21:22], v[37:38], v[54:55], v[21:22]
	v_fma_f64 v[13:14], v[39:40], v[54:55], v[13:14]
	;; [unrolled: 1-line block ×8, first 2 shown]
	v_fma_f64 v[21:22], -v[39:40], v[56:57], v[21:22]
	v_fma_f64 v[13:14], v[37:38], v[56:57], v[13:14]
	global_load_b128 v[37:40], v[124:125], off
	v_fma_f64 v[23:24], -v[44:45], v[56:57], v[23:24]
	v_fma_f64 v[25:26], v[42:43], v[56:57], v[25:26]
	s_clause 0x1
	global_load_b128 v[42:45], v[122:123], off
	global_load_b128 v[122:125], v[30:31], off
	v_fma_f64 v[17:18], -v[48:49], v[56:57], v[17:18]
	v_fma_f64 v[19:20], v[46:47], v[56:57], v[19:20]
	v_fma_f64 v[10:11], -v[52:53], v[56:57], v[10:11]
	v_fma_f64 v[15:16], v[50:51], v[56:57], v[15:16]
	s_waitcnt vmcnt(18)
	v_fma_f64 v[21:22], v[33:34], v[58:59], v[21:22]
	v_fma_f64 v[12:13], v[35:36], v[58:59], v[13:14]
	s_waitcnt vmcnt(17)
	v_fma_f64 v[23:24], v[62:63], v[58:59], v[23:24]
	;; [unrolled: 3-line block ×4, first 2 shown]
	v_fma_f64 v[14:15], v[72:73], v[58:59], v[15:16]
	v_fma_f64 v[21:22], -v[35:36], v[60:61], v[21:22]
	v_fma_f64 v[12:13], v[33:34], v[60:61], v[12:13]
	v_fma_f64 v[23:24], -v[64:65], v[60:61], v[23:24]
	;; [unrolled: 2-line block ×4, first 2 shown]
	v_fma_f64 v[14:15], v[70:71], v[60:61], v[14:15]
	s_waitcnt vmcnt(12)
	v_fma_f64 v[20:21], v[78:79], v[82:83], v[21:22]
	v_fma_f64 v[12:13], v[80:81], v[82:83], v[12:13]
	s_waitcnt vmcnt(11)
	v_fma_f64 v[22:23], v[86:87], v[82:83], v[23:24]
	;; [unrolled: 3-line block ×4, first 2 shown]
	v_fma_f64 v[14:15], v[96:97], v[82:83], v[14:15]
	v_fma_f64 v[20:21], -v[80:81], v[84:85], v[20:21]
	v_fma_f64 v[12:13], v[78:79], v[84:85], v[12:13]
	v_fma_f64 v[22:23], -v[88:89], v[84:85], v[22:23]
	;; [unrolled: 2-line block ×4, first 2 shown]
	v_fma_f64 v[14:15], v[94:95], v[84:85], v[14:15]
	s_waitcnt vmcnt(7)
	v_fma_f64 v[20:21], v[74:75], v[102:103], v[20:21]
	v_fma_f64 v[12:13], v[76:77], v[102:103], v[12:13]
	s_waitcnt vmcnt(6)
	v_fma_f64 v[22:23], v[106:107], v[102:103], v[22:23]
	;; [unrolled: 3-line block ×3, first 2 shown]
	v_fma_f64 v[18:19], v[112:113], v[102:103], v[18:19]
	v_fma_f64 v[10:11], v[114:115], v[102:103], v[10:11]
	;; [unrolled: 1-line block ×3, first 2 shown]
	v_fma_f64 v[20:21], -v[76:77], v[104:105], v[20:21]
	v_fma_f64 v[12:13], v[74:75], v[104:105], v[12:13]
	v_fma_f64 v[22:23], -v[108:109], v[104:105], v[22:23]
	v_fma_f64 v[24:25], v[106:107], v[104:105], v[24:25]
	v_fma_f64 v[16:17], -v[112:113], v[104:105], v[16:17]
	v_fma_f64 v[18:19], v[110:111], v[104:105], v[18:19]
	v_fma_f64 v[10:11], -v[116:117], v[104:105], v[10:11]
	v_fma_f64 v[14:15], v[114:115], v[104:105], v[14:15]
	s_waitcnt vmcnt(2)
	v_fma_f64 v[20:21], v[118:119], v[37:38], v[20:21]
	v_fma_f64 v[12:13], v[120:121], v[37:38], v[12:13]
	s_waitcnt vmcnt(1)
	v_fma_f64 v[30:31], v[42:43], v[37:38], v[22:23]
	v_fma_f64 v[25:26], v[44:45], v[37:38], v[24:25]
	;; [unrolled: 3-line block ×3, first 2 shown]
	v_fma_f64 v[10:11], v[98:99], v[37:38], v[10:11]
	v_fma_f64 v[35:36], v[100:101], v[37:38], v[14:15]
	v_fma_f64 v[21:22], -v[120:121], v[39:40], v[20:21]
	v_fma_f64 v[13:14], v[118:119], v[39:40], v[12:13]
	v_fma_f64 v[23:24], -v[44:45], v[39:40], v[30:31]
	;; [unrolled: 2-line block ×4, first 2 shown]
	v_fma_f64 v[15:16], v[98:99], v[39:40], v[35:36]
	s_and_not1_b32 exec_lo, exec_lo, s0
	s_cbranch_execnz .LBB126_17
; %bb.18:
	s_or_b32 exec_lo, exec_lo, s0
.LBB126_19:
	s_delay_alu instid0(SALU_CYCLE_1)
	s_or_b32 exec_lo, exec_lo, s1
.LBB126_20:
	v_mbcnt_lo_u32_b32 v44, -1, 0
	s_delay_alu instid0(VALU_DEP_1) | instskip(NEXT) | instid1(VALU_DEP_1)
	v_xor_b32_e32 v9, 2, v44
	v_cmp_gt_i32_e32 vcc_lo, 32, v9
	v_cndmask_b32_e32 v9, v44, v9, vcc_lo
	s_delay_alu instid0(VALU_DEP_1)
	v_lshlrev_b32_e32 v29, 2, v9
	ds_bpermute_b32 v9, v29, v21
	ds_bpermute_b32 v10, v29, v22
	;; [unrolled: 1-line block ×16, first 2 shown]
	s_waitcnt lgkmcnt(14)
	v_add_f64 v[9:10], v[21:22], v[9:10]
	s_waitcnt lgkmcnt(12)
	v_add_f64 v[29:30], v[13:14], v[27:28]
	s_waitcnt lgkmcnt(10)
	v_add_f64 v[27:28], v[23:24], v[31:32]
	s_waitcnt lgkmcnt(8)
	v_add_f64 v[21:22], v[25:26], v[33:34]
	s_waitcnt lgkmcnt(6)
	v_add_f64 v[13:14], v[17:18], v[35:36]
	s_waitcnt lgkmcnt(4)
	v_add_f64 v[19:20], v[19:20], v[37:38]
	s_waitcnt lgkmcnt(2)
	v_add_f64 v[17:18], v[11:12], v[39:40]
	v_xor_b32_e32 v11, 1, v44
	s_waitcnt lgkmcnt(0)
	v_add_f64 v[25:26], v[15:16], v[42:43]
	s_delay_alu instid0(VALU_DEP_2) | instskip(SKIP_2) | instid1(VALU_DEP_2)
	v_cmp_gt_i32_e32 vcc_lo, 32, v11
	v_cndmask_b32_e32 v11, v44, v11, vcc_lo
	v_cmp_eq_u32_e32 vcc_lo, 3, v41
	v_lshlrev_b32_e32 v32, 2, v11
	ds_bpermute_b32 v39, v32, v9
	ds_bpermute_b32 v40, v32, v10
	;; [unrolled: 1-line block ×16, first 2 shown]
	s_and_b32 exec_lo, exec_lo, vcc_lo
	s_cbranch_execz .LBB126_25
; %bb.21:
	v_cmp_eq_f64_e32 vcc_lo, 0, v[4:5]
	v_cmp_eq_f64_e64 s0, 0, v[6:7]
	s_waitcnt lgkmcnt(14)
	v_add_f64 v[9:10], v[9:10], v[39:40]
	s_waitcnt lgkmcnt(12)
	v_add_f64 v[23:24], v[29:30], v[23:24]
	;; [unrolled: 2-line block ×8, first 2 shown]
	s_load_b64 s[2:3], s[2:3], 0x48
	s_and_b32 s0, vcc_lo, s0
	s_delay_alu instid0(SALU_CYCLE_1) | instskip(NEXT) | instid1(SALU_CYCLE_1)
	s_and_saveexec_b32 s1, s0
	s_xor_b32 s0, exec_lo, s1
	s_cbranch_execz .LBB126_23
; %bb.22:
	v_mul_f64 v[4:5], v[23:24], -v[2:3]
	v_mul_f64 v[6:7], v[0:1], v[23:24]
	v_mul_f64 v[23:24], v[21:22], -v[2:3]
	v_mul_f64 v[21:22], v[0:1], v[21:22]
	v_mul_f64 v[25:26], v[19:20], -v[2:3]
	v_mul_f64 v[19:20], v[0:1], v[19:20]
	v_mul_f64 v[27:28], v[17:18], -v[2:3]
	v_mul_f64 v[29:30], v[0:1], v[17:18]
	v_fma_f64 v[4:5], v[0:1], v[9:10], v[4:5]
	v_fma_f64 v[6:7], v[2:3], v[9:10], v[6:7]
	;; [unrolled: 1-line block ×8, first 2 shown]
	v_lshlrev_b32_e32 v13, 2, v8
                                        ; implicit-def: $vgpr8
                                        ; implicit-def: $vgpr23_vgpr24
                                        ; implicit-def: $vgpr21_vgpr22
                                        ; implicit-def: $vgpr15_vgpr16
	s_delay_alu instid0(VALU_DEP_1) | instskip(NEXT) | instid1(VALU_DEP_1)
	v_ashrrev_i32_e32 v14, 31, v13
	v_lshlrev_b64 v[13:14], 4, v[13:14]
	s_waitcnt lgkmcnt(0)
	s_delay_alu instid0(VALU_DEP_1) | instskip(NEXT) | instid1(VALU_DEP_2)
	v_add_co_u32 v13, vcc_lo, s2, v13
	v_add_co_ci_u32_e32 v14, vcc_lo, s3, v14, vcc_lo
	s_clause 0x3
	global_store_b128 v[13:14], v[4:7], off
	global_store_b128 v[13:14], v[9:12], off offset:16
	global_store_b128 v[13:14], v[17:20], off offset:32
	;; [unrolled: 1-line block ×3, first 2 shown]
                                        ; implicit-def: $vgpr0_vgpr1
                                        ; implicit-def: $vgpr2_vgpr3
                                        ; implicit-def: $vgpr4_vgpr5
                                        ; implicit-def: $vgpr6_vgpr7
                                        ; implicit-def: $vgpr9_vgpr10
                                        ; implicit-def: $vgpr11_vgpr12
                                        ; implicit-def: $vgpr13_vgpr14
                                        ; implicit-def: $vgpr19_vgpr20
                                        ; implicit-def: $vgpr17_vgpr18
.LBB126_23:
	s_and_not1_saveexec_b32 s0, s0
	s_cbranch_execz .LBB126_25
; %bb.24:
	v_lshlrev_b32_e32 v25, 2, v8
	v_mul_f64 v[43:44], v[23:24], -v[2:3]
	v_mul_f64 v[23:24], v[0:1], v[23:24]
	v_mul_f64 v[45:46], v[21:22], -v[2:3]
	v_mul_f64 v[21:22], v[0:1], v[21:22]
	v_ashrrev_i32_e32 v26, 31, v25
	v_mul_f64 v[47:48], v[19:20], -v[2:3]
	v_mul_f64 v[19:20], v[0:1], v[19:20]
	v_mul_f64 v[49:50], v[17:18], -v[2:3]
	v_mul_f64 v[17:18], v[0:1], v[17:18]
	v_lshlrev_b64 v[25:26], 4, v[25:26]
	s_waitcnt lgkmcnt(0)
	s_delay_alu instid0(VALU_DEP_1) | instskip(NEXT) | instid1(VALU_DEP_2)
	v_add_co_u32 v41, vcc_lo, s2, v25
	v_add_co_ci_u32_e32 v42, vcc_lo, s3, v26, vcc_lo
	s_clause 0x3
	global_load_b128 v[25:28], v[41:42], off
	global_load_b128 v[29:32], v[41:42], off offset:16
	global_load_b128 v[33:36], v[41:42], off offset:32
	;; [unrolled: 1-line block ×3, first 2 shown]
	v_fma_f64 v[43:44], v[0:1], v[9:10], v[43:44]
	v_fma_f64 v[8:9], v[2:3], v[9:10], v[23:24]
	;; [unrolled: 1-line block ×8, first 2 shown]
	s_waitcnt vmcnt(3)
	v_fma_f64 v[14:15], v[4:5], v[25:26], v[43:44]
	v_fma_f64 v[8:9], v[6:7], v[25:26], v[8:9]
	s_waitcnt vmcnt(2)
	v_fma_f64 v[16:17], v[4:5], v[29:30], v[23:24]
	v_fma_f64 v[10:11], v[6:7], v[29:30], v[10:11]
	s_waitcnt vmcnt(1)
	v_fma_f64 v[18:19], v[4:5], v[33:34], v[21:22]
	v_fma_f64 v[20:21], v[6:7], v[33:34], v[12:13]
	s_waitcnt vmcnt(0)
	v_fma_f64 v[22:23], v[4:5], v[37:38], v[0:1]
	v_fma_f64 v[24:25], v[6:7], v[37:38], v[2:3]
	v_fma_f64 v[0:1], -v[6:7], v[27:28], v[14:15]
	v_fma_f64 v[2:3], v[4:5], v[27:28], v[8:9]
	v_fma_f64 v[8:9], -v[6:7], v[31:32], v[16:17]
	v_fma_f64 v[10:11], v[4:5], v[31:32], v[10:11]
	v_fma_f64 v[12:13], -v[6:7], v[35:36], v[18:19]
	v_fma_f64 v[14:15], v[4:5], v[35:36], v[20:21]
	v_fma_f64 v[16:17], -v[6:7], v[39:40], v[22:23]
	v_fma_f64 v[18:19], v[4:5], v[39:40], v[24:25]
	s_clause 0x3
	global_store_b128 v[41:42], v[0:3], off
	global_store_b128 v[41:42], v[8:11], off offset:16
	global_store_b128 v[41:42], v[12:15], off offset:32
	;; [unrolled: 1-line block ×3, first 2 shown]
.LBB126_25:
	s_nop 0
	s_sendmsg sendmsg(MSG_DEALLOC_VGPRS)
	s_endpgm
	.section	.rodata,"a",@progbits
	.p2align	6, 0x0
	.amdhsa_kernel _ZN9rocsparseL19gebsrmvn_4xn_kernelILj128ELj5ELj4E21rocsparse_complex_numIdEEEvi20rocsparse_direction_NS_24const_host_device_scalarIT2_EEPKiS8_PKS5_SA_S6_PS5_21rocsparse_index_base_b
		.amdhsa_group_segment_fixed_size 2048
		.amdhsa_private_segment_fixed_size 0
		.amdhsa_kernarg_size 88
		.amdhsa_user_sgpr_count 15
		.amdhsa_user_sgpr_dispatch_ptr 1
		.amdhsa_user_sgpr_queue_ptr 0
		.amdhsa_user_sgpr_kernarg_segment_ptr 1
		.amdhsa_user_sgpr_dispatch_id 0
		.amdhsa_user_sgpr_private_segment_size 0
		.amdhsa_wavefront_size32 1
		.amdhsa_uses_dynamic_stack 0
		.amdhsa_enable_private_segment 0
		.amdhsa_system_sgpr_workgroup_id_x 1
		.amdhsa_system_sgpr_workgroup_id_y 0
		.amdhsa_system_sgpr_workgroup_id_z 0
		.amdhsa_system_sgpr_workgroup_info 0
		.amdhsa_system_vgpr_workitem_id 2
		.amdhsa_next_free_vgpr 134
		.amdhsa_next_free_sgpr 18
		.amdhsa_reserve_vcc 1
		.amdhsa_float_round_mode_32 0
		.amdhsa_float_round_mode_16_64 0
		.amdhsa_float_denorm_mode_32 3
		.amdhsa_float_denorm_mode_16_64 3
		.amdhsa_dx10_clamp 1
		.amdhsa_ieee_mode 1
		.amdhsa_fp16_overflow 0
		.amdhsa_workgroup_processor_mode 1
		.amdhsa_memory_ordered 1
		.amdhsa_forward_progress 0
		.amdhsa_shared_vgpr_count 0
		.amdhsa_exception_fp_ieee_invalid_op 0
		.amdhsa_exception_fp_denorm_src 0
		.amdhsa_exception_fp_ieee_div_zero 0
		.amdhsa_exception_fp_ieee_overflow 0
		.amdhsa_exception_fp_ieee_underflow 0
		.amdhsa_exception_fp_ieee_inexact 0
		.amdhsa_exception_int_div_zero 0
	.end_amdhsa_kernel
	.section	.text._ZN9rocsparseL19gebsrmvn_4xn_kernelILj128ELj5ELj4E21rocsparse_complex_numIdEEEvi20rocsparse_direction_NS_24const_host_device_scalarIT2_EEPKiS8_PKS5_SA_S6_PS5_21rocsparse_index_base_b,"axG",@progbits,_ZN9rocsparseL19gebsrmvn_4xn_kernelILj128ELj5ELj4E21rocsparse_complex_numIdEEEvi20rocsparse_direction_NS_24const_host_device_scalarIT2_EEPKiS8_PKS5_SA_S6_PS5_21rocsparse_index_base_b,comdat
.Lfunc_end126:
	.size	_ZN9rocsparseL19gebsrmvn_4xn_kernelILj128ELj5ELj4E21rocsparse_complex_numIdEEEvi20rocsparse_direction_NS_24const_host_device_scalarIT2_EEPKiS8_PKS5_SA_S6_PS5_21rocsparse_index_base_b, .Lfunc_end126-_ZN9rocsparseL19gebsrmvn_4xn_kernelILj128ELj5ELj4E21rocsparse_complex_numIdEEEvi20rocsparse_direction_NS_24const_host_device_scalarIT2_EEPKiS8_PKS5_SA_S6_PS5_21rocsparse_index_base_b
                                        ; -- End function
	.section	.AMDGPU.csdata,"",@progbits
; Kernel info:
; codeLenInByte = 4824
; NumSgprs: 20
; NumVgprs: 134
; ScratchSize: 0
; MemoryBound: 0
; FloatMode: 240
; IeeeMode: 1
; LDSByteSize: 2048 bytes/workgroup (compile time only)
; SGPRBlocks: 2
; VGPRBlocks: 16
; NumSGPRsForWavesPerEU: 20
; NumVGPRsForWavesPerEU: 134
; Occupancy: 10
; WaveLimiterHint : 1
; COMPUTE_PGM_RSRC2:SCRATCH_EN: 0
; COMPUTE_PGM_RSRC2:USER_SGPR: 15
; COMPUTE_PGM_RSRC2:TRAP_HANDLER: 0
; COMPUTE_PGM_RSRC2:TGID_X_EN: 1
; COMPUTE_PGM_RSRC2:TGID_Y_EN: 0
; COMPUTE_PGM_RSRC2:TGID_Z_EN: 0
; COMPUTE_PGM_RSRC2:TIDIG_COMP_CNT: 2
	.section	.text._ZN9rocsparseL19gebsrmvn_4xn_kernelILj128ELj5ELj8E21rocsparse_complex_numIdEEEvi20rocsparse_direction_NS_24const_host_device_scalarIT2_EEPKiS8_PKS5_SA_S6_PS5_21rocsparse_index_base_b,"axG",@progbits,_ZN9rocsparseL19gebsrmvn_4xn_kernelILj128ELj5ELj8E21rocsparse_complex_numIdEEEvi20rocsparse_direction_NS_24const_host_device_scalarIT2_EEPKiS8_PKS5_SA_S6_PS5_21rocsparse_index_base_b,comdat
	.globl	_ZN9rocsparseL19gebsrmvn_4xn_kernelILj128ELj5ELj8E21rocsparse_complex_numIdEEEvi20rocsparse_direction_NS_24const_host_device_scalarIT2_EEPKiS8_PKS5_SA_S6_PS5_21rocsparse_index_base_b ; -- Begin function _ZN9rocsparseL19gebsrmvn_4xn_kernelILj128ELj5ELj8E21rocsparse_complex_numIdEEEvi20rocsparse_direction_NS_24const_host_device_scalarIT2_EEPKiS8_PKS5_SA_S6_PS5_21rocsparse_index_base_b
	.p2align	8
	.type	_ZN9rocsparseL19gebsrmvn_4xn_kernelILj128ELj5ELj8E21rocsparse_complex_numIdEEEvi20rocsparse_direction_NS_24const_host_device_scalarIT2_EEPKiS8_PKS5_SA_S6_PS5_21rocsparse_index_base_b,@function
_ZN9rocsparseL19gebsrmvn_4xn_kernelILj128ELj5ELj8E21rocsparse_complex_numIdEEEvi20rocsparse_direction_NS_24const_host_device_scalarIT2_EEPKiS8_PKS5_SA_S6_PS5_21rocsparse_index_base_b: ; @_ZN9rocsparseL19gebsrmvn_4xn_kernelILj128ELj5ELj8E21rocsparse_complex_numIdEEEvi20rocsparse_direction_NS_24const_host_device_scalarIT2_EEPKiS8_PKS5_SA_S6_PS5_21rocsparse_index_base_b
; %bb.0:
	s_load_b64 s[12:13], s[2:3], 0x50
	s_load_b64 s[16:17], s[0:1], 0x4
	s_load_b128 s[8:11], s[2:3], 0x8
	v_bfe_u32 v1, v0, 10, 10
	s_mov_b64 s[0:1], src_shared_base
	s_load_b128 s[4:7], s[2:3], 0x38
	v_and_b32_e32 v10, 0x3ff, v0
	v_bfe_u32 v0, v0, 20, 10
	s_waitcnt lgkmcnt(0)
	s_bitcmp1_b32 s13, 0
	v_mul_u32_u24_e32 v1, s17, v1
	s_cselect_b32 s0, -1, 0
	s_delay_alu instid0(SALU_CYCLE_1)
	s_and_b32 vcc_lo, s0, exec_lo
	s_cselect_b32 s13, s1, s9
	s_lshr_b32 s14, s16, 16
	v_dual_mov_b32 v2, s4 :: v_dual_mov_b32 v3, s5
	s_mul_i32 s14, s14, s17
	v_mov_b32_e32 v6, s13
	v_mad_u32_u24 v1, s14, v10, v1
	s_delay_alu instid0(VALU_DEP_1) | instskip(SKIP_1) | instid1(VALU_DEP_2)
	v_add_lshl_u32 v4, v1, v0, 3
	v_dual_mov_b32 v0, s8 :: v_dual_mov_b32 v1, s9
	v_add_nc_u32_e32 v5, 0x400, v4
	ds_store_2addr_stride64_b64 v4, v[2:3], v[0:1] offset1:2
	v_dual_mov_b32 v2, s10 :: v_dual_mov_b32 v3, s11
	v_cndmask_b32_e64 v5, s8, v5, s0
	s_xor_b32 s10, s0, -1
	flat_load_b64 v[0:1], v[5:6]
	s_cbranch_vccnz .LBB127_2
; %bb.1:
	v_dual_mov_b32 v2, s8 :: v_dual_mov_b32 v3, s9
	flat_load_b64 v[2:3], v[2:3] offset:8
.LBB127_2:
	s_and_b32 s8, s0, exec_lo
	s_cselect_b32 s1, s1, s5
	v_cndmask_b32_e64 v4, s4, v4, s0
	v_dual_mov_b32 v5, s1 :: v_dual_mov_b32 v6, s6
	v_mov_b32_e32 v7, s7
	s_and_not1_b32 vcc_lo, exec_lo, s10
	flat_load_b64 v[4:5], v[4:5]
	s_cbranch_vccnz .LBB127_4
; %bb.3:
	v_dual_mov_b32 v7, s5 :: v_dual_mov_b32 v6, s4
	flat_load_b64 v[6:7], v[6:7] offset:8
.LBB127_4:
	s_waitcnt vmcnt(1) lgkmcnt(1)
	v_cmp_eq_f64_e32 vcc_lo, 0, v[0:1]
	v_cmp_eq_f64_e64 s0, 0, v[2:3]
	s_delay_alu instid0(VALU_DEP_1)
	s_and_b32 s4, vcc_lo, s0
	s_mov_b32 s0, -1
	s_and_saveexec_b32 s1, s4
	s_cbranch_execz .LBB127_6
; %bb.5:
	s_waitcnt vmcnt(0) lgkmcnt(0)
	v_cmp_neq_f64_e32 vcc_lo, 1.0, v[4:5]
	v_cmp_neq_f64_e64 s0, 0, v[6:7]
	s_delay_alu instid0(VALU_DEP_1) | instskip(NEXT) | instid1(SALU_CYCLE_1)
	s_or_b32 s0, vcc_lo, s0
	s_or_not1_b32 s0, s0, exec_lo
.LBB127_6:
	s_or_b32 exec_lo, exec_lo, s1
	s_and_saveexec_b32 s1, s0
	s_cbranch_execz .LBB127_25
; %bb.7:
	s_load_b64 s[0:1], s[2:3], 0x0
	v_lshrrev_b32_e32 v8, 3, v10
	s_delay_alu instid0(VALU_DEP_1) | instskip(SKIP_1) | instid1(VALU_DEP_1)
	v_lshl_or_b32 v8, s15, 4, v8
	s_waitcnt lgkmcnt(0)
	v_cmp_gt_i32_e32 vcc_lo, s0, v8
	s_and_b32 exec_lo, exec_lo, vcc_lo
	s_cbranch_execz .LBB127_25
; %bb.8:
	s_load_b256 s[4:11], s[2:3], 0x18
	v_ashrrev_i32_e32 v9, 31, v8
	v_and_b32_e32 v41, 7, v10
	s_cmp_lg_u32 s1, 0
	s_delay_alu instid0(VALU_DEP_2) | instskip(SKIP_1) | instid1(VALU_DEP_1)
	v_lshlrev_b64 v[11:12], 2, v[8:9]
	s_waitcnt lgkmcnt(0)
	v_add_co_u32 v11, vcc_lo, s4, v11
	s_delay_alu instid0(VALU_DEP_2) | instskip(SKIP_4) | instid1(VALU_DEP_2)
	v_add_co_ci_u32_e32 v12, vcc_lo, s5, v12, vcc_lo
	global_load_b64 v[11:12], v[11:12], off
	s_waitcnt vmcnt(0)
	v_subrev_nc_u32_e32 v9, s12, v11
	v_subrev_nc_u32_e32 v32, s12, v12
	v_add_nc_u32_e32 v9, v9, v41
	s_delay_alu instid0(VALU_DEP_1)
	v_cmp_lt_i32_e64 s0, v9, v32
	s_cbranch_scc0 .LBB127_14
; %bb.9:
	v_mov_b32_e32 v13, 0
	v_mov_b32_e32 v14, 0
	s_delay_alu instid0(VALU_DEP_1)
	v_dual_mov_b32 v11, v13 :: v_dual_mov_b32 v12, v14
	v_dual_mov_b32 v22, v14 :: v_dual_mov_b32 v21, v13
	;; [unrolled: 1-line block ×7, first 2 shown]
	s_and_saveexec_b32 s1, s0
	s_cbranch_execz .LBB127_13
; %bb.10:
	v_dual_mov_b32 v13, 0 :: v_dual_mov_b32 v30, v9
	v_dual_mov_b32 v14, 0 :: v_dual_mov_b32 v29, 0
	v_mad_u64_u32 v[27:28], null, v9, 20, 16
	s_delay_alu instid0(VALU_DEP_2)
	v_dual_mov_b32 v11, v13 :: v_dual_mov_b32 v12, v14
	v_dual_mov_b32 v22, v14 :: v_dual_mov_b32 v21, v13
	;; [unrolled: 1-line block ×7, first 2 shown]
	s_mov_b32 s4, 0
.LBB127_11:                             ; =>This Inner Loop Header: Depth=1
	v_ashrrev_i32_e32 v31, 31, v30
	v_dual_mov_b32 v131, v29 :: v_dual_add_nc_u32 v28, -16, v27
	s_delay_alu instid0(VALU_DEP_2) | instskip(SKIP_1) | instid1(VALU_DEP_2)
	v_lshlrev_b64 v[33:34], 2, v[30:31]
	v_add_nc_u32_e32 v30, 8, v30
	v_add_co_u32 v33, vcc_lo, s6, v33
	s_delay_alu instid0(VALU_DEP_3) | instskip(SKIP_3) | instid1(VALU_DEP_1)
	v_add_co_ci_u32_e32 v34, vcc_lo, s7, v34, vcc_lo
	global_load_b32 v10, v[33:34], off
	v_lshlrev_b64 v[33:34], 4, v[28:29]
	v_add_nc_u32_e32 v28, -12, v27
	v_lshlrev_b64 v[54:55], 4, v[28:29]
	s_delay_alu instid0(VALU_DEP_3) | instskip(NEXT) | instid1(VALU_DEP_4)
	v_add_co_u32 v46, vcc_lo, s8, v33
	v_add_co_ci_u32_e32 v47, vcc_lo, s9, v34, vcc_lo
	s_clause 0x3
	global_load_b128 v[33:36], v[46:47], off offset:48
	global_load_b128 v[37:40], v[46:47], off offset:32
	;; [unrolled: 1-line block ×3, first 2 shown]
	global_load_b128 v[46:49], v[46:47], off
	s_waitcnt vmcnt(4)
	v_subrev_nc_u32_e32 v10, s12, v10
	s_delay_alu instid0(VALU_DEP_1) | instskip(NEXT) | instid1(VALU_DEP_1)
	v_lshl_add_u32 v130, v10, 2, v10
	v_lshlrev_b64 v[50:51], 4, v[130:131]
	v_add_nc_u32_e32 v28, 1, v130
	s_delay_alu instid0(VALU_DEP_1) | instskip(NEXT) | instid1(VALU_DEP_3)
	v_lshlrev_b64 v[70:71], 4, v[28:29]
	v_add_co_u32 v50, vcc_lo, s10, v50
	s_delay_alu instid0(VALU_DEP_4)
	v_add_co_ci_u32_e32 v51, vcc_lo, s11, v51, vcc_lo
	v_add_co_u32 v66, vcc_lo, s8, v54
	v_add_co_ci_u32_e32 v67, vcc_lo, s9, v55, vcc_lo
	global_load_b128 v[50:53], v[50:51], off
	v_add_co_u32 v70, vcc_lo, s10, v70
	v_add_co_ci_u32_e32 v71, vcc_lo, s11, v71, vcc_lo
	s_clause 0x3
	global_load_b128 v[54:57], v[66:67], off offset:48
	global_load_b128 v[58:61], v[66:67], off offset:32
	;; [unrolled: 1-line block ×3, first 2 shown]
	global_load_b128 v[66:69], v[66:67], off
	v_add_nc_u32_e32 v28, -8, v27
	global_load_b128 v[70:73], v[70:71], off
	v_lshlrev_b64 v[74:75], 4, v[28:29]
	v_add_nc_u32_e32 v28, 2, v130
	s_delay_alu instid0(VALU_DEP_1) | instskip(NEXT) | instid1(VALU_DEP_3)
	v_lshlrev_b64 v[76:77], 4, v[28:29]
	v_add_co_u32 v86, vcc_lo, s8, v74
	s_delay_alu instid0(VALU_DEP_4) | instskip(SKIP_1) | instid1(VALU_DEP_4)
	v_add_co_ci_u32_e32 v87, vcc_lo, s9, v75, vcc_lo
	v_add_nc_u32_e32 v28, -4, v27
	v_add_co_u32 v90, vcc_lo, s10, v76
	v_add_co_ci_u32_e32 v91, vcc_lo, s11, v77, vcc_lo
	s_clause 0x3
	global_load_b128 v[74:77], v[86:87], off offset:48
	global_load_b128 v[78:81], v[86:87], off offset:32
	;; [unrolled: 1-line block ×3, first 2 shown]
	global_load_b128 v[86:89], v[86:87], off
	global_load_b128 v[90:93], v[90:91], off
	v_lshlrev_b64 v[94:95], 4, v[28:29]
	v_add_nc_u32_e32 v28, 3, v130
	s_delay_alu instid0(VALU_DEP_1) | instskip(NEXT) | instid1(VALU_DEP_3)
	v_lshlrev_b64 v[96:97], 4, v[28:29]
	v_add_co_u32 v106, vcc_lo, s8, v94
	s_delay_alu instid0(VALU_DEP_4) | instskip(SKIP_1) | instid1(VALU_DEP_4)
	v_add_co_ci_u32_e32 v107, vcc_lo, s9, v95, vcc_lo
	v_mov_b32_e32 v28, v29
	v_add_co_u32 v110, vcc_lo, s10, v96
	v_add_co_ci_u32_e32 v111, vcc_lo, s11, v97, vcc_lo
	s_clause 0x3
	global_load_b128 v[94:97], v[106:107], off offset:48
	global_load_b128 v[98:101], v[106:107], off offset:32
	;; [unrolled: 1-line block ×3, first 2 shown]
	global_load_b128 v[106:109], v[106:107], off
	global_load_b128 v[110:113], v[110:111], off
	v_lshlrev_b64 v[114:115], 4, v[27:28]
	v_add_nc_u32_e32 v27, 0xa0, v27
	v_add_nc_u32_e32 v28, 4, v130
	s_delay_alu instid0(VALU_DEP_3) | instskip(NEXT) | instid1(VALU_DEP_2)
	v_add_co_u32 v126, vcc_lo, s8, v114
	v_lshlrev_b64 v[130:131], 4, v[28:29]
	v_add_co_ci_u32_e32 v127, vcc_lo, s9, v115, vcc_lo
	s_clause 0x3
	global_load_b128 v[114:117], v[126:127], off offset:48
	global_load_b128 v[118:121], v[126:127], off offset:32
	;; [unrolled: 1-line block ×3, first 2 shown]
	global_load_b128 v[126:129], v[126:127], off
	v_add_co_u32 v130, vcc_lo, s10, v130
	v_add_co_ci_u32_e32 v131, vcc_lo, s11, v131, vcc_lo
	v_cmp_ge_i32_e32 vcc_lo, v30, v32
	global_load_b128 v[130:133], v[130:131], off
	s_or_b32 s4, vcc_lo, s4
	s_waitcnt vmcnt(20)
	v_fma_f64 v[21:22], v[46:47], v[50:51], v[21:22]
	v_fma_f64 v[13:14], v[48:49], v[50:51], v[13:14]
	v_fma_f64 v[23:24], v[42:43], v[50:51], v[23:24]
	v_fma_f64 v[25:26], v[44:45], v[50:51], v[25:26]
	v_fma_f64 v[17:18], v[37:38], v[50:51], v[17:18]
	v_fma_f64 v[19:20], v[39:40], v[50:51], v[19:20]
	v_fma_f64 v[10:11], v[33:34], v[50:51], v[11:12]
	v_fma_f64 v[15:16], v[35:36], v[50:51], v[15:16]
	v_fma_f64 v[21:22], -v[48:49], v[52:53], v[21:22]
	v_fma_f64 v[12:13], v[46:47], v[52:53], v[13:14]
	v_fma_f64 v[23:24], -v[44:45], v[52:53], v[23:24]
	v_fma_f64 v[25:26], v[42:43], v[52:53], v[25:26]
	v_fma_f64 v[17:18], -v[39:40], v[52:53], v[17:18]
	v_fma_f64 v[19:20], v[37:38], v[52:53], v[19:20]
	v_fma_f64 v[10:11], -v[35:36], v[52:53], v[10:11]
	v_fma_f64 v[14:15], v[33:34], v[52:53], v[15:16]
	s_waitcnt vmcnt(15)
	v_fma_f64 v[21:22], v[66:67], v[70:71], v[21:22]
	v_fma_f64 v[12:13], v[68:69], v[70:71], v[12:13]
	v_fma_f64 v[23:24], v[62:63], v[70:71], v[23:24]
	v_fma_f64 v[25:26], v[64:65], v[70:71], v[25:26]
	v_fma_f64 v[16:17], v[58:59], v[70:71], v[17:18]
	v_fma_f64 v[18:19], v[60:61], v[70:71], v[19:20]
	v_fma_f64 v[10:11], v[54:55], v[70:71], v[10:11]
	v_fma_f64 v[14:15], v[56:57], v[70:71], v[14:15]
	v_fma_f64 v[20:21], -v[68:69], v[72:73], v[21:22]
	v_fma_f64 v[12:13], v[66:67], v[72:73], v[12:13]
	v_fma_f64 v[22:23], -v[64:65], v[72:73], v[23:24]
	v_fma_f64 v[24:25], v[62:63], v[72:73], v[25:26]
	v_fma_f64 v[16:17], -v[60:61], v[72:73], v[16:17]
	v_fma_f64 v[18:19], v[58:59], v[72:73], v[18:19]
	v_fma_f64 v[10:11], -v[56:57], v[72:73], v[10:11]
	v_fma_f64 v[14:15], v[54:55], v[72:73], v[14:15]
	;; [unrolled: 17-line block ×5, first 2 shown]
	s_and_not1_b32 exec_lo, exec_lo, s4
	s_cbranch_execnz .LBB127_11
; %bb.12:
	s_or_b32 exec_lo, exec_lo, s4
.LBB127_13:
	s_delay_alu instid0(SALU_CYCLE_1)
	s_or_b32 exec_lo, exec_lo, s1
	s_cbranch_execz .LBB127_15
	s_branch .LBB127_20
.LBB127_14:
                                        ; implicit-def: $vgpr13_vgpr14
                                        ; implicit-def: $vgpr21_vgpr22
                                        ; implicit-def: $vgpr11_vgpr12
                                        ; implicit-def: $vgpr15_vgpr16
                                        ; implicit-def: $vgpr17_vgpr18
                                        ; implicit-def: $vgpr19_vgpr20
                                        ; implicit-def: $vgpr23_vgpr24
                                        ; implicit-def: $vgpr25_vgpr26
.LBB127_15:
	v_mov_b32_e32 v13, 0
	v_mov_b32_e32 v14, 0
	s_delay_alu instid0(VALU_DEP_1)
	v_dual_mov_b32 v11, v13 :: v_dual_mov_b32 v12, v14
	v_dual_mov_b32 v22, v14 :: v_dual_mov_b32 v21, v13
	v_dual_mov_b32 v16, v14 :: v_dual_mov_b32 v15, v13
	v_dual_mov_b32 v18, v14 :: v_dual_mov_b32 v17, v13
	v_dual_mov_b32 v20, v14 :: v_dual_mov_b32 v19, v13
	v_dual_mov_b32 v24, v14 :: v_dual_mov_b32 v23, v13
	v_dual_mov_b32 v26, v14 :: v_dual_mov_b32 v25, v13
	s_and_saveexec_b32 s1, s0
	s_cbranch_execz .LBB127_19
; %bb.16:
	v_mov_b32_e32 v13, 0
	v_dual_mov_b32 v14, 0 :: v_dual_mov_b32 v29, 0
	v_mad_u64_u32 v[27:28], null, v9, 20, 19
	s_delay_alu instid0(VALU_DEP_2)
	v_dual_mov_b32 v11, v13 :: v_dual_mov_b32 v12, v14
	v_dual_mov_b32 v22, v14 :: v_dual_mov_b32 v21, v13
	;; [unrolled: 1-line block ×7, first 2 shown]
	s_mov_b32 s0, 0
.LBB127_17:                             ; =>This Inner Loop Header: Depth=1
	v_ashrrev_i32_e32 v10, 31, v9
	v_subrev_nc_u32_e32 v28, 19, v27
	v_dual_mov_b32 v34, v29 :: v_dual_add_nc_u32 v33, -9, v27
	v_dual_mov_b32 v36, v29 :: v_dual_add_nc_u32 v35, -4, v27
	s_delay_alu instid0(VALU_DEP_4) | instskip(NEXT) | instid1(VALU_DEP_4)
	v_lshlrev_b64 v[30:31], 2, v[9:10]
	v_lshlrev_b64 v[37:38], 4, v[28:29]
	s_delay_alu instid0(VALU_DEP_4)
	v_lshlrev_b64 v[33:34], 4, v[33:34]
	v_mov_b32_e32 v111, v29
	v_lshlrev_b64 v[35:36], 4, v[35:36]
	v_add_nc_u32_e32 v9, 8, v9
	v_add_co_u32 v30, vcc_lo, s6, v30
	v_add_co_ci_u32_e32 v31, vcc_lo, s7, v31, vcc_lo
	v_add_co_u32 v78, vcc_lo, s8, v37
	v_add_co_ci_u32_e32 v79, vcc_lo, s9, v38, vcc_lo
	global_load_b32 v10, v[30:31], off
	v_add_nc_u32_e32 v30, -14, v27
	s_waitcnt vmcnt(0)
	v_subrev_nc_u32_e32 v10, s12, v10
	s_delay_alu instid0(VALU_DEP_1) | instskip(NEXT) | instid1(VALU_DEP_1)
	v_lshl_add_u32 v110, v10, 2, v10
	v_dual_mov_b32 v31, v29 :: v_dual_add_nc_u32 v28, 1, v110
	s_delay_alu instid0(VALU_DEP_1) | instskip(NEXT) | instid1(VALU_DEP_1)
	v_lshlrev_b64 v[30:31], 4, v[30:31]
	v_add_co_u32 v30, vcc_lo, s8, v30
	s_delay_alu instid0(VALU_DEP_2)
	v_add_co_ci_u32_e32 v31, vcc_lo, s9, v31, vcc_lo
	v_add_co_u32 v46, vcc_lo, s8, v33
	v_add_co_ci_u32_e32 v47, vcc_lo, s9, v34, vcc_lo
	v_add_co_u32 v50, vcc_lo, s8, v35
	v_add_co_ci_u32_e32 v51, vcc_lo, s9, v36, vcc_lo
	s_clause 0x4
	global_load_b128 v[33:36], v[78:79], off offset:16
	global_load_b128 v[37:40], v[78:79], off
	global_load_b128 v[42:45], v[30:31], off
	;; [unrolled: 1-line block ×4, first 2 shown]
	v_lshlrev_b64 v[30:31], 4, v[110:111]
	s_delay_alu instid0(VALU_DEP_1) | instskip(NEXT) | instid1(VALU_DEP_2)
	v_add_co_u32 v30, vcc_lo, s10, v30
	v_add_co_ci_u32_e32 v31, vcc_lo, s11, v31, vcc_lo
	global_load_b128 v[54:57], v[30:31], off
	v_lshlrev_b64 v[30:31], 4, v[28:29]
	v_add_nc_u32_e32 v28, -13, v27
	s_delay_alu instid0(VALU_DEP_1) | instskip(SKIP_1) | instid1(VALU_DEP_4)
	v_lshlrev_b64 v[62:63], 4, v[28:29]
	v_add_nc_u32_e32 v28, -8, v27
	v_add_co_u32 v30, vcc_lo, s10, v30
	v_add_co_ci_u32_e32 v31, vcc_lo, s11, v31, vcc_lo
	s_delay_alu instid0(VALU_DEP_3)
	v_lshlrev_b64 v[64:65], 4, v[28:29]
	v_add_nc_u32_e32 v28, -3, v27
	global_load_b128 v[58:61], v[30:31], off
	v_add_co_u32 v30, vcc_lo, s8, v62
	v_add_co_ci_u32_e32 v31, vcc_lo, s9, v63, vcc_lo
	v_lshlrev_b64 v[62:63], 4, v[28:29]
	v_add_co_u32 v66, vcc_lo, s8, v64
	v_add_co_ci_u32_e32 v67, vcc_lo, s9, v65, vcc_lo
	v_mov_b32_e32 v28, v29
	s_delay_alu instid0(VALU_DEP_4)
	v_add_co_u32 v70, vcc_lo, s8, v62
	v_add_co_ci_u32_e32 v71, vcc_lo, s9, v63, vcc_lo
	s_clause 0x2
	global_load_b128 v[62:65], v[30:31], off
	global_load_b128 v[66:69], v[66:67], off
	;; [unrolled: 1-line block ×3, first 2 shown]
	v_lshlrev_b64 v[30:31], 4, v[27:28]
	v_add_nc_u32_e32 v28, 2, v110
	s_clause 0x1
	global_load_b128 v[74:77], v[78:79], off offset:48
	global_load_b128 v[78:81], v[78:79], off offset:32
	v_lshlrev_b64 v[82:83], 4, v[28:29]
	v_add_nc_u32_e32 v28, -12, v27
	v_add_co_u32 v30, vcc_lo, s8, v30
	v_add_co_ci_u32_e32 v31, vcc_lo, s9, v31, vcc_lo
	s_delay_alu instid0(VALU_DEP_3) | instskip(SKIP_3) | instid1(VALU_DEP_3)
	v_lshlrev_b64 v[86:87], 4, v[28:29]
	v_add_nc_u32_e32 v28, -7, v27
	v_add_co_u32 v82, vcc_lo, s10, v82
	v_add_co_ci_u32_e32 v83, vcc_lo, s11, v83, vcc_lo
	v_lshlrev_b64 v[88:89], 4, v[28:29]
	v_add_nc_u32_e32 v28, -2, v27
	v_add_co_u32 v86, vcc_lo, s8, v86
	v_add_co_ci_u32_e32 v87, vcc_lo, s9, v87, vcc_lo
	s_delay_alu instid0(VALU_DEP_3)
	v_lshlrev_b64 v[90:91], 4, v[28:29]
	v_add_co_u32 v92, vcc_lo, s8, v88
	v_add_co_ci_u32_e32 v93, vcc_lo, s9, v89, vcc_lo
	global_load_b128 v[82:85], v[82:83], off
	v_add_co_u32 v94, vcc_lo, s8, v90
	v_add_co_ci_u32_e32 v95, vcc_lo, s9, v91, vcc_lo
	s_clause 0x3
	global_load_b128 v[86:89], v[86:87], off
	global_load_b128 v[90:93], v[92:93], off
	;; [unrolled: 1-line block ×4, first 2 shown]
	v_add_nc_u32_e32 v28, 3, v110
	s_delay_alu instid0(VALU_DEP_1) | instskip(SKIP_1) | instid1(VALU_DEP_1)
	v_lshlrev_b64 v[30:31], 4, v[28:29]
	v_add_nc_u32_e32 v28, -11, v27
	v_lshlrev_b64 v[106:107], 4, v[28:29]
	v_add_nc_u32_e32 v28, -6, v27
	s_delay_alu instid0(VALU_DEP_4) | instskip(SKIP_1) | instid1(VALU_DEP_3)
	v_add_co_u32 v30, vcc_lo, s10, v30
	v_add_co_ci_u32_e32 v31, vcc_lo, s11, v31, vcc_lo
	v_lshlrev_b64 v[108:109], 4, v[28:29]
	v_add_nc_u32_e32 v28, -1, v27
	global_load_b128 v[102:105], v[30:31], off
	v_add_co_u32 v30, vcc_lo, s8, v106
	v_lshlrev_b64 v[114:115], 4, v[28:29]
	v_add_co_ci_u32_e32 v31, vcc_lo, s9, v107, vcc_lo
	v_add_co_u32 v111, vcc_lo, s8, v108
	v_add_co_ci_u32_e32 v112, vcc_lo, s9, v109, vcc_lo
	s_delay_alu instid0(VALU_DEP_4)
	v_add_co_u32 v114, vcc_lo, s8, v114
	v_add_nc_u32_e32 v28, -15, v27
	v_add_co_ci_u32_e32 v115, vcc_lo, s9, v115, vcc_lo
	s_clause 0x1
	global_load_b128 v[106:109], v[30:31], off
	global_load_b128 v[114:117], v[114:115], off
	v_lshlrev_b64 v[30:31], 4, v[28:29]
	v_add_nc_u32_e32 v28, 4, v110
	global_load_b128 v[110:113], v[111:112], off
	v_lshlrev_b64 v[118:119], 4, v[28:29]
	v_add_nc_u32_e32 v28, -10, v27
	v_add_co_u32 v30, vcc_lo, s8, v30
	v_add_co_ci_u32_e32 v31, vcc_lo, s9, v31, vcc_lo
	s_delay_alu instid0(VALU_DEP_3)
	v_lshlrev_b64 v[122:123], 4, v[28:29]
	v_add_nc_u32_e32 v28, -5, v27
	v_add_co_u32 v124, vcc_lo, s10, v118
	v_add_co_ci_u32_e32 v125, vcc_lo, s11, v119, vcc_lo
	global_load_b128 v[118:121], v[30:31], off
	v_lshlrev_b64 v[30:31], 4, v[28:29]
	v_add_co_u32 v122, vcc_lo, s8, v122
	v_add_co_ci_u32_e32 v123, vcc_lo, s9, v123, vcc_lo
	v_add_nc_u32_e32 v27, 0xa0, v27
	s_delay_alu instid0(VALU_DEP_4)
	v_add_co_u32 v30, vcc_lo, s8, v30
	v_add_co_ci_u32_e32 v31, vcc_lo, s9, v31, vcc_lo
	v_cmp_ge_i32_e32 vcc_lo, v9, v32
	s_or_b32 s0, vcc_lo, s0
	s_waitcnt vmcnt(16)
	v_fma_f64 v[21:22], v[37:38], v[54:55], v[21:22]
	v_fma_f64 v[13:14], v[39:40], v[54:55], v[13:14]
	;; [unrolled: 1-line block ×8, first 2 shown]
	v_fma_f64 v[21:22], -v[39:40], v[56:57], v[21:22]
	v_fma_f64 v[13:14], v[37:38], v[56:57], v[13:14]
	global_load_b128 v[37:40], v[124:125], off
	v_fma_f64 v[23:24], -v[44:45], v[56:57], v[23:24]
	v_fma_f64 v[25:26], v[42:43], v[56:57], v[25:26]
	s_clause 0x1
	global_load_b128 v[42:45], v[122:123], off
	global_load_b128 v[122:125], v[30:31], off
	v_fma_f64 v[17:18], -v[48:49], v[56:57], v[17:18]
	v_fma_f64 v[19:20], v[46:47], v[56:57], v[19:20]
	v_fma_f64 v[10:11], -v[52:53], v[56:57], v[10:11]
	v_fma_f64 v[15:16], v[50:51], v[56:57], v[15:16]
	s_waitcnt vmcnt(18)
	v_fma_f64 v[21:22], v[33:34], v[58:59], v[21:22]
	v_fma_f64 v[12:13], v[35:36], v[58:59], v[13:14]
	s_waitcnt vmcnt(17)
	v_fma_f64 v[23:24], v[62:63], v[58:59], v[23:24]
	;; [unrolled: 3-line block ×4, first 2 shown]
	v_fma_f64 v[14:15], v[72:73], v[58:59], v[15:16]
	v_fma_f64 v[21:22], -v[35:36], v[60:61], v[21:22]
	v_fma_f64 v[12:13], v[33:34], v[60:61], v[12:13]
	v_fma_f64 v[23:24], -v[64:65], v[60:61], v[23:24]
	;; [unrolled: 2-line block ×4, first 2 shown]
	v_fma_f64 v[14:15], v[70:71], v[60:61], v[14:15]
	s_waitcnt vmcnt(12)
	v_fma_f64 v[20:21], v[78:79], v[82:83], v[21:22]
	v_fma_f64 v[12:13], v[80:81], v[82:83], v[12:13]
	s_waitcnt vmcnt(11)
	v_fma_f64 v[22:23], v[86:87], v[82:83], v[23:24]
	v_fma_f64 v[24:25], v[88:89], v[82:83], v[25:26]
	s_waitcnt vmcnt(10)
	v_fma_f64 v[16:17], v[90:91], v[82:83], v[16:17]
	v_fma_f64 v[18:19], v[92:93], v[82:83], v[18:19]
	s_waitcnt vmcnt(9)
	v_fma_f64 v[10:11], v[94:95], v[82:83], v[10:11]
	v_fma_f64 v[14:15], v[96:97], v[82:83], v[14:15]
	v_fma_f64 v[20:21], -v[80:81], v[84:85], v[20:21]
	v_fma_f64 v[12:13], v[78:79], v[84:85], v[12:13]
	v_fma_f64 v[22:23], -v[88:89], v[84:85], v[22:23]
	;; [unrolled: 2-line block ×4, first 2 shown]
	v_fma_f64 v[14:15], v[94:95], v[84:85], v[14:15]
	s_waitcnt vmcnt(7)
	v_fma_f64 v[20:21], v[74:75], v[102:103], v[20:21]
	v_fma_f64 v[12:13], v[76:77], v[102:103], v[12:13]
	s_waitcnt vmcnt(6)
	v_fma_f64 v[22:23], v[106:107], v[102:103], v[22:23]
	;; [unrolled: 3-line block ×3, first 2 shown]
	v_fma_f64 v[18:19], v[112:113], v[102:103], v[18:19]
	v_fma_f64 v[10:11], v[114:115], v[102:103], v[10:11]
	;; [unrolled: 1-line block ×3, first 2 shown]
	v_fma_f64 v[20:21], -v[76:77], v[104:105], v[20:21]
	v_fma_f64 v[12:13], v[74:75], v[104:105], v[12:13]
	v_fma_f64 v[22:23], -v[108:109], v[104:105], v[22:23]
	v_fma_f64 v[24:25], v[106:107], v[104:105], v[24:25]
	;; [unrolled: 2-line block ×4, first 2 shown]
	s_waitcnt vmcnt(2)
	v_fma_f64 v[20:21], v[118:119], v[37:38], v[20:21]
	v_fma_f64 v[12:13], v[120:121], v[37:38], v[12:13]
	s_waitcnt vmcnt(1)
	v_fma_f64 v[30:31], v[42:43], v[37:38], v[22:23]
	v_fma_f64 v[25:26], v[44:45], v[37:38], v[24:25]
	;; [unrolled: 3-line block ×3, first 2 shown]
	v_fma_f64 v[10:11], v[98:99], v[37:38], v[10:11]
	v_fma_f64 v[35:36], v[100:101], v[37:38], v[14:15]
	v_fma_f64 v[21:22], -v[120:121], v[39:40], v[20:21]
	v_fma_f64 v[13:14], v[118:119], v[39:40], v[12:13]
	v_fma_f64 v[23:24], -v[44:45], v[39:40], v[30:31]
	;; [unrolled: 2-line block ×4, first 2 shown]
	v_fma_f64 v[15:16], v[98:99], v[39:40], v[35:36]
	s_and_not1_b32 exec_lo, exec_lo, s0
	s_cbranch_execnz .LBB127_17
; %bb.18:
	s_or_b32 exec_lo, exec_lo, s0
.LBB127_19:
	s_delay_alu instid0(SALU_CYCLE_1)
	s_or_b32 exec_lo, exec_lo, s1
.LBB127_20:
	v_mbcnt_lo_u32_b32 v44, -1, 0
	s_delay_alu instid0(VALU_DEP_1) | instskip(NEXT) | instid1(VALU_DEP_1)
	v_xor_b32_e32 v9, 4, v44
	v_cmp_gt_i32_e32 vcc_lo, 32, v9
	v_cndmask_b32_e32 v9, v44, v9, vcc_lo
	s_delay_alu instid0(VALU_DEP_1)
	v_lshlrev_b32_e32 v40, 2, v9
	ds_bpermute_b32 v27, v40, v13
	ds_bpermute_b32 v28, v40, v14
	;; [unrolled: 1-line block ×4, first 2 shown]
	s_waitcnt lgkmcnt(2)
	v_add_f64 v[13:14], v[13:14], v[27:28]
	s_waitcnt lgkmcnt(0)
	v_add_f64 v[27:28], v[11:12], v[37:38]
	v_xor_b32_e32 v11, 2, v44
	s_delay_alu instid0(VALU_DEP_1)
	v_cmp_gt_i32_e32 vcc_lo, 32, v11
	v_cndmask_b32_e32 v11, v44, v11, vcc_lo
	ds_bpermute_b32 v9, v40, v21
	ds_bpermute_b32 v10, v40, v22
	;; [unrolled: 1-line block ×12, first 2 shown]
	s_waitcnt lgkmcnt(10)
	v_add_f64 v[9:10], v[21:22], v[9:10]
	s_waitcnt lgkmcnt(8)
	v_add_f64 v[21:22], v[23:24], v[29:30]
	v_lshlrev_b32_e32 v23, 2, v11
	s_waitcnt lgkmcnt(6)
	v_add_f64 v[25:26], v[25:26], v[31:32]
	s_waitcnt lgkmcnt(4)
	v_add_f64 v[17:18], v[17:18], v[33:34]
	;; [unrolled: 2-line block ×4, first 2 shown]
	ds_bpermute_b32 v15, v23, v13
	ds_bpermute_b32 v16, v23, v14
	;; [unrolled: 1-line block ×16, first 2 shown]
	s_waitcnt lgkmcnt(14)
	v_add_f64 v[23:24], v[13:14], v[15:16]
	s_waitcnt lgkmcnt(12)
	v_add_f64 v[15:16], v[27:28], v[39:40]
	s_waitcnt lgkmcnt(10)
	v_add_f64 v[9:10], v[9:10], v[11:12]
	s_waitcnt lgkmcnt(8)
	v_add_f64 v[11:12], v[21:22], v[31:32]
	s_waitcnt lgkmcnt(6)
	v_add_f64 v[21:22], v[25:26], v[33:34]
	v_xor_b32_e32 v25, 1, v44
	s_waitcnt lgkmcnt(4)
	v_add_f64 v[13:14], v[17:18], v[35:36]
	s_waitcnt lgkmcnt(2)
	v_add_f64 v[19:20], v[19:20], v[37:38]
	;; [unrolled: 2-line block ×3, first 2 shown]
	v_cmp_gt_i32_e32 vcc_lo, 32, v25
	v_cndmask_b32_e32 v25, v44, v25, vcc_lo
	v_cmp_eq_u32_e32 vcc_lo, 7, v41
	s_delay_alu instid0(VALU_DEP_2)
	v_lshlrev_b32_e32 v28, 2, v25
	ds_bpermute_b32 v37, v28, v23
	ds_bpermute_b32 v38, v28, v24
	;; [unrolled: 1-line block ×16, first 2 shown]
	s_and_b32 exec_lo, exec_lo, vcc_lo
	s_cbranch_execz .LBB127_25
; %bb.21:
	v_cmp_eq_f64_e32 vcc_lo, 0, v[4:5]
	v_cmp_eq_f64_e64 s0, 0, v[6:7]
	s_waitcnt lgkmcnt(10)
	v_add_f64 v[9:10], v[9:10], v[39:40]
	v_add_f64 v[23:24], v[23:24], v[37:38]
	s_waitcnt lgkmcnt(8)
	v_add_f64 v[11:12], v[11:12], v[35:36]
	s_waitcnt lgkmcnt(6)
	v_add_f64 v[21:22], v[21:22], v[33:34]
	s_waitcnt lgkmcnt(4)
	v_add_f64 v[13:14], v[13:14], v[31:32]
	s_waitcnt lgkmcnt(2)
	v_add_f64 v[19:20], v[19:20], v[29:30]
	v_add_f64 v[15:16], v[15:16], v[25:26]
	s_waitcnt lgkmcnt(0)
	v_add_f64 v[17:18], v[17:18], v[27:28]
	s_load_b64 s[2:3], s[2:3], 0x48
	s_and_b32 s0, vcc_lo, s0
	s_delay_alu instid0(SALU_CYCLE_1) | instskip(NEXT) | instid1(SALU_CYCLE_1)
	s_and_saveexec_b32 s1, s0
	s_xor_b32 s0, exec_lo, s1
	s_cbranch_execz .LBB127_23
; %bb.22:
	v_mul_f64 v[4:5], v[23:24], -v[2:3]
	v_mul_f64 v[6:7], v[0:1], v[23:24]
	v_mul_f64 v[23:24], v[21:22], -v[2:3]
	v_mul_f64 v[21:22], v[0:1], v[21:22]
	;; [unrolled: 2-line block ×4, first 2 shown]
	v_fma_f64 v[4:5], v[0:1], v[9:10], v[4:5]
	v_fma_f64 v[6:7], v[2:3], v[9:10], v[6:7]
	;; [unrolled: 1-line block ×8, first 2 shown]
	v_lshlrev_b32_e32 v13, 2, v8
                                        ; implicit-def: $vgpr8
                                        ; implicit-def: $vgpr23_vgpr24
                                        ; implicit-def: $vgpr21_vgpr22
                                        ; implicit-def: $vgpr15_vgpr16
	s_delay_alu instid0(VALU_DEP_1) | instskip(NEXT) | instid1(VALU_DEP_1)
	v_ashrrev_i32_e32 v14, 31, v13
	v_lshlrev_b64 v[13:14], 4, v[13:14]
	s_waitcnt lgkmcnt(0)
	s_delay_alu instid0(VALU_DEP_1) | instskip(NEXT) | instid1(VALU_DEP_2)
	v_add_co_u32 v13, vcc_lo, s2, v13
	v_add_co_ci_u32_e32 v14, vcc_lo, s3, v14, vcc_lo
	s_clause 0x3
	global_store_b128 v[13:14], v[4:7], off
	global_store_b128 v[13:14], v[9:12], off offset:16
	global_store_b128 v[13:14], v[17:20], off offset:32
	;; [unrolled: 1-line block ×3, first 2 shown]
                                        ; implicit-def: $vgpr0_vgpr1
                                        ; implicit-def: $vgpr2_vgpr3
                                        ; implicit-def: $vgpr4_vgpr5
                                        ; implicit-def: $vgpr6_vgpr7
                                        ; implicit-def: $vgpr9_vgpr10
                                        ; implicit-def: $vgpr11_vgpr12
                                        ; implicit-def: $vgpr13_vgpr14
                                        ; implicit-def: $vgpr19_vgpr20
                                        ; implicit-def: $vgpr17_vgpr18
.LBB127_23:
	s_and_not1_saveexec_b32 s0, s0
	s_cbranch_execz .LBB127_25
; %bb.24:
	v_lshlrev_b32_e32 v25, 2, v8
	v_mul_f64 v[43:44], v[23:24], -v[2:3]
	v_mul_f64 v[23:24], v[0:1], v[23:24]
	v_mul_f64 v[45:46], v[21:22], -v[2:3]
	v_mul_f64 v[21:22], v[0:1], v[21:22]
	v_ashrrev_i32_e32 v26, 31, v25
	v_mul_f64 v[47:48], v[19:20], -v[2:3]
	v_mul_f64 v[19:20], v[0:1], v[19:20]
	v_mul_f64 v[49:50], v[17:18], -v[2:3]
	v_mul_f64 v[17:18], v[0:1], v[17:18]
	v_lshlrev_b64 v[25:26], 4, v[25:26]
	s_waitcnt lgkmcnt(0)
	s_delay_alu instid0(VALU_DEP_1) | instskip(NEXT) | instid1(VALU_DEP_2)
	v_add_co_u32 v41, vcc_lo, s2, v25
	v_add_co_ci_u32_e32 v42, vcc_lo, s3, v26, vcc_lo
	s_clause 0x3
	global_load_b128 v[25:28], v[41:42], off
	global_load_b128 v[29:32], v[41:42], off offset:16
	global_load_b128 v[33:36], v[41:42], off offset:32
	;; [unrolled: 1-line block ×3, first 2 shown]
	v_fma_f64 v[43:44], v[0:1], v[9:10], v[43:44]
	v_fma_f64 v[8:9], v[2:3], v[9:10], v[23:24]
	;; [unrolled: 1-line block ×8, first 2 shown]
	s_waitcnt vmcnt(3)
	v_fma_f64 v[14:15], v[4:5], v[25:26], v[43:44]
	v_fma_f64 v[8:9], v[6:7], v[25:26], v[8:9]
	s_waitcnt vmcnt(2)
	v_fma_f64 v[16:17], v[4:5], v[29:30], v[23:24]
	v_fma_f64 v[10:11], v[6:7], v[29:30], v[10:11]
	;; [unrolled: 3-line block ×4, first 2 shown]
	v_fma_f64 v[0:1], -v[6:7], v[27:28], v[14:15]
	v_fma_f64 v[2:3], v[4:5], v[27:28], v[8:9]
	v_fma_f64 v[8:9], -v[6:7], v[31:32], v[16:17]
	v_fma_f64 v[10:11], v[4:5], v[31:32], v[10:11]
	;; [unrolled: 2-line block ×4, first 2 shown]
	s_clause 0x3
	global_store_b128 v[41:42], v[0:3], off
	global_store_b128 v[41:42], v[8:11], off offset:16
	global_store_b128 v[41:42], v[12:15], off offset:32
	;; [unrolled: 1-line block ×3, first 2 shown]
.LBB127_25:
	s_nop 0
	s_sendmsg sendmsg(MSG_DEALLOC_VGPRS)
	s_endpgm
	.section	.rodata,"a",@progbits
	.p2align	6, 0x0
	.amdhsa_kernel _ZN9rocsparseL19gebsrmvn_4xn_kernelILj128ELj5ELj8E21rocsparse_complex_numIdEEEvi20rocsparse_direction_NS_24const_host_device_scalarIT2_EEPKiS8_PKS5_SA_S6_PS5_21rocsparse_index_base_b
		.amdhsa_group_segment_fixed_size 2048
		.amdhsa_private_segment_fixed_size 0
		.amdhsa_kernarg_size 88
		.amdhsa_user_sgpr_count 15
		.amdhsa_user_sgpr_dispatch_ptr 1
		.amdhsa_user_sgpr_queue_ptr 0
		.amdhsa_user_sgpr_kernarg_segment_ptr 1
		.amdhsa_user_sgpr_dispatch_id 0
		.amdhsa_user_sgpr_private_segment_size 0
		.amdhsa_wavefront_size32 1
		.amdhsa_uses_dynamic_stack 0
		.amdhsa_enable_private_segment 0
		.amdhsa_system_sgpr_workgroup_id_x 1
		.amdhsa_system_sgpr_workgroup_id_y 0
		.amdhsa_system_sgpr_workgroup_id_z 0
		.amdhsa_system_sgpr_workgroup_info 0
		.amdhsa_system_vgpr_workitem_id 2
		.amdhsa_next_free_vgpr 134
		.amdhsa_next_free_sgpr 18
		.amdhsa_reserve_vcc 1
		.amdhsa_float_round_mode_32 0
		.amdhsa_float_round_mode_16_64 0
		.amdhsa_float_denorm_mode_32 3
		.amdhsa_float_denorm_mode_16_64 3
		.amdhsa_dx10_clamp 1
		.amdhsa_ieee_mode 1
		.amdhsa_fp16_overflow 0
		.amdhsa_workgroup_processor_mode 1
		.amdhsa_memory_ordered 1
		.amdhsa_forward_progress 0
		.amdhsa_shared_vgpr_count 0
		.amdhsa_exception_fp_ieee_invalid_op 0
		.amdhsa_exception_fp_denorm_src 0
		.amdhsa_exception_fp_ieee_div_zero 0
		.amdhsa_exception_fp_ieee_overflow 0
		.amdhsa_exception_fp_ieee_underflow 0
		.amdhsa_exception_fp_ieee_inexact 0
		.amdhsa_exception_int_div_zero 0
	.end_amdhsa_kernel
	.section	.text._ZN9rocsparseL19gebsrmvn_4xn_kernelILj128ELj5ELj8E21rocsparse_complex_numIdEEEvi20rocsparse_direction_NS_24const_host_device_scalarIT2_EEPKiS8_PKS5_SA_S6_PS5_21rocsparse_index_base_b,"axG",@progbits,_ZN9rocsparseL19gebsrmvn_4xn_kernelILj128ELj5ELj8E21rocsparse_complex_numIdEEEvi20rocsparse_direction_NS_24const_host_device_scalarIT2_EEPKiS8_PKS5_SA_S6_PS5_21rocsparse_index_base_b,comdat
.Lfunc_end127:
	.size	_ZN9rocsparseL19gebsrmvn_4xn_kernelILj128ELj5ELj8E21rocsparse_complex_numIdEEEvi20rocsparse_direction_NS_24const_host_device_scalarIT2_EEPKiS8_PKS5_SA_S6_PS5_21rocsparse_index_base_b, .Lfunc_end127-_ZN9rocsparseL19gebsrmvn_4xn_kernelILj128ELj5ELj8E21rocsparse_complex_numIdEEEvi20rocsparse_direction_NS_24const_host_device_scalarIT2_EEPKiS8_PKS5_SA_S6_PS5_21rocsparse_index_base_b
                                        ; -- End function
	.section	.AMDGPU.csdata,"",@progbits
; Kernel info:
; codeLenInByte = 5060
; NumSgprs: 20
; NumVgprs: 134
; ScratchSize: 0
; MemoryBound: 0
; FloatMode: 240
; IeeeMode: 1
; LDSByteSize: 2048 bytes/workgroup (compile time only)
; SGPRBlocks: 2
; VGPRBlocks: 16
; NumSGPRsForWavesPerEU: 20
; NumVGPRsForWavesPerEU: 134
; Occupancy: 10
; WaveLimiterHint : 1
; COMPUTE_PGM_RSRC2:SCRATCH_EN: 0
; COMPUTE_PGM_RSRC2:USER_SGPR: 15
; COMPUTE_PGM_RSRC2:TRAP_HANDLER: 0
; COMPUTE_PGM_RSRC2:TGID_X_EN: 1
; COMPUTE_PGM_RSRC2:TGID_Y_EN: 0
; COMPUTE_PGM_RSRC2:TGID_Z_EN: 0
; COMPUTE_PGM_RSRC2:TIDIG_COMP_CNT: 2
	.section	.text._ZN9rocsparseL19gebsrmvn_4xn_kernelILj128ELj5ELj16E21rocsparse_complex_numIdEEEvi20rocsparse_direction_NS_24const_host_device_scalarIT2_EEPKiS8_PKS5_SA_S6_PS5_21rocsparse_index_base_b,"axG",@progbits,_ZN9rocsparseL19gebsrmvn_4xn_kernelILj128ELj5ELj16E21rocsparse_complex_numIdEEEvi20rocsparse_direction_NS_24const_host_device_scalarIT2_EEPKiS8_PKS5_SA_S6_PS5_21rocsparse_index_base_b,comdat
	.globl	_ZN9rocsparseL19gebsrmvn_4xn_kernelILj128ELj5ELj16E21rocsparse_complex_numIdEEEvi20rocsparse_direction_NS_24const_host_device_scalarIT2_EEPKiS8_PKS5_SA_S6_PS5_21rocsparse_index_base_b ; -- Begin function _ZN9rocsparseL19gebsrmvn_4xn_kernelILj128ELj5ELj16E21rocsparse_complex_numIdEEEvi20rocsparse_direction_NS_24const_host_device_scalarIT2_EEPKiS8_PKS5_SA_S6_PS5_21rocsparse_index_base_b
	.p2align	8
	.type	_ZN9rocsparseL19gebsrmvn_4xn_kernelILj128ELj5ELj16E21rocsparse_complex_numIdEEEvi20rocsparse_direction_NS_24const_host_device_scalarIT2_EEPKiS8_PKS5_SA_S6_PS5_21rocsparse_index_base_b,@function
_ZN9rocsparseL19gebsrmvn_4xn_kernelILj128ELj5ELj16E21rocsparse_complex_numIdEEEvi20rocsparse_direction_NS_24const_host_device_scalarIT2_EEPKiS8_PKS5_SA_S6_PS5_21rocsparse_index_base_b: ; @_ZN9rocsparseL19gebsrmvn_4xn_kernelILj128ELj5ELj16E21rocsparse_complex_numIdEEEvi20rocsparse_direction_NS_24const_host_device_scalarIT2_EEPKiS8_PKS5_SA_S6_PS5_21rocsparse_index_base_b
; %bb.0:
	s_load_b64 s[12:13], s[2:3], 0x50
	s_load_b64 s[16:17], s[0:1], 0x4
	s_load_b128 s[8:11], s[2:3], 0x8
	v_bfe_u32 v1, v0, 10, 10
	s_mov_b64 s[0:1], src_shared_base
	s_load_b128 s[4:7], s[2:3], 0x38
	v_and_b32_e32 v10, 0x3ff, v0
	v_bfe_u32 v0, v0, 20, 10
	s_waitcnt lgkmcnt(0)
	s_bitcmp1_b32 s13, 0
	v_mul_u32_u24_e32 v1, s17, v1
	s_cselect_b32 s0, -1, 0
	s_delay_alu instid0(SALU_CYCLE_1)
	s_and_b32 vcc_lo, s0, exec_lo
	s_cselect_b32 s13, s1, s9
	s_lshr_b32 s14, s16, 16
	v_dual_mov_b32 v2, s4 :: v_dual_mov_b32 v3, s5
	s_mul_i32 s14, s14, s17
	v_mov_b32_e32 v6, s13
	v_mad_u32_u24 v1, s14, v10, v1
	s_delay_alu instid0(VALU_DEP_1) | instskip(SKIP_1) | instid1(VALU_DEP_2)
	v_add_lshl_u32 v4, v1, v0, 3
	v_dual_mov_b32 v0, s8 :: v_dual_mov_b32 v1, s9
	v_add_nc_u32_e32 v5, 0x400, v4
	ds_store_2addr_stride64_b64 v4, v[2:3], v[0:1] offset1:2
	v_dual_mov_b32 v2, s10 :: v_dual_mov_b32 v3, s11
	v_cndmask_b32_e64 v5, s8, v5, s0
	s_xor_b32 s10, s0, -1
	flat_load_b64 v[0:1], v[5:6]
	s_cbranch_vccnz .LBB128_2
; %bb.1:
	v_dual_mov_b32 v2, s8 :: v_dual_mov_b32 v3, s9
	flat_load_b64 v[2:3], v[2:3] offset:8
.LBB128_2:
	s_and_b32 s8, s0, exec_lo
	s_cselect_b32 s1, s1, s5
	v_cndmask_b32_e64 v4, s4, v4, s0
	v_dual_mov_b32 v5, s1 :: v_dual_mov_b32 v6, s6
	v_mov_b32_e32 v7, s7
	s_and_not1_b32 vcc_lo, exec_lo, s10
	flat_load_b64 v[4:5], v[4:5]
	s_cbranch_vccnz .LBB128_4
; %bb.3:
	v_dual_mov_b32 v7, s5 :: v_dual_mov_b32 v6, s4
	flat_load_b64 v[6:7], v[6:7] offset:8
.LBB128_4:
	s_waitcnt vmcnt(1) lgkmcnt(1)
	v_cmp_eq_f64_e32 vcc_lo, 0, v[0:1]
	v_cmp_eq_f64_e64 s0, 0, v[2:3]
	s_delay_alu instid0(VALU_DEP_1)
	s_and_b32 s4, vcc_lo, s0
	s_mov_b32 s0, -1
	s_and_saveexec_b32 s1, s4
	s_cbranch_execz .LBB128_6
; %bb.5:
	s_waitcnt vmcnt(0) lgkmcnt(0)
	v_cmp_neq_f64_e32 vcc_lo, 1.0, v[4:5]
	v_cmp_neq_f64_e64 s0, 0, v[6:7]
	s_delay_alu instid0(VALU_DEP_1) | instskip(NEXT) | instid1(SALU_CYCLE_1)
	s_or_b32 s0, vcc_lo, s0
	s_or_not1_b32 s0, s0, exec_lo
.LBB128_6:
	s_or_b32 exec_lo, exec_lo, s1
	s_and_saveexec_b32 s1, s0
	s_cbranch_execz .LBB128_25
; %bb.7:
	s_load_b64 s[0:1], s[2:3], 0x0
	v_lshrrev_b32_e32 v8, 4, v10
	s_delay_alu instid0(VALU_DEP_1) | instskip(SKIP_1) | instid1(VALU_DEP_1)
	v_lshl_or_b32 v8, s15, 3, v8
	s_waitcnt lgkmcnt(0)
	v_cmp_gt_i32_e32 vcc_lo, s0, v8
	s_and_b32 exec_lo, exec_lo, vcc_lo
	s_cbranch_execz .LBB128_25
; %bb.8:
	s_load_b256 s[4:11], s[2:3], 0x18
	v_ashrrev_i32_e32 v9, 31, v8
	v_and_b32_e32 v41, 15, v10
	s_cmp_lg_u32 s1, 0
	s_delay_alu instid0(VALU_DEP_2) | instskip(SKIP_1) | instid1(VALU_DEP_1)
	v_lshlrev_b64 v[11:12], 2, v[8:9]
	s_waitcnt lgkmcnt(0)
	v_add_co_u32 v11, vcc_lo, s4, v11
	s_delay_alu instid0(VALU_DEP_2) | instskip(SKIP_4) | instid1(VALU_DEP_2)
	v_add_co_ci_u32_e32 v12, vcc_lo, s5, v12, vcc_lo
	global_load_b64 v[11:12], v[11:12], off
	s_waitcnt vmcnt(0)
	v_subrev_nc_u32_e32 v9, s12, v11
	v_subrev_nc_u32_e32 v32, s12, v12
	v_add_nc_u32_e32 v9, v9, v41
	s_delay_alu instid0(VALU_DEP_1)
	v_cmp_lt_i32_e64 s0, v9, v32
	s_cbranch_scc0 .LBB128_14
; %bb.9:
	v_mov_b32_e32 v13, 0
	v_mov_b32_e32 v14, 0
	s_delay_alu instid0(VALU_DEP_1)
	v_dual_mov_b32 v11, v13 :: v_dual_mov_b32 v12, v14
	v_dual_mov_b32 v22, v14 :: v_dual_mov_b32 v21, v13
	;; [unrolled: 1-line block ×7, first 2 shown]
	s_and_saveexec_b32 s1, s0
	s_cbranch_execz .LBB128_13
; %bb.10:
	v_dual_mov_b32 v13, 0 :: v_dual_mov_b32 v30, v9
	v_dual_mov_b32 v14, 0 :: v_dual_mov_b32 v29, 0
	v_mad_u64_u32 v[27:28], null, v9, 20, 16
	s_delay_alu instid0(VALU_DEP_2)
	v_dual_mov_b32 v11, v13 :: v_dual_mov_b32 v12, v14
	v_dual_mov_b32 v22, v14 :: v_dual_mov_b32 v21, v13
	;; [unrolled: 1-line block ×7, first 2 shown]
	s_mov_b32 s4, 0
.LBB128_11:                             ; =>This Inner Loop Header: Depth=1
	v_ashrrev_i32_e32 v31, 31, v30
	v_dual_mov_b32 v131, v29 :: v_dual_add_nc_u32 v28, -16, v27
	s_delay_alu instid0(VALU_DEP_2) | instskip(SKIP_1) | instid1(VALU_DEP_2)
	v_lshlrev_b64 v[33:34], 2, v[30:31]
	v_add_nc_u32_e32 v30, 16, v30
	v_add_co_u32 v33, vcc_lo, s6, v33
	s_delay_alu instid0(VALU_DEP_3) | instskip(SKIP_3) | instid1(VALU_DEP_1)
	v_add_co_ci_u32_e32 v34, vcc_lo, s7, v34, vcc_lo
	global_load_b32 v10, v[33:34], off
	v_lshlrev_b64 v[33:34], 4, v[28:29]
	v_add_nc_u32_e32 v28, -12, v27
	v_lshlrev_b64 v[54:55], 4, v[28:29]
	s_delay_alu instid0(VALU_DEP_3) | instskip(NEXT) | instid1(VALU_DEP_4)
	v_add_co_u32 v46, vcc_lo, s8, v33
	v_add_co_ci_u32_e32 v47, vcc_lo, s9, v34, vcc_lo
	s_clause 0x3
	global_load_b128 v[33:36], v[46:47], off offset:48
	global_load_b128 v[37:40], v[46:47], off offset:32
	;; [unrolled: 1-line block ×3, first 2 shown]
	global_load_b128 v[46:49], v[46:47], off
	s_waitcnt vmcnt(4)
	v_subrev_nc_u32_e32 v10, s12, v10
	s_delay_alu instid0(VALU_DEP_1) | instskip(NEXT) | instid1(VALU_DEP_1)
	v_lshl_add_u32 v130, v10, 2, v10
	v_lshlrev_b64 v[50:51], 4, v[130:131]
	v_add_nc_u32_e32 v28, 1, v130
	s_delay_alu instid0(VALU_DEP_1) | instskip(NEXT) | instid1(VALU_DEP_3)
	v_lshlrev_b64 v[70:71], 4, v[28:29]
	v_add_co_u32 v50, vcc_lo, s10, v50
	s_delay_alu instid0(VALU_DEP_4)
	v_add_co_ci_u32_e32 v51, vcc_lo, s11, v51, vcc_lo
	v_add_co_u32 v66, vcc_lo, s8, v54
	v_add_co_ci_u32_e32 v67, vcc_lo, s9, v55, vcc_lo
	global_load_b128 v[50:53], v[50:51], off
	v_add_co_u32 v70, vcc_lo, s10, v70
	v_add_co_ci_u32_e32 v71, vcc_lo, s11, v71, vcc_lo
	s_clause 0x3
	global_load_b128 v[54:57], v[66:67], off offset:48
	global_load_b128 v[58:61], v[66:67], off offset:32
	;; [unrolled: 1-line block ×3, first 2 shown]
	global_load_b128 v[66:69], v[66:67], off
	v_add_nc_u32_e32 v28, -8, v27
	global_load_b128 v[70:73], v[70:71], off
	v_lshlrev_b64 v[74:75], 4, v[28:29]
	v_add_nc_u32_e32 v28, 2, v130
	s_delay_alu instid0(VALU_DEP_1) | instskip(NEXT) | instid1(VALU_DEP_3)
	v_lshlrev_b64 v[76:77], 4, v[28:29]
	v_add_co_u32 v86, vcc_lo, s8, v74
	s_delay_alu instid0(VALU_DEP_4) | instskip(SKIP_1) | instid1(VALU_DEP_4)
	v_add_co_ci_u32_e32 v87, vcc_lo, s9, v75, vcc_lo
	v_add_nc_u32_e32 v28, -4, v27
	v_add_co_u32 v90, vcc_lo, s10, v76
	v_add_co_ci_u32_e32 v91, vcc_lo, s11, v77, vcc_lo
	s_clause 0x3
	global_load_b128 v[74:77], v[86:87], off offset:48
	global_load_b128 v[78:81], v[86:87], off offset:32
	;; [unrolled: 1-line block ×3, first 2 shown]
	global_load_b128 v[86:89], v[86:87], off
	global_load_b128 v[90:93], v[90:91], off
	v_lshlrev_b64 v[94:95], 4, v[28:29]
	v_add_nc_u32_e32 v28, 3, v130
	s_delay_alu instid0(VALU_DEP_1) | instskip(NEXT) | instid1(VALU_DEP_3)
	v_lshlrev_b64 v[96:97], 4, v[28:29]
	v_add_co_u32 v106, vcc_lo, s8, v94
	s_delay_alu instid0(VALU_DEP_4) | instskip(SKIP_1) | instid1(VALU_DEP_4)
	v_add_co_ci_u32_e32 v107, vcc_lo, s9, v95, vcc_lo
	v_mov_b32_e32 v28, v29
	v_add_co_u32 v110, vcc_lo, s10, v96
	v_add_co_ci_u32_e32 v111, vcc_lo, s11, v97, vcc_lo
	s_clause 0x3
	global_load_b128 v[94:97], v[106:107], off offset:48
	global_load_b128 v[98:101], v[106:107], off offset:32
	;; [unrolled: 1-line block ×3, first 2 shown]
	global_load_b128 v[106:109], v[106:107], off
	global_load_b128 v[110:113], v[110:111], off
	v_lshlrev_b64 v[114:115], 4, v[27:28]
	v_add_nc_u32_e32 v27, 0x140, v27
	v_add_nc_u32_e32 v28, 4, v130
	s_delay_alu instid0(VALU_DEP_3) | instskip(NEXT) | instid1(VALU_DEP_2)
	v_add_co_u32 v126, vcc_lo, s8, v114
	v_lshlrev_b64 v[130:131], 4, v[28:29]
	v_add_co_ci_u32_e32 v127, vcc_lo, s9, v115, vcc_lo
	s_clause 0x3
	global_load_b128 v[114:117], v[126:127], off offset:48
	global_load_b128 v[118:121], v[126:127], off offset:32
	;; [unrolled: 1-line block ×3, first 2 shown]
	global_load_b128 v[126:129], v[126:127], off
	v_add_co_u32 v130, vcc_lo, s10, v130
	v_add_co_ci_u32_e32 v131, vcc_lo, s11, v131, vcc_lo
	v_cmp_ge_i32_e32 vcc_lo, v30, v32
	global_load_b128 v[130:133], v[130:131], off
	s_or_b32 s4, vcc_lo, s4
	s_waitcnt vmcnt(20)
	v_fma_f64 v[21:22], v[46:47], v[50:51], v[21:22]
	v_fma_f64 v[13:14], v[48:49], v[50:51], v[13:14]
	v_fma_f64 v[23:24], v[42:43], v[50:51], v[23:24]
	v_fma_f64 v[25:26], v[44:45], v[50:51], v[25:26]
	v_fma_f64 v[17:18], v[37:38], v[50:51], v[17:18]
	v_fma_f64 v[19:20], v[39:40], v[50:51], v[19:20]
	v_fma_f64 v[10:11], v[33:34], v[50:51], v[11:12]
	v_fma_f64 v[15:16], v[35:36], v[50:51], v[15:16]
	v_fma_f64 v[21:22], -v[48:49], v[52:53], v[21:22]
	v_fma_f64 v[12:13], v[46:47], v[52:53], v[13:14]
	v_fma_f64 v[23:24], -v[44:45], v[52:53], v[23:24]
	v_fma_f64 v[25:26], v[42:43], v[52:53], v[25:26]
	v_fma_f64 v[17:18], -v[39:40], v[52:53], v[17:18]
	v_fma_f64 v[19:20], v[37:38], v[52:53], v[19:20]
	v_fma_f64 v[10:11], -v[35:36], v[52:53], v[10:11]
	v_fma_f64 v[14:15], v[33:34], v[52:53], v[15:16]
	s_waitcnt vmcnt(15)
	v_fma_f64 v[21:22], v[66:67], v[70:71], v[21:22]
	v_fma_f64 v[12:13], v[68:69], v[70:71], v[12:13]
	v_fma_f64 v[23:24], v[62:63], v[70:71], v[23:24]
	v_fma_f64 v[25:26], v[64:65], v[70:71], v[25:26]
	v_fma_f64 v[16:17], v[58:59], v[70:71], v[17:18]
	v_fma_f64 v[18:19], v[60:61], v[70:71], v[19:20]
	v_fma_f64 v[10:11], v[54:55], v[70:71], v[10:11]
	v_fma_f64 v[14:15], v[56:57], v[70:71], v[14:15]
	v_fma_f64 v[20:21], -v[68:69], v[72:73], v[21:22]
	v_fma_f64 v[12:13], v[66:67], v[72:73], v[12:13]
	v_fma_f64 v[22:23], -v[64:65], v[72:73], v[23:24]
	v_fma_f64 v[24:25], v[62:63], v[72:73], v[25:26]
	v_fma_f64 v[16:17], -v[60:61], v[72:73], v[16:17]
	v_fma_f64 v[18:19], v[58:59], v[72:73], v[18:19]
	v_fma_f64 v[10:11], -v[56:57], v[72:73], v[10:11]
	v_fma_f64 v[14:15], v[54:55], v[72:73], v[14:15]
	;; [unrolled: 17-line block ×5, first 2 shown]
	s_and_not1_b32 exec_lo, exec_lo, s4
	s_cbranch_execnz .LBB128_11
; %bb.12:
	s_or_b32 exec_lo, exec_lo, s4
.LBB128_13:
	s_delay_alu instid0(SALU_CYCLE_1)
	s_or_b32 exec_lo, exec_lo, s1
	s_cbranch_execz .LBB128_15
	s_branch .LBB128_20
.LBB128_14:
                                        ; implicit-def: $vgpr13_vgpr14
                                        ; implicit-def: $vgpr21_vgpr22
                                        ; implicit-def: $vgpr11_vgpr12
                                        ; implicit-def: $vgpr15_vgpr16
                                        ; implicit-def: $vgpr17_vgpr18
                                        ; implicit-def: $vgpr19_vgpr20
                                        ; implicit-def: $vgpr23_vgpr24
                                        ; implicit-def: $vgpr25_vgpr26
.LBB128_15:
	v_mov_b32_e32 v13, 0
	v_mov_b32_e32 v14, 0
	s_delay_alu instid0(VALU_DEP_1)
	v_dual_mov_b32 v11, v13 :: v_dual_mov_b32 v12, v14
	v_dual_mov_b32 v22, v14 :: v_dual_mov_b32 v21, v13
	;; [unrolled: 1-line block ×7, first 2 shown]
	s_and_saveexec_b32 s1, s0
	s_cbranch_execz .LBB128_19
; %bb.16:
	v_mov_b32_e32 v13, 0
	v_dual_mov_b32 v14, 0 :: v_dual_mov_b32 v29, 0
	v_mad_u64_u32 v[27:28], null, v9, 20, 19
	s_delay_alu instid0(VALU_DEP_2)
	v_dual_mov_b32 v11, v13 :: v_dual_mov_b32 v12, v14
	v_dual_mov_b32 v22, v14 :: v_dual_mov_b32 v21, v13
	;; [unrolled: 1-line block ×7, first 2 shown]
	s_mov_b32 s0, 0
.LBB128_17:                             ; =>This Inner Loop Header: Depth=1
	v_ashrrev_i32_e32 v10, 31, v9
	v_subrev_nc_u32_e32 v28, 19, v27
	v_dual_mov_b32 v34, v29 :: v_dual_add_nc_u32 v33, -9, v27
	v_dual_mov_b32 v36, v29 :: v_dual_add_nc_u32 v35, -4, v27
	s_delay_alu instid0(VALU_DEP_4) | instskip(NEXT) | instid1(VALU_DEP_4)
	v_lshlrev_b64 v[30:31], 2, v[9:10]
	v_lshlrev_b64 v[37:38], 4, v[28:29]
	s_delay_alu instid0(VALU_DEP_4)
	v_lshlrev_b64 v[33:34], 4, v[33:34]
	v_mov_b32_e32 v111, v29
	v_lshlrev_b64 v[35:36], 4, v[35:36]
	v_add_nc_u32_e32 v9, 16, v9
	v_add_co_u32 v30, vcc_lo, s6, v30
	v_add_co_ci_u32_e32 v31, vcc_lo, s7, v31, vcc_lo
	v_add_co_u32 v78, vcc_lo, s8, v37
	v_add_co_ci_u32_e32 v79, vcc_lo, s9, v38, vcc_lo
	global_load_b32 v10, v[30:31], off
	v_add_nc_u32_e32 v30, -14, v27
	s_waitcnt vmcnt(0)
	v_subrev_nc_u32_e32 v10, s12, v10
	s_delay_alu instid0(VALU_DEP_1) | instskip(NEXT) | instid1(VALU_DEP_1)
	v_lshl_add_u32 v110, v10, 2, v10
	v_dual_mov_b32 v31, v29 :: v_dual_add_nc_u32 v28, 1, v110
	s_delay_alu instid0(VALU_DEP_1) | instskip(NEXT) | instid1(VALU_DEP_1)
	v_lshlrev_b64 v[30:31], 4, v[30:31]
	v_add_co_u32 v30, vcc_lo, s8, v30
	s_delay_alu instid0(VALU_DEP_2)
	v_add_co_ci_u32_e32 v31, vcc_lo, s9, v31, vcc_lo
	v_add_co_u32 v46, vcc_lo, s8, v33
	v_add_co_ci_u32_e32 v47, vcc_lo, s9, v34, vcc_lo
	v_add_co_u32 v50, vcc_lo, s8, v35
	v_add_co_ci_u32_e32 v51, vcc_lo, s9, v36, vcc_lo
	s_clause 0x4
	global_load_b128 v[33:36], v[78:79], off offset:16
	global_load_b128 v[37:40], v[78:79], off
	global_load_b128 v[42:45], v[30:31], off
	;; [unrolled: 1-line block ×4, first 2 shown]
	v_lshlrev_b64 v[30:31], 4, v[110:111]
	s_delay_alu instid0(VALU_DEP_1) | instskip(NEXT) | instid1(VALU_DEP_2)
	v_add_co_u32 v30, vcc_lo, s10, v30
	v_add_co_ci_u32_e32 v31, vcc_lo, s11, v31, vcc_lo
	global_load_b128 v[54:57], v[30:31], off
	v_lshlrev_b64 v[30:31], 4, v[28:29]
	v_add_nc_u32_e32 v28, -13, v27
	s_delay_alu instid0(VALU_DEP_1) | instskip(SKIP_1) | instid1(VALU_DEP_4)
	v_lshlrev_b64 v[62:63], 4, v[28:29]
	v_add_nc_u32_e32 v28, -8, v27
	v_add_co_u32 v30, vcc_lo, s10, v30
	v_add_co_ci_u32_e32 v31, vcc_lo, s11, v31, vcc_lo
	s_delay_alu instid0(VALU_DEP_3)
	v_lshlrev_b64 v[64:65], 4, v[28:29]
	v_add_nc_u32_e32 v28, -3, v27
	global_load_b128 v[58:61], v[30:31], off
	v_add_co_u32 v30, vcc_lo, s8, v62
	v_add_co_ci_u32_e32 v31, vcc_lo, s9, v63, vcc_lo
	v_lshlrev_b64 v[62:63], 4, v[28:29]
	v_add_co_u32 v66, vcc_lo, s8, v64
	v_add_co_ci_u32_e32 v67, vcc_lo, s9, v65, vcc_lo
	v_mov_b32_e32 v28, v29
	s_delay_alu instid0(VALU_DEP_4)
	v_add_co_u32 v70, vcc_lo, s8, v62
	v_add_co_ci_u32_e32 v71, vcc_lo, s9, v63, vcc_lo
	s_clause 0x2
	global_load_b128 v[62:65], v[30:31], off
	global_load_b128 v[66:69], v[66:67], off
	;; [unrolled: 1-line block ×3, first 2 shown]
	v_lshlrev_b64 v[30:31], 4, v[27:28]
	v_add_nc_u32_e32 v28, 2, v110
	s_clause 0x1
	global_load_b128 v[74:77], v[78:79], off offset:48
	global_load_b128 v[78:81], v[78:79], off offset:32
	v_lshlrev_b64 v[82:83], 4, v[28:29]
	v_add_nc_u32_e32 v28, -12, v27
	v_add_co_u32 v30, vcc_lo, s8, v30
	v_add_co_ci_u32_e32 v31, vcc_lo, s9, v31, vcc_lo
	s_delay_alu instid0(VALU_DEP_3) | instskip(SKIP_3) | instid1(VALU_DEP_3)
	v_lshlrev_b64 v[86:87], 4, v[28:29]
	v_add_nc_u32_e32 v28, -7, v27
	v_add_co_u32 v82, vcc_lo, s10, v82
	v_add_co_ci_u32_e32 v83, vcc_lo, s11, v83, vcc_lo
	v_lshlrev_b64 v[88:89], 4, v[28:29]
	v_add_nc_u32_e32 v28, -2, v27
	v_add_co_u32 v86, vcc_lo, s8, v86
	v_add_co_ci_u32_e32 v87, vcc_lo, s9, v87, vcc_lo
	s_delay_alu instid0(VALU_DEP_3)
	v_lshlrev_b64 v[90:91], 4, v[28:29]
	v_add_co_u32 v92, vcc_lo, s8, v88
	v_add_co_ci_u32_e32 v93, vcc_lo, s9, v89, vcc_lo
	global_load_b128 v[82:85], v[82:83], off
	v_add_co_u32 v94, vcc_lo, s8, v90
	v_add_co_ci_u32_e32 v95, vcc_lo, s9, v91, vcc_lo
	s_clause 0x3
	global_load_b128 v[86:89], v[86:87], off
	global_load_b128 v[90:93], v[92:93], off
	;; [unrolled: 1-line block ×4, first 2 shown]
	v_add_nc_u32_e32 v28, 3, v110
	s_delay_alu instid0(VALU_DEP_1) | instskip(SKIP_1) | instid1(VALU_DEP_1)
	v_lshlrev_b64 v[30:31], 4, v[28:29]
	v_add_nc_u32_e32 v28, -11, v27
	v_lshlrev_b64 v[106:107], 4, v[28:29]
	v_add_nc_u32_e32 v28, -6, v27
	s_delay_alu instid0(VALU_DEP_4) | instskip(SKIP_1) | instid1(VALU_DEP_3)
	v_add_co_u32 v30, vcc_lo, s10, v30
	v_add_co_ci_u32_e32 v31, vcc_lo, s11, v31, vcc_lo
	v_lshlrev_b64 v[108:109], 4, v[28:29]
	v_add_nc_u32_e32 v28, -1, v27
	global_load_b128 v[102:105], v[30:31], off
	v_add_co_u32 v30, vcc_lo, s8, v106
	v_lshlrev_b64 v[114:115], 4, v[28:29]
	v_add_co_ci_u32_e32 v31, vcc_lo, s9, v107, vcc_lo
	v_add_co_u32 v111, vcc_lo, s8, v108
	v_add_co_ci_u32_e32 v112, vcc_lo, s9, v109, vcc_lo
	s_delay_alu instid0(VALU_DEP_4)
	v_add_co_u32 v114, vcc_lo, s8, v114
	v_add_nc_u32_e32 v28, -15, v27
	v_add_co_ci_u32_e32 v115, vcc_lo, s9, v115, vcc_lo
	s_clause 0x1
	global_load_b128 v[106:109], v[30:31], off
	global_load_b128 v[114:117], v[114:115], off
	v_lshlrev_b64 v[30:31], 4, v[28:29]
	v_add_nc_u32_e32 v28, 4, v110
	global_load_b128 v[110:113], v[111:112], off
	v_lshlrev_b64 v[118:119], 4, v[28:29]
	v_add_nc_u32_e32 v28, -10, v27
	v_add_co_u32 v30, vcc_lo, s8, v30
	v_add_co_ci_u32_e32 v31, vcc_lo, s9, v31, vcc_lo
	s_delay_alu instid0(VALU_DEP_3)
	v_lshlrev_b64 v[122:123], 4, v[28:29]
	v_add_nc_u32_e32 v28, -5, v27
	v_add_co_u32 v124, vcc_lo, s10, v118
	v_add_co_ci_u32_e32 v125, vcc_lo, s11, v119, vcc_lo
	global_load_b128 v[118:121], v[30:31], off
	v_lshlrev_b64 v[30:31], 4, v[28:29]
	v_add_co_u32 v122, vcc_lo, s8, v122
	v_add_co_ci_u32_e32 v123, vcc_lo, s9, v123, vcc_lo
	v_add_nc_u32_e32 v27, 0x140, v27
	s_delay_alu instid0(VALU_DEP_4)
	v_add_co_u32 v30, vcc_lo, s8, v30
	v_add_co_ci_u32_e32 v31, vcc_lo, s9, v31, vcc_lo
	v_cmp_ge_i32_e32 vcc_lo, v9, v32
	s_or_b32 s0, vcc_lo, s0
	s_waitcnt vmcnt(16)
	v_fma_f64 v[21:22], v[37:38], v[54:55], v[21:22]
	v_fma_f64 v[13:14], v[39:40], v[54:55], v[13:14]
	;; [unrolled: 1-line block ×8, first 2 shown]
	v_fma_f64 v[21:22], -v[39:40], v[56:57], v[21:22]
	v_fma_f64 v[13:14], v[37:38], v[56:57], v[13:14]
	global_load_b128 v[37:40], v[124:125], off
	v_fma_f64 v[23:24], -v[44:45], v[56:57], v[23:24]
	v_fma_f64 v[25:26], v[42:43], v[56:57], v[25:26]
	s_clause 0x1
	global_load_b128 v[42:45], v[122:123], off
	global_load_b128 v[122:125], v[30:31], off
	v_fma_f64 v[17:18], -v[48:49], v[56:57], v[17:18]
	v_fma_f64 v[19:20], v[46:47], v[56:57], v[19:20]
	v_fma_f64 v[10:11], -v[52:53], v[56:57], v[10:11]
	v_fma_f64 v[15:16], v[50:51], v[56:57], v[15:16]
	s_waitcnt vmcnt(18)
	v_fma_f64 v[21:22], v[33:34], v[58:59], v[21:22]
	v_fma_f64 v[12:13], v[35:36], v[58:59], v[13:14]
	s_waitcnt vmcnt(17)
	v_fma_f64 v[23:24], v[62:63], v[58:59], v[23:24]
	;; [unrolled: 3-line block ×4, first 2 shown]
	v_fma_f64 v[14:15], v[72:73], v[58:59], v[15:16]
	v_fma_f64 v[21:22], -v[35:36], v[60:61], v[21:22]
	v_fma_f64 v[12:13], v[33:34], v[60:61], v[12:13]
	v_fma_f64 v[23:24], -v[64:65], v[60:61], v[23:24]
	;; [unrolled: 2-line block ×4, first 2 shown]
	v_fma_f64 v[14:15], v[70:71], v[60:61], v[14:15]
	s_waitcnt vmcnt(12)
	v_fma_f64 v[20:21], v[78:79], v[82:83], v[21:22]
	v_fma_f64 v[12:13], v[80:81], v[82:83], v[12:13]
	s_waitcnt vmcnt(11)
	v_fma_f64 v[22:23], v[86:87], v[82:83], v[23:24]
	;; [unrolled: 3-line block ×4, first 2 shown]
	v_fma_f64 v[14:15], v[96:97], v[82:83], v[14:15]
	v_fma_f64 v[20:21], -v[80:81], v[84:85], v[20:21]
	v_fma_f64 v[12:13], v[78:79], v[84:85], v[12:13]
	v_fma_f64 v[22:23], -v[88:89], v[84:85], v[22:23]
	v_fma_f64 v[24:25], v[86:87], v[84:85], v[24:25]
	v_fma_f64 v[16:17], -v[92:93], v[84:85], v[16:17]
	v_fma_f64 v[18:19], v[90:91], v[84:85], v[18:19]
	v_fma_f64 v[10:11], -v[96:97], v[84:85], v[10:11]
	v_fma_f64 v[14:15], v[94:95], v[84:85], v[14:15]
	s_waitcnt vmcnt(7)
	v_fma_f64 v[20:21], v[74:75], v[102:103], v[20:21]
	v_fma_f64 v[12:13], v[76:77], v[102:103], v[12:13]
	s_waitcnt vmcnt(6)
	v_fma_f64 v[22:23], v[106:107], v[102:103], v[22:23]
	;; [unrolled: 3-line block ×3, first 2 shown]
	v_fma_f64 v[18:19], v[112:113], v[102:103], v[18:19]
	v_fma_f64 v[10:11], v[114:115], v[102:103], v[10:11]
	;; [unrolled: 1-line block ×3, first 2 shown]
	v_fma_f64 v[20:21], -v[76:77], v[104:105], v[20:21]
	v_fma_f64 v[12:13], v[74:75], v[104:105], v[12:13]
	v_fma_f64 v[22:23], -v[108:109], v[104:105], v[22:23]
	v_fma_f64 v[24:25], v[106:107], v[104:105], v[24:25]
	;; [unrolled: 2-line block ×4, first 2 shown]
	s_waitcnt vmcnt(2)
	v_fma_f64 v[20:21], v[118:119], v[37:38], v[20:21]
	v_fma_f64 v[12:13], v[120:121], v[37:38], v[12:13]
	s_waitcnt vmcnt(1)
	v_fma_f64 v[30:31], v[42:43], v[37:38], v[22:23]
	v_fma_f64 v[25:26], v[44:45], v[37:38], v[24:25]
	;; [unrolled: 3-line block ×3, first 2 shown]
	v_fma_f64 v[10:11], v[98:99], v[37:38], v[10:11]
	v_fma_f64 v[35:36], v[100:101], v[37:38], v[14:15]
	v_fma_f64 v[21:22], -v[120:121], v[39:40], v[20:21]
	v_fma_f64 v[13:14], v[118:119], v[39:40], v[12:13]
	v_fma_f64 v[23:24], -v[44:45], v[39:40], v[30:31]
	;; [unrolled: 2-line block ×4, first 2 shown]
	v_fma_f64 v[15:16], v[98:99], v[39:40], v[35:36]
	s_and_not1_b32 exec_lo, exec_lo, s0
	s_cbranch_execnz .LBB128_17
; %bb.18:
	s_or_b32 exec_lo, exec_lo, s0
.LBB128_19:
	s_delay_alu instid0(SALU_CYCLE_1)
	s_or_b32 exec_lo, exec_lo, s1
.LBB128_20:
	v_mbcnt_lo_u32_b32 v44, -1, 0
	s_delay_alu instid0(VALU_DEP_1) | instskip(NEXT) | instid1(VALU_DEP_1)
	v_xor_b32_e32 v9, 8, v44
	v_cmp_gt_i32_e32 vcc_lo, 32, v9
	v_cndmask_b32_e32 v9, v44, v9, vcc_lo
	s_delay_alu instid0(VALU_DEP_1)
	v_lshlrev_b32_e32 v40, 2, v9
	ds_bpermute_b32 v9, v40, v21
	ds_bpermute_b32 v10, v40, v22
	;; [unrolled: 1-line block ×16, first 2 shown]
	s_waitcnt lgkmcnt(14)
	v_add_f64 v[9:10], v[21:22], v[9:10]
	s_waitcnt lgkmcnt(12)
	v_add_f64 v[13:14], v[13:14], v[27:28]
	;; [unrolled: 2-line block ×4, first 2 shown]
	v_xor_b32_e32 v25, 4, v44
	s_waitcnt lgkmcnt(6)
	v_add_f64 v[17:18], v[17:18], v[33:34]
	s_waitcnt lgkmcnt(4)
	v_add_f64 v[19:20], v[19:20], v[35:36]
	;; [unrolled: 2-line block ×3, first 2 shown]
	v_cmp_gt_i32_e32 vcc_lo, 32, v25
	s_waitcnt lgkmcnt(0)
	v_add_f64 v[15:16], v[15:16], v[39:40]
	v_cndmask_b32_e32 v25, v44, v25, vcc_lo
	s_delay_alu instid0(VALU_DEP_1)
	v_lshlrev_b32_e32 v40, 2, v25
	ds_bpermute_b32 v25, v40, v9
	ds_bpermute_b32 v26, v40, v10
	;; [unrolled: 1-line block ×16, first 2 shown]
	s_waitcnt lgkmcnt(14)
	v_add_f64 v[9:10], v[9:10], v[25:26]
	s_waitcnt lgkmcnt(12)
	v_add_f64 v[13:14], v[13:14], v[27:28]
	;; [unrolled: 2-line block ×7, first 2 shown]
	v_xor_b32_e32 v11, 2, v44
	s_waitcnt lgkmcnt(0)
	v_add_f64 v[29:30], v[15:16], v[39:40]
	s_delay_alu instid0(VALU_DEP_2) | instskip(SKIP_1) | instid1(VALU_DEP_1)
	v_cmp_gt_i32_e32 vcc_lo, 32, v11
	v_cndmask_b32_e32 v11, v44, v11, vcc_lo
	v_lshlrev_b32_e32 v23, 2, v11
	ds_bpermute_b32 v11, v23, v9
	ds_bpermute_b32 v12, v23, v10
	;; [unrolled: 1-line block ×16, first 2 shown]
	s_waitcnt lgkmcnt(14)
	v_add_f64 v[9:10], v[9:10], v[11:12]
	s_waitcnt lgkmcnt(12)
	v_add_f64 v[23:24], v[13:14], v[15:16]
	;; [unrolled: 2-line block ×4, first 2 shown]
	v_xor_b32_e32 v25, 1, v44
	s_waitcnt lgkmcnt(6)
	v_add_f64 v[13:14], v[17:18], v[35:36]
	s_waitcnt lgkmcnt(4)
	v_add_f64 v[19:20], v[19:20], v[37:38]
	;; [unrolled: 2-line block ×3, first 2 shown]
	v_cmp_gt_i32_e32 vcc_lo, 32, v25
	s_waitcnt lgkmcnt(0)
	v_add_f64 v[17:18], v[29:30], v[42:43]
	v_cndmask_b32_e32 v25, v44, v25, vcc_lo
	v_cmp_eq_u32_e32 vcc_lo, 15, v41
	s_delay_alu instid0(VALU_DEP_2)
	v_lshlrev_b32_e32 v28, 2, v25
	ds_bpermute_b32 v39, v28, v9
	ds_bpermute_b32 v40, v28, v10
	;; [unrolled: 1-line block ×16, first 2 shown]
	s_and_b32 exec_lo, exec_lo, vcc_lo
	s_cbranch_execz .LBB128_25
; %bb.21:
	v_cmp_eq_f64_e32 vcc_lo, 0, v[4:5]
	v_cmp_eq_f64_e64 s0, 0, v[6:7]
	s_waitcnt lgkmcnt(14)
	v_add_f64 v[9:10], v[9:10], v[39:40]
	s_waitcnt lgkmcnt(12)
	v_add_f64 v[23:24], v[23:24], v[37:38]
	;; [unrolled: 2-line block ×8, first 2 shown]
	s_load_b64 s[2:3], s[2:3], 0x48
	s_and_b32 s0, vcc_lo, s0
	s_delay_alu instid0(SALU_CYCLE_1) | instskip(NEXT) | instid1(SALU_CYCLE_1)
	s_and_saveexec_b32 s1, s0
	s_xor_b32 s0, exec_lo, s1
	s_cbranch_execz .LBB128_23
; %bb.22:
	v_mul_f64 v[4:5], v[23:24], -v[2:3]
	v_mul_f64 v[6:7], v[0:1], v[23:24]
	v_mul_f64 v[23:24], v[21:22], -v[2:3]
	v_mul_f64 v[21:22], v[0:1], v[21:22]
	;; [unrolled: 2-line block ×4, first 2 shown]
	v_fma_f64 v[4:5], v[0:1], v[9:10], v[4:5]
	v_fma_f64 v[6:7], v[2:3], v[9:10], v[6:7]
	;; [unrolled: 1-line block ×8, first 2 shown]
	v_lshlrev_b32_e32 v13, 2, v8
                                        ; implicit-def: $vgpr8
                                        ; implicit-def: $vgpr23_vgpr24
                                        ; implicit-def: $vgpr21_vgpr22
                                        ; implicit-def: $vgpr15_vgpr16
	s_delay_alu instid0(VALU_DEP_1) | instskip(NEXT) | instid1(VALU_DEP_1)
	v_ashrrev_i32_e32 v14, 31, v13
	v_lshlrev_b64 v[13:14], 4, v[13:14]
	s_waitcnt lgkmcnt(0)
	s_delay_alu instid0(VALU_DEP_1) | instskip(NEXT) | instid1(VALU_DEP_2)
	v_add_co_u32 v13, vcc_lo, s2, v13
	v_add_co_ci_u32_e32 v14, vcc_lo, s3, v14, vcc_lo
	s_clause 0x3
	global_store_b128 v[13:14], v[4:7], off
	global_store_b128 v[13:14], v[9:12], off offset:16
	global_store_b128 v[13:14], v[17:20], off offset:32
	;; [unrolled: 1-line block ×3, first 2 shown]
                                        ; implicit-def: $vgpr0_vgpr1
                                        ; implicit-def: $vgpr2_vgpr3
                                        ; implicit-def: $vgpr4_vgpr5
                                        ; implicit-def: $vgpr6_vgpr7
                                        ; implicit-def: $vgpr9_vgpr10
                                        ; implicit-def: $vgpr11_vgpr12
                                        ; implicit-def: $vgpr13_vgpr14
                                        ; implicit-def: $vgpr19_vgpr20
                                        ; implicit-def: $vgpr17_vgpr18
.LBB128_23:
	s_and_not1_saveexec_b32 s0, s0
	s_cbranch_execz .LBB128_25
; %bb.24:
	v_lshlrev_b32_e32 v25, 2, v8
	v_mul_f64 v[43:44], v[23:24], -v[2:3]
	v_mul_f64 v[23:24], v[0:1], v[23:24]
	v_mul_f64 v[45:46], v[21:22], -v[2:3]
	v_mul_f64 v[21:22], v[0:1], v[21:22]
	v_ashrrev_i32_e32 v26, 31, v25
	v_mul_f64 v[47:48], v[19:20], -v[2:3]
	v_mul_f64 v[19:20], v[0:1], v[19:20]
	v_mul_f64 v[49:50], v[17:18], -v[2:3]
	v_mul_f64 v[17:18], v[0:1], v[17:18]
	v_lshlrev_b64 v[25:26], 4, v[25:26]
	s_waitcnt lgkmcnt(0)
	s_delay_alu instid0(VALU_DEP_1) | instskip(NEXT) | instid1(VALU_DEP_2)
	v_add_co_u32 v41, vcc_lo, s2, v25
	v_add_co_ci_u32_e32 v42, vcc_lo, s3, v26, vcc_lo
	s_clause 0x3
	global_load_b128 v[25:28], v[41:42], off
	global_load_b128 v[29:32], v[41:42], off offset:16
	global_load_b128 v[33:36], v[41:42], off offset:32
	;; [unrolled: 1-line block ×3, first 2 shown]
	v_fma_f64 v[43:44], v[0:1], v[9:10], v[43:44]
	v_fma_f64 v[8:9], v[2:3], v[9:10], v[23:24]
	v_fma_f64 v[23:24], v[0:1], v[11:12], v[45:46]
	v_fma_f64 v[10:11], v[2:3], v[11:12], v[21:22]
	v_fma_f64 v[21:22], v[0:1], v[13:14], v[47:48]
	v_fma_f64 v[12:13], v[2:3], v[13:14], v[19:20]
	v_fma_f64 v[0:1], v[0:1], v[15:16], v[49:50]
	v_fma_f64 v[2:3], v[2:3], v[15:16], v[17:18]
	s_waitcnt vmcnt(3)
	v_fma_f64 v[14:15], v[4:5], v[25:26], v[43:44]
	v_fma_f64 v[8:9], v[6:7], v[25:26], v[8:9]
	s_waitcnt vmcnt(2)
	v_fma_f64 v[16:17], v[4:5], v[29:30], v[23:24]
	v_fma_f64 v[10:11], v[6:7], v[29:30], v[10:11]
	;; [unrolled: 3-line block ×4, first 2 shown]
	v_fma_f64 v[0:1], -v[6:7], v[27:28], v[14:15]
	v_fma_f64 v[2:3], v[4:5], v[27:28], v[8:9]
	v_fma_f64 v[8:9], -v[6:7], v[31:32], v[16:17]
	v_fma_f64 v[10:11], v[4:5], v[31:32], v[10:11]
	;; [unrolled: 2-line block ×4, first 2 shown]
	s_clause 0x3
	global_store_b128 v[41:42], v[0:3], off
	global_store_b128 v[41:42], v[8:11], off offset:16
	global_store_b128 v[41:42], v[12:15], off offset:32
	;; [unrolled: 1-line block ×3, first 2 shown]
.LBB128_25:
	s_nop 0
	s_sendmsg sendmsg(MSG_DEALLOC_VGPRS)
	s_endpgm
	.section	.rodata,"a",@progbits
	.p2align	6, 0x0
	.amdhsa_kernel _ZN9rocsparseL19gebsrmvn_4xn_kernelILj128ELj5ELj16E21rocsparse_complex_numIdEEEvi20rocsparse_direction_NS_24const_host_device_scalarIT2_EEPKiS8_PKS5_SA_S6_PS5_21rocsparse_index_base_b
		.amdhsa_group_segment_fixed_size 2048
		.amdhsa_private_segment_fixed_size 0
		.amdhsa_kernarg_size 88
		.amdhsa_user_sgpr_count 15
		.amdhsa_user_sgpr_dispatch_ptr 1
		.amdhsa_user_sgpr_queue_ptr 0
		.amdhsa_user_sgpr_kernarg_segment_ptr 1
		.amdhsa_user_sgpr_dispatch_id 0
		.amdhsa_user_sgpr_private_segment_size 0
		.amdhsa_wavefront_size32 1
		.amdhsa_uses_dynamic_stack 0
		.amdhsa_enable_private_segment 0
		.amdhsa_system_sgpr_workgroup_id_x 1
		.amdhsa_system_sgpr_workgroup_id_y 0
		.amdhsa_system_sgpr_workgroup_id_z 0
		.amdhsa_system_sgpr_workgroup_info 0
		.amdhsa_system_vgpr_workitem_id 2
		.amdhsa_next_free_vgpr 134
		.amdhsa_next_free_sgpr 18
		.amdhsa_reserve_vcc 1
		.amdhsa_float_round_mode_32 0
		.amdhsa_float_round_mode_16_64 0
		.amdhsa_float_denorm_mode_32 3
		.amdhsa_float_denorm_mode_16_64 3
		.amdhsa_dx10_clamp 1
		.amdhsa_ieee_mode 1
		.amdhsa_fp16_overflow 0
		.amdhsa_workgroup_processor_mode 1
		.amdhsa_memory_ordered 1
		.amdhsa_forward_progress 0
		.amdhsa_shared_vgpr_count 0
		.amdhsa_exception_fp_ieee_invalid_op 0
		.amdhsa_exception_fp_denorm_src 0
		.amdhsa_exception_fp_ieee_div_zero 0
		.amdhsa_exception_fp_ieee_overflow 0
		.amdhsa_exception_fp_ieee_underflow 0
		.amdhsa_exception_fp_ieee_inexact 0
		.amdhsa_exception_int_div_zero 0
	.end_amdhsa_kernel
	.section	.text._ZN9rocsparseL19gebsrmvn_4xn_kernelILj128ELj5ELj16E21rocsparse_complex_numIdEEEvi20rocsparse_direction_NS_24const_host_device_scalarIT2_EEPKiS8_PKS5_SA_S6_PS5_21rocsparse_index_base_b,"axG",@progbits,_ZN9rocsparseL19gebsrmvn_4xn_kernelILj128ELj5ELj16E21rocsparse_complex_numIdEEEvi20rocsparse_direction_NS_24const_host_device_scalarIT2_EEPKiS8_PKS5_SA_S6_PS5_21rocsparse_index_base_b,comdat
.Lfunc_end128:
	.size	_ZN9rocsparseL19gebsrmvn_4xn_kernelILj128ELj5ELj16E21rocsparse_complex_numIdEEEvi20rocsparse_direction_NS_24const_host_device_scalarIT2_EEPKiS8_PKS5_SA_S6_PS5_21rocsparse_index_base_b, .Lfunc_end128-_ZN9rocsparseL19gebsrmvn_4xn_kernelILj128ELj5ELj16E21rocsparse_complex_numIdEEEvi20rocsparse_direction_NS_24const_host_device_scalarIT2_EEPKiS8_PKS5_SA_S6_PS5_21rocsparse_index_base_b
                                        ; -- End function
	.section	.AMDGPU.csdata,"",@progbits
; Kernel info:
; codeLenInByte = 5312
; NumSgprs: 20
; NumVgprs: 134
; ScratchSize: 0
; MemoryBound: 0
; FloatMode: 240
; IeeeMode: 1
; LDSByteSize: 2048 bytes/workgroup (compile time only)
; SGPRBlocks: 2
; VGPRBlocks: 16
; NumSGPRsForWavesPerEU: 20
; NumVGPRsForWavesPerEU: 134
; Occupancy: 10
; WaveLimiterHint : 1
; COMPUTE_PGM_RSRC2:SCRATCH_EN: 0
; COMPUTE_PGM_RSRC2:USER_SGPR: 15
; COMPUTE_PGM_RSRC2:TRAP_HANDLER: 0
; COMPUTE_PGM_RSRC2:TGID_X_EN: 1
; COMPUTE_PGM_RSRC2:TGID_Y_EN: 0
; COMPUTE_PGM_RSRC2:TGID_Z_EN: 0
; COMPUTE_PGM_RSRC2:TIDIG_COMP_CNT: 2
	.section	.text._ZN9rocsparseL19gebsrmvn_4xn_kernelILj128ELj5ELj32E21rocsparse_complex_numIdEEEvi20rocsparse_direction_NS_24const_host_device_scalarIT2_EEPKiS8_PKS5_SA_S6_PS5_21rocsparse_index_base_b,"axG",@progbits,_ZN9rocsparseL19gebsrmvn_4xn_kernelILj128ELj5ELj32E21rocsparse_complex_numIdEEEvi20rocsparse_direction_NS_24const_host_device_scalarIT2_EEPKiS8_PKS5_SA_S6_PS5_21rocsparse_index_base_b,comdat
	.globl	_ZN9rocsparseL19gebsrmvn_4xn_kernelILj128ELj5ELj32E21rocsparse_complex_numIdEEEvi20rocsparse_direction_NS_24const_host_device_scalarIT2_EEPKiS8_PKS5_SA_S6_PS5_21rocsparse_index_base_b ; -- Begin function _ZN9rocsparseL19gebsrmvn_4xn_kernelILj128ELj5ELj32E21rocsparse_complex_numIdEEEvi20rocsparse_direction_NS_24const_host_device_scalarIT2_EEPKiS8_PKS5_SA_S6_PS5_21rocsparse_index_base_b
	.p2align	8
	.type	_ZN9rocsparseL19gebsrmvn_4xn_kernelILj128ELj5ELj32E21rocsparse_complex_numIdEEEvi20rocsparse_direction_NS_24const_host_device_scalarIT2_EEPKiS8_PKS5_SA_S6_PS5_21rocsparse_index_base_b,@function
_ZN9rocsparseL19gebsrmvn_4xn_kernelILj128ELj5ELj32E21rocsparse_complex_numIdEEEvi20rocsparse_direction_NS_24const_host_device_scalarIT2_EEPKiS8_PKS5_SA_S6_PS5_21rocsparse_index_base_b: ; @_ZN9rocsparseL19gebsrmvn_4xn_kernelILj128ELj5ELj32E21rocsparse_complex_numIdEEEvi20rocsparse_direction_NS_24const_host_device_scalarIT2_EEPKiS8_PKS5_SA_S6_PS5_21rocsparse_index_base_b
; %bb.0:
	s_load_b64 s[12:13], s[2:3], 0x50
	s_load_b64 s[16:17], s[0:1], 0x4
	s_load_b128 s[8:11], s[2:3], 0x8
	v_bfe_u32 v1, v0, 10, 10
	s_mov_b64 s[0:1], src_shared_base
	s_load_b128 s[4:7], s[2:3], 0x38
	v_and_b32_e32 v10, 0x3ff, v0
	v_bfe_u32 v0, v0, 20, 10
	s_waitcnt lgkmcnt(0)
	s_bitcmp1_b32 s13, 0
	v_mul_u32_u24_e32 v1, s17, v1
	s_cselect_b32 s0, -1, 0
	s_delay_alu instid0(SALU_CYCLE_1)
	s_and_b32 vcc_lo, s0, exec_lo
	s_cselect_b32 s13, s1, s9
	s_lshr_b32 s14, s16, 16
	v_dual_mov_b32 v2, s4 :: v_dual_mov_b32 v3, s5
	s_mul_i32 s14, s14, s17
	v_mov_b32_e32 v6, s13
	v_mad_u32_u24 v1, s14, v10, v1
	s_delay_alu instid0(VALU_DEP_1) | instskip(SKIP_1) | instid1(VALU_DEP_2)
	v_add_lshl_u32 v4, v1, v0, 3
	v_dual_mov_b32 v0, s8 :: v_dual_mov_b32 v1, s9
	v_add_nc_u32_e32 v5, 0x400, v4
	ds_store_2addr_stride64_b64 v4, v[2:3], v[0:1] offset1:2
	v_dual_mov_b32 v2, s10 :: v_dual_mov_b32 v3, s11
	v_cndmask_b32_e64 v5, s8, v5, s0
	s_xor_b32 s10, s0, -1
	flat_load_b64 v[0:1], v[5:6]
	s_cbranch_vccnz .LBB129_2
; %bb.1:
	v_dual_mov_b32 v2, s8 :: v_dual_mov_b32 v3, s9
	flat_load_b64 v[2:3], v[2:3] offset:8
.LBB129_2:
	s_and_b32 s8, s0, exec_lo
	s_cselect_b32 s1, s1, s5
	v_cndmask_b32_e64 v4, s4, v4, s0
	v_dual_mov_b32 v5, s1 :: v_dual_mov_b32 v6, s6
	v_mov_b32_e32 v7, s7
	s_and_not1_b32 vcc_lo, exec_lo, s10
	flat_load_b64 v[4:5], v[4:5]
	s_cbranch_vccnz .LBB129_4
; %bb.3:
	v_dual_mov_b32 v7, s5 :: v_dual_mov_b32 v6, s4
	flat_load_b64 v[6:7], v[6:7] offset:8
.LBB129_4:
	s_waitcnt vmcnt(1) lgkmcnt(1)
	v_cmp_eq_f64_e32 vcc_lo, 0, v[0:1]
	v_cmp_eq_f64_e64 s0, 0, v[2:3]
	s_delay_alu instid0(VALU_DEP_1)
	s_and_b32 s4, vcc_lo, s0
	s_mov_b32 s0, -1
	s_and_saveexec_b32 s1, s4
	s_cbranch_execz .LBB129_6
; %bb.5:
	s_waitcnt vmcnt(0) lgkmcnt(0)
	v_cmp_neq_f64_e32 vcc_lo, 1.0, v[4:5]
	v_cmp_neq_f64_e64 s0, 0, v[6:7]
	s_delay_alu instid0(VALU_DEP_1) | instskip(NEXT) | instid1(SALU_CYCLE_1)
	s_or_b32 s0, vcc_lo, s0
	s_or_not1_b32 s0, s0, exec_lo
.LBB129_6:
	s_or_b32 exec_lo, exec_lo, s1
	s_and_saveexec_b32 s1, s0
	s_cbranch_execz .LBB129_25
; %bb.7:
	s_load_b64 s[0:1], s[2:3], 0x0
	v_lshrrev_b32_e32 v8, 5, v10
	s_delay_alu instid0(VALU_DEP_1) | instskip(SKIP_1) | instid1(VALU_DEP_1)
	v_lshl_or_b32 v8, s15, 2, v8
	s_waitcnt lgkmcnt(0)
	v_cmp_gt_i32_e32 vcc_lo, s0, v8
	s_and_b32 exec_lo, exec_lo, vcc_lo
	s_cbranch_execz .LBB129_25
; %bb.8:
	s_load_b256 s[4:11], s[2:3], 0x18
	v_ashrrev_i32_e32 v9, 31, v8
	v_and_b32_e32 v41, 31, v10
	s_cmp_lg_u32 s1, 0
	s_delay_alu instid0(VALU_DEP_2) | instskip(SKIP_1) | instid1(VALU_DEP_1)
	v_lshlrev_b64 v[11:12], 2, v[8:9]
	s_waitcnt lgkmcnt(0)
	v_add_co_u32 v11, vcc_lo, s4, v11
	s_delay_alu instid0(VALU_DEP_2) | instskip(SKIP_4) | instid1(VALU_DEP_2)
	v_add_co_ci_u32_e32 v12, vcc_lo, s5, v12, vcc_lo
	global_load_b64 v[11:12], v[11:12], off
	s_waitcnt vmcnt(0)
	v_subrev_nc_u32_e32 v9, s12, v11
	v_subrev_nc_u32_e32 v32, s12, v12
	v_add_nc_u32_e32 v19, v9, v41
	s_delay_alu instid0(VALU_DEP_1)
	v_cmp_lt_i32_e64 s0, v19, v32
	s_cbranch_scc0 .LBB129_14
; %bb.9:
	v_mov_b32_e32 v11, 0
	v_mov_b32_e32 v12, 0
	s_delay_alu instid0(VALU_DEP_1)
	v_dual_mov_b32 v9, v11 :: v_dual_mov_b32 v10, v12
	v_dual_mov_b32 v22, v12 :: v_dual_mov_b32 v21, v11
	;; [unrolled: 1-line block ×7, first 2 shown]
	s_and_saveexec_b32 s1, s0
	s_cbranch_execz .LBB129_13
; %bb.10:
	v_dual_mov_b32 v11, 0 :: v_dual_mov_b32 v30, v19
	v_dual_mov_b32 v12, 0 :: v_dual_mov_b32 v29, 0
	v_mad_u64_u32 v[27:28], null, v19, 20, 16
	s_delay_alu instid0(VALU_DEP_2)
	v_dual_mov_b32 v9, v11 :: v_dual_mov_b32 v10, v12
	v_dual_mov_b32 v22, v12 :: v_dual_mov_b32 v21, v11
	;; [unrolled: 1-line block ×7, first 2 shown]
	s_mov_b32 s4, 0
.LBB129_11:                             ; =>This Inner Loop Header: Depth=1
	v_ashrrev_i32_e32 v31, 31, v30
	v_dual_mov_b32 v131, v29 :: v_dual_add_nc_u32 v28, -16, v27
	s_delay_alu instid0(VALU_DEP_2) | instskip(SKIP_1) | instid1(VALU_DEP_2)
	v_lshlrev_b64 v[33:34], 2, v[30:31]
	v_add_nc_u32_e32 v30, 32, v30
	v_add_co_u32 v33, vcc_lo, s6, v33
	s_delay_alu instid0(VALU_DEP_3) | instskip(SKIP_3) | instid1(VALU_DEP_1)
	v_add_co_ci_u32_e32 v34, vcc_lo, s7, v34, vcc_lo
	global_load_b32 v20, v[33:34], off
	v_lshlrev_b64 v[33:34], 4, v[28:29]
	v_add_nc_u32_e32 v28, -12, v27
	v_lshlrev_b64 v[54:55], 4, v[28:29]
	s_delay_alu instid0(VALU_DEP_3) | instskip(NEXT) | instid1(VALU_DEP_4)
	v_add_co_u32 v46, vcc_lo, s8, v33
	v_add_co_ci_u32_e32 v47, vcc_lo, s9, v34, vcc_lo
	s_clause 0x3
	global_load_b128 v[33:36], v[46:47], off offset:48
	global_load_b128 v[37:40], v[46:47], off offset:32
	;; [unrolled: 1-line block ×3, first 2 shown]
	global_load_b128 v[46:49], v[46:47], off
	s_waitcnt vmcnt(4)
	v_subrev_nc_u32_e32 v20, s12, v20
	s_delay_alu instid0(VALU_DEP_1) | instskip(NEXT) | instid1(VALU_DEP_1)
	v_lshl_add_u32 v130, v20, 2, v20
	v_lshlrev_b64 v[50:51], 4, v[130:131]
	v_add_nc_u32_e32 v28, 1, v130
	s_delay_alu instid0(VALU_DEP_1) | instskip(NEXT) | instid1(VALU_DEP_3)
	v_lshlrev_b64 v[70:71], 4, v[28:29]
	v_add_co_u32 v50, vcc_lo, s10, v50
	s_delay_alu instid0(VALU_DEP_4)
	v_add_co_ci_u32_e32 v51, vcc_lo, s11, v51, vcc_lo
	v_add_co_u32 v66, vcc_lo, s8, v54
	v_add_co_ci_u32_e32 v67, vcc_lo, s9, v55, vcc_lo
	global_load_b128 v[50:53], v[50:51], off
	v_add_co_u32 v70, vcc_lo, s10, v70
	v_add_co_ci_u32_e32 v71, vcc_lo, s11, v71, vcc_lo
	s_clause 0x3
	global_load_b128 v[54:57], v[66:67], off offset:48
	global_load_b128 v[58:61], v[66:67], off offset:32
	;; [unrolled: 1-line block ×3, first 2 shown]
	global_load_b128 v[66:69], v[66:67], off
	v_add_nc_u32_e32 v28, -8, v27
	global_load_b128 v[70:73], v[70:71], off
	v_lshlrev_b64 v[74:75], 4, v[28:29]
	v_add_nc_u32_e32 v28, 2, v130
	s_delay_alu instid0(VALU_DEP_1) | instskip(NEXT) | instid1(VALU_DEP_3)
	v_lshlrev_b64 v[76:77], 4, v[28:29]
	v_add_co_u32 v86, vcc_lo, s8, v74
	s_delay_alu instid0(VALU_DEP_4) | instskip(SKIP_1) | instid1(VALU_DEP_4)
	v_add_co_ci_u32_e32 v87, vcc_lo, s9, v75, vcc_lo
	v_add_nc_u32_e32 v28, -4, v27
	v_add_co_u32 v90, vcc_lo, s10, v76
	v_add_co_ci_u32_e32 v91, vcc_lo, s11, v77, vcc_lo
	s_clause 0x3
	global_load_b128 v[74:77], v[86:87], off offset:48
	global_load_b128 v[78:81], v[86:87], off offset:32
	;; [unrolled: 1-line block ×3, first 2 shown]
	global_load_b128 v[86:89], v[86:87], off
	global_load_b128 v[90:93], v[90:91], off
	v_lshlrev_b64 v[94:95], 4, v[28:29]
	v_add_nc_u32_e32 v28, 3, v130
	s_delay_alu instid0(VALU_DEP_1) | instskip(NEXT) | instid1(VALU_DEP_3)
	v_lshlrev_b64 v[96:97], 4, v[28:29]
	v_add_co_u32 v106, vcc_lo, s8, v94
	s_delay_alu instid0(VALU_DEP_4) | instskip(SKIP_1) | instid1(VALU_DEP_4)
	v_add_co_ci_u32_e32 v107, vcc_lo, s9, v95, vcc_lo
	v_mov_b32_e32 v28, v29
	v_add_co_u32 v110, vcc_lo, s10, v96
	v_add_co_ci_u32_e32 v111, vcc_lo, s11, v97, vcc_lo
	s_clause 0x3
	global_load_b128 v[94:97], v[106:107], off offset:48
	global_load_b128 v[98:101], v[106:107], off offset:32
	;; [unrolled: 1-line block ×3, first 2 shown]
	global_load_b128 v[106:109], v[106:107], off
	global_load_b128 v[110:113], v[110:111], off
	v_lshlrev_b64 v[114:115], 4, v[27:28]
	v_add_nc_u32_e32 v27, 0x280, v27
	v_add_nc_u32_e32 v28, 4, v130
	s_delay_alu instid0(VALU_DEP_3) | instskip(NEXT) | instid1(VALU_DEP_2)
	v_add_co_u32 v126, vcc_lo, s8, v114
	v_lshlrev_b64 v[130:131], 4, v[28:29]
	v_add_co_ci_u32_e32 v127, vcc_lo, s9, v115, vcc_lo
	s_clause 0x3
	global_load_b128 v[114:117], v[126:127], off offset:48
	global_load_b128 v[118:121], v[126:127], off offset:32
	;; [unrolled: 1-line block ×3, first 2 shown]
	global_load_b128 v[126:129], v[126:127], off
	v_add_co_u32 v130, vcc_lo, s10, v130
	v_add_co_ci_u32_e32 v131, vcc_lo, s11, v131, vcc_lo
	v_cmp_ge_i32_e32 vcc_lo, v30, v32
	global_load_b128 v[130:133], v[130:131], off
	s_or_b32 s4, vcc_lo, s4
	s_waitcnt vmcnt(20)
	v_fma_f64 v[20:21], v[46:47], v[50:51], v[21:22]
	v_fma_f64 v[11:12], v[48:49], v[50:51], v[11:12]
	v_fma_f64 v[22:23], v[42:43], v[50:51], v[23:24]
	v_fma_f64 v[24:25], v[44:45], v[50:51], v[25:26]
	v_fma_f64 v[15:16], v[37:38], v[50:51], v[15:16]
	v_fma_f64 v[17:18], v[39:40], v[50:51], v[17:18]
	v_fma_f64 v[9:10], v[33:34], v[50:51], v[9:10]
	v_fma_f64 v[13:14], v[35:36], v[50:51], v[13:14]
	v_fma_f64 v[20:21], -v[48:49], v[52:53], v[20:21]
	v_fma_f64 v[11:12], v[46:47], v[52:53], v[11:12]
	v_fma_f64 v[22:23], -v[44:45], v[52:53], v[22:23]
	v_fma_f64 v[24:25], v[42:43], v[52:53], v[24:25]
	v_fma_f64 v[15:16], -v[39:40], v[52:53], v[15:16]
	v_fma_f64 v[17:18], v[37:38], v[52:53], v[17:18]
	v_fma_f64 v[9:10], -v[35:36], v[52:53], v[9:10]
	v_fma_f64 v[13:14], v[33:34], v[52:53], v[13:14]
	s_waitcnt vmcnt(15)
	v_fma_f64 v[20:21], v[66:67], v[70:71], v[20:21]
	v_fma_f64 v[11:12], v[68:69], v[70:71], v[11:12]
	v_fma_f64 v[22:23], v[62:63], v[70:71], v[22:23]
	v_fma_f64 v[24:25], v[64:65], v[70:71], v[24:25]
	v_fma_f64 v[15:16], v[58:59], v[70:71], v[15:16]
	v_fma_f64 v[17:18], v[60:61], v[70:71], v[17:18]
	v_fma_f64 v[9:10], v[54:55], v[70:71], v[9:10]
	v_fma_f64 v[13:14], v[56:57], v[70:71], v[13:14]
	v_fma_f64 v[20:21], -v[68:69], v[72:73], v[20:21]
	v_fma_f64 v[11:12], v[66:67], v[72:73], v[11:12]
	v_fma_f64 v[22:23], -v[64:65], v[72:73], v[22:23]
	v_fma_f64 v[24:25], v[62:63], v[72:73], v[24:25]
	v_fma_f64 v[15:16], -v[60:61], v[72:73], v[15:16]
	v_fma_f64 v[17:18], v[58:59], v[72:73], v[17:18]
	v_fma_f64 v[9:10], -v[56:57], v[72:73], v[9:10]
	v_fma_f64 v[13:14], v[54:55], v[72:73], v[13:14]
	;; [unrolled: 17-line block ×5, first 2 shown]
	s_and_not1_b32 exec_lo, exec_lo, s4
	s_cbranch_execnz .LBB129_11
; %bb.12:
	s_or_b32 exec_lo, exec_lo, s4
.LBB129_13:
	s_delay_alu instid0(SALU_CYCLE_1)
	s_or_b32 exec_lo, exec_lo, s1
	s_cbranch_execz .LBB129_15
	s_branch .LBB129_20
.LBB129_14:
                                        ; implicit-def: $vgpr11_vgpr12
                                        ; implicit-def: $vgpr21_vgpr22
                                        ; implicit-def: $vgpr9_vgpr10
                                        ; implicit-def: $vgpr13_vgpr14
                                        ; implicit-def: $vgpr15_vgpr16
                                        ; implicit-def: $vgpr17_vgpr18
                                        ; implicit-def: $vgpr23_vgpr24
                                        ; implicit-def: $vgpr25_vgpr26
.LBB129_15:
	v_mov_b32_e32 v11, 0
	v_mov_b32_e32 v12, 0
	s_delay_alu instid0(VALU_DEP_1)
	v_dual_mov_b32 v9, v11 :: v_dual_mov_b32 v10, v12
	v_dual_mov_b32 v22, v12 :: v_dual_mov_b32 v21, v11
	;; [unrolled: 1-line block ×7, first 2 shown]
	s_and_saveexec_b32 s1, s0
	s_cbranch_execz .LBB129_19
; %bb.16:
	v_mov_b32_e32 v11, 0
	v_dual_mov_b32 v12, 0 :: v_dual_mov_b32 v29, 0
	v_mad_u64_u32 v[27:28], null, v19, 20, 19
	s_delay_alu instid0(VALU_DEP_2)
	v_dual_mov_b32 v9, v11 :: v_dual_mov_b32 v10, v12
	v_dual_mov_b32 v22, v12 :: v_dual_mov_b32 v21, v11
	;; [unrolled: 1-line block ×7, first 2 shown]
	s_mov_b32 s0, 0
.LBB129_17:                             ; =>This Inner Loop Header: Depth=1
	v_ashrrev_i32_e32 v20, 31, v19
	v_subrev_nc_u32_e32 v28, 19, v27
	v_dual_mov_b32 v34, v29 :: v_dual_add_nc_u32 v33, -9, v27
	v_dual_mov_b32 v36, v29 :: v_dual_add_nc_u32 v35, -4, v27
	s_delay_alu instid0(VALU_DEP_4) | instskip(NEXT) | instid1(VALU_DEP_4)
	v_lshlrev_b64 v[30:31], 2, v[19:20]
	v_lshlrev_b64 v[37:38], 4, v[28:29]
	s_delay_alu instid0(VALU_DEP_4)
	v_lshlrev_b64 v[33:34], 4, v[33:34]
	v_mov_b32_e32 v111, v29
	v_lshlrev_b64 v[35:36], 4, v[35:36]
	v_add_nc_u32_e32 v19, 32, v19
	v_add_co_u32 v30, vcc_lo, s6, v30
	v_add_co_ci_u32_e32 v31, vcc_lo, s7, v31, vcc_lo
	v_add_co_u32 v78, vcc_lo, s8, v37
	v_add_co_ci_u32_e32 v79, vcc_lo, s9, v38, vcc_lo
	global_load_b32 v20, v[30:31], off
	v_add_nc_u32_e32 v30, -14, v27
	s_waitcnt vmcnt(0)
	v_subrev_nc_u32_e32 v20, s12, v20
	s_delay_alu instid0(VALU_DEP_1) | instskip(NEXT) | instid1(VALU_DEP_1)
	v_lshl_add_u32 v110, v20, 2, v20
	v_dual_mov_b32 v31, v29 :: v_dual_add_nc_u32 v28, 1, v110
	s_delay_alu instid0(VALU_DEP_1) | instskip(NEXT) | instid1(VALU_DEP_1)
	v_lshlrev_b64 v[30:31], 4, v[30:31]
	v_add_co_u32 v30, vcc_lo, s8, v30
	s_delay_alu instid0(VALU_DEP_2)
	v_add_co_ci_u32_e32 v31, vcc_lo, s9, v31, vcc_lo
	v_add_co_u32 v46, vcc_lo, s8, v33
	v_add_co_ci_u32_e32 v47, vcc_lo, s9, v34, vcc_lo
	v_add_co_u32 v50, vcc_lo, s8, v35
	v_add_co_ci_u32_e32 v51, vcc_lo, s9, v36, vcc_lo
	s_clause 0x4
	global_load_b128 v[33:36], v[78:79], off offset:16
	global_load_b128 v[37:40], v[78:79], off
	global_load_b128 v[42:45], v[30:31], off
	;; [unrolled: 1-line block ×4, first 2 shown]
	v_lshlrev_b64 v[30:31], 4, v[110:111]
	s_delay_alu instid0(VALU_DEP_1) | instskip(NEXT) | instid1(VALU_DEP_2)
	v_add_co_u32 v30, vcc_lo, s10, v30
	v_add_co_ci_u32_e32 v31, vcc_lo, s11, v31, vcc_lo
	global_load_b128 v[54:57], v[30:31], off
	v_lshlrev_b64 v[30:31], 4, v[28:29]
	v_add_nc_u32_e32 v28, -13, v27
	s_delay_alu instid0(VALU_DEP_1) | instskip(SKIP_1) | instid1(VALU_DEP_4)
	v_lshlrev_b64 v[62:63], 4, v[28:29]
	v_add_nc_u32_e32 v28, -8, v27
	v_add_co_u32 v30, vcc_lo, s10, v30
	v_add_co_ci_u32_e32 v31, vcc_lo, s11, v31, vcc_lo
	s_delay_alu instid0(VALU_DEP_3)
	v_lshlrev_b64 v[64:65], 4, v[28:29]
	v_add_nc_u32_e32 v28, -3, v27
	global_load_b128 v[58:61], v[30:31], off
	v_add_co_u32 v30, vcc_lo, s8, v62
	v_add_co_ci_u32_e32 v31, vcc_lo, s9, v63, vcc_lo
	v_lshlrev_b64 v[62:63], 4, v[28:29]
	v_add_co_u32 v66, vcc_lo, s8, v64
	v_add_co_ci_u32_e32 v67, vcc_lo, s9, v65, vcc_lo
	v_mov_b32_e32 v28, v29
	s_delay_alu instid0(VALU_DEP_4)
	v_add_co_u32 v70, vcc_lo, s8, v62
	v_add_co_ci_u32_e32 v71, vcc_lo, s9, v63, vcc_lo
	s_clause 0x2
	global_load_b128 v[62:65], v[30:31], off
	global_load_b128 v[66:69], v[66:67], off
	;; [unrolled: 1-line block ×3, first 2 shown]
	v_lshlrev_b64 v[30:31], 4, v[27:28]
	v_add_nc_u32_e32 v28, 2, v110
	s_clause 0x1
	global_load_b128 v[74:77], v[78:79], off offset:48
	global_load_b128 v[78:81], v[78:79], off offset:32
	v_lshlrev_b64 v[82:83], 4, v[28:29]
	v_add_nc_u32_e32 v28, -12, v27
	v_add_co_u32 v30, vcc_lo, s8, v30
	v_add_co_ci_u32_e32 v31, vcc_lo, s9, v31, vcc_lo
	s_delay_alu instid0(VALU_DEP_3) | instskip(SKIP_3) | instid1(VALU_DEP_3)
	v_lshlrev_b64 v[86:87], 4, v[28:29]
	v_add_nc_u32_e32 v28, -7, v27
	v_add_co_u32 v82, vcc_lo, s10, v82
	v_add_co_ci_u32_e32 v83, vcc_lo, s11, v83, vcc_lo
	v_lshlrev_b64 v[88:89], 4, v[28:29]
	v_add_nc_u32_e32 v28, -2, v27
	v_add_co_u32 v86, vcc_lo, s8, v86
	v_add_co_ci_u32_e32 v87, vcc_lo, s9, v87, vcc_lo
	s_delay_alu instid0(VALU_DEP_3)
	v_lshlrev_b64 v[90:91], 4, v[28:29]
	v_add_co_u32 v92, vcc_lo, s8, v88
	v_add_co_ci_u32_e32 v93, vcc_lo, s9, v89, vcc_lo
	global_load_b128 v[82:85], v[82:83], off
	v_add_co_u32 v94, vcc_lo, s8, v90
	v_add_co_ci_u32_e32 v95, vcc_lo, s9, v91, vcc_lo
	s_clause 0x3
	global_load_b128 v[86:89], v[86:87], off
	global_load_b128 v[90:93], v[92:93], off
	;; [unrolled: 1-line block ×4, first 2 shown]
	v_add_nc_u32_e32 v28, 3, v110
	s_delay_alu instid0(VALU_DEP_1) | instskip(SKIP_1) | instid1(VALU_DEP_1)
	v_lshlrev_b64 v[30:31], 4, v[28:29]
	v_add_nc_u32_e32 v28, -11, v27
	v_lshlrev_b64 v[106:107], 4, v[28:29]
	v_add_nc_u32_e32 v28, -6, v27
	s_delay_alu instid0(VALU_DEP_4) | instskip(SKIP_1) | instid1(VALU_DEP_3)
	v_add_co_u32 v30, vcc_lo, s10, v30
	v_add_co_ci_u32_e32 v31, vcc_lo, s11, v31, vcc_lo
	v_lshlrev_b64 v[108:109], 4, v[28:29]
	v_add_nc_u32_e32 v28, -1, v27
	global_load_b128 v[102:105], v[30:31], off
	v_add_co_u32 v30, vcc_lo, s8, v106
	v_lshlrev_b64 v[114:115], 4, v[28:29]
	v_add_co_ci_u32_e32 v31, vcc_lo, s9, v107, vcc_lo
	v_add_co_u32 v111, vcc_lo, s8, v108
	v_add_co_ci_u32_e32 v112, vcc_lo, s9, v109, vcc_lo
	s_delay_alu instid0(VALU_DEP_4)
	v_add_co_u32 v114, vcc_lo, s8, v114
	v_add_nc_u32_e32 v28, -15, v27
	v_add_co_ci_u32_e32 v115, vcc_lo, s9, v115, vcc_lo
	s_clause 0x1
	global_load_b128 v[106:109], v[30:31], off
	global_load_b128 v[114:117], v[114:115], off
	v_lshlrev_b64 v[30:31], 4, v[28:29]
	v_add_nc_u32_e32 v28, 4, v110
	global_load_b128 v[110:113], v[111:112], off
	v_lshlrev_b64 v[118:119], 4, v[28:29]
	v_add_nc_u32_e32 v28, -10, v27
	v_add_co_u32 v30, vcc_lo, s8, v30
	v_add_co_ci_u32_e32 v31, vcc_lo, s9, v31, vcc_lo
	s_delay_alu instid0(VALU_DEP_3)
	v_lshlrev_b64 v[122:123], 4, v[28:29]
	v_add_nc_u32_e32 v28, -5, v27
	v_add_co_u32 v124, vcc_lo, s10, v118
	v_add_co_ci_u32_e32 v125, vcc_lo, s11, v119, vcc_lo
	global_load_b128 v[118:121], v[30:31], off
	v_lshlrev_b64 v[30:31], 4, v[28:29]
	v_add_co_u32 v122, vcc_lo, s8, v122
	v_add_co_ci_u32_e32 v123, vcc_lo, s9, v123, vcc_lo
	v_add_nc_u32_e32 v27, 0x280, v27
	s_delay_alu instid0(VALU_DEP_4)
	v_add_co_u32 v30, vcc_lo, s8, v30
	v_add_co_ci_u32_e32 v31, vcc_lo, s9, v31, vcc_lo
	v_cmp_ge_i32_e32 vcc_lo, v19, v32
	s_or_b32 s0, vcc_lo, s0
	s_waitcnt vmcnt(16)
	v_fma_f64 v[20:21], v[37:38], v[54:55], v[21:22]
	v_fma_f64 v[11:12], v[39:40], v[54:55], v[11:12]
	;; [unrolled: 1-line block ×8, first 2 shown]
	v_fma_f64 v[20:21], -v[39:40], v[56:57], v[20:21]
	v_fma_f64 v[11:12], v[37:38], v[56:57], v[11:12]
	global_load_b128 v[37:40], v[124:125], off
	v_fma_f64 v[22:23], -v[44:45], v[56:57], v[22:23]
	v_fma_f64 v[24:25], v[42:43], v[56:57], v[24:25]
	s_clause 0x1
	global_load_b128 v[42:45], v[122:123], off
	global_load_b128 v[122:125], v[30:31], off
	v_fma_f64 v[15:16], -v[48:49], v[56:57], v[15:16]
	v_fma_f64 v[17:18], v[46:47], v[56:57], v[17:18]
	v_fma_f64 v[9:10], -v[52:53], v[56:57], v[9:10]
	v_fma_f64 v[13:14], v[50:51], v[56:57], v[13:14]
	s_waitcnt vmcnt(18)
	v_fma_f64 v[20:21], v[33:34], v[58:59], v[20:21]
	v_fma_f64 v[11:12], v[35:36], v[58:59], v[11:12]
	s_waitcnt vmcnt(17)
	v_fma_f64 v[22:23], v[62:63], v[58:59], v[22:23]
	;; [unrolled: 3-line block ×4, first 2 shown]
	v_fma_f64 v[13:14], v[72:73], v[58:59], v[13:14]
	v_fma_f64 v[20:21], -v[35:36], v[60:61], v[20:21]
	v_fma_f64 v[11:12], v[33:34], v[60:61], v[11:12]
	v_fma_f64 v[22:23], -v[64:65], v[60:61], v[22:23]
	;; [unrolled: 2-line block ×4, first 2 shown]
	v_fma_f64 v[13:14], v[70:71], v[60:61], v[13:14]
	s_waitcnt vmcnt(12)
	v_fma_f64 v[20:21], v[78:79], v[82:83], v[20:21]
	v_fma_f64 v[11:12], v[80:81], v[82:83], v[11:12]
	s_waitcnt vmcnt(11)
	v_fma_f64 v[22:23], v[86:87], v[82:83], v[22:23]
	;; [unrolled: 3-line block ×4, first 2 shown]
	v_fma_f64 v[13:14], v[96:97], v[82:83], v[13:14]
	v_fma_f64 v[20:21], -v[80:81], v[84:85], v[20:21]
	v_fma_f64 v[11:12], v[78:79], v[84:85], v[11:12]
	v_fma_f64 v[22:23], -v[88:89], v[84:85], v[22:23]
	;; [unrolled: 2-line block ×4, first 2 shown]
	v_fma_f64 v[13:14], v[94:95], v[84:85], v[13:14]
	s_waitcnt vmcnt(7)
	v_fma_f64 v[20:21], v[74:75], v[102:103], v[20:21]
	v_fma_f64 v[11:12], v[76:77], v[102:103], v[11:12]
	s_waitcnt vmcnt(6)
	v_fma_f64 v[22:23], v[106:107], v[102:103], v[22:23]
	;; [unrolled: 3-line block ×3, first 2 shown]
	v_fma_f64 v[17:18], v[112:113], v[102:103], v[17:18]
	v_fma_f64 v[9:10], v[114:115], v[102:103], v[9:10]
	;; [unrolled: 1-line block ×3, first 2 shown]
	v_fma_f64 v[20:21], -v[76:77], v[104:105], v[20:21]
	v_fma_f64 v[11:12], v[74:75], v[104:105], v[11:12]
	v_fma_f64 v[22:23], -v[108:109], v[104:105], v[22:23]
	v_fma_f64 v[24:25], v[106:107], v[104:105], v[24:25]
	;; [unrolled: 2-line block ×4, first 2 shown]
	s_waitcnt vmcnt(2)
	v_fma_f64 v[20:21], v[118:119], v[37:38], v[20:21]
	v_fma_f64 v[11:12], v[120:121], v[37:38], v[11:12]
	s_waitcnt vmcnt(1)
	v_fma_f64 v[30:31], v[42:43], v[37:38], v[22:23]
	v_fma_f64 v[25:26], v[44:45], v[37:38], v[24:25]
	;; [unrolled: 3-line block ×3, first 2 shown]
	v_fma_f64 v[9:10], v[98:99], v[37:38], v[9:10]
	v_fma_f64 v[13:14], v[100:101], v[37:38], v[13:14]
	v_fma_f64 v[21:22], -v[120:121], v[39:40], v[20:21]
	v_fma_f64 v[11:12], v[118:119], v[39:40], v[11:12]
	v_fma_f64 v[23:24], -v[44:45], v[39:40], v[30:31]
	;; [unrolled: 2-line block ×4, first 2 shown]
	v_fma_f64 v[13:14], v[98:99], v[39:40], v[13:14]
	s_and_not1_b32 exec_lo, exec_lo, s0
	s_cbranch_execnz .LBB129_17
; %bb.18:
	s_or_b32 exec_lo, exec_lo, s0
.LBB129_19:
	s_delay_alu instid0(SALU_CYCLE_1)
	s_or_b32 exec_lo, exec_lo, s1
.LBB129_20:
	v_mbcnt_lo_u32_b32 v44, -1, 0
	s_delay_alu instid0(VALU_DEP_1) | instskip(NEXT) | instid1(VALU_DEP_1)
	v_xor_b32_e32 v19, 16, v44
	v_cmp_gt_i32_e32 vcc_lo, 32, v19
	v_cndmask_b32_e32 v19, v44, v19, vcc_lo
	s_delay_alu instid0(VALU_DEP_1)
	v_lshlrev_b32_e32 v40, 2, v19
	ds_bpermute_b32 v19, v40, v21
	ds_bpermute_b32 v20, v40, v22
	ds_bpermute_b32 v29, v40, v23
	ds_bpermute_b32 v30, v40, v24
	ds_bpermute_b32 v31, v40, v25
	ds_bpermute_b32 v32, v40, v26
	s_waitcnt lgkmcnt(4)
	v_add_f64 v[19:20], v[21:22], v[19:20]
	s_waitcnt lgkmcnt(2)
	v_add_f64 v[21:22], v[23:24], v[29:30]
	;; [unrolled: 2-line block ×3, first 2 shown]
	v_xor_b32_e32 v25, 8, v44
	s_delay_alu instid0(VALU_DEP_1)
	v_cmp_gt_i32_e32 vcc_lo, 32, v25
	v_cndmask_b32_e32 v25, v44, v25, vcc_lo
	ds_bpermute_b32 v27, v40, v11
	ds_bpermute_b32 v28, v40, v12
	;; [unrolled: 1-line block ×10, first 2 shown]
	s_waitcnt lgkmcnt(8)
	v_add_f64 v[11:12], v[11:12], v[27:28]
	s_waitcnt lgkmcnt(6)
	v_add_f64 v[15:16], v[15:16], v[33:34]
	;; [unrolled: 2-line block ×5, first 2 shown]
	v_lshlrev_b32_e32 v40, 2, v25
	ds_bpermute_b32 v25, v40, v19
	ds_bpermute_b32 v26, v40, v20
	;; [unrolled: 1-line block ×6, first 2 shown]
	s_waitcnt lgkmcnt(4)
	v_add_f64 v[19:20], v[19:20], v[25:26]
	v_xor_b32_e32 v25, 4, v44
	s_waitcnt lgkmcnt(2)
	v_add_f64 v[21:22], v[21:22], v[29:30]
	ds_bpermute_b32 v27, v40, v11
	ds_bpermute_b32 v28, v40, v12
	;; [unrolled: 1-line block ×10, first 2 shown]
	s_waitcnt lgkmcnt(10)
	v_add_f64 v[23:24], v[23:24], v[31:32]
	v_cmp_gt_i32_e32 vcc_lo, 32, v25
	v_cndmask_b32_e32 v25, v44, v25, vcc_lo
	s_waitcnt lgkmcnt(8)
	v_add_f64 v[11:12], v[11:12], v[27:28]
	s_waitcnt lgkmcnt(6)
	v_add_f64 v[15:16], v[15:16], v[33:34]
	;; [unrolled: 2-line block ×5, first 2 shown]
	v_lshlrev_b32_e32 v40, 2, v25
	ds_bpermute_b32 v25, v40, v19
	ds_bpermute_b32 v26, v40, v20
	;; [unrolled: 1-line block ×6, first 2 shown]
	s_waitcnt lgkmcnt(4)
	v_add_f64 v[19:20], v[19:20], v[25:26]
	s_waitcnt lgkmcnt(2)
	v_add_f64 v[21:22], v[21:22], v[29:30]
	ds_bpermute_b32 v27, v40, v11
	ds_bpermute_b32 v28, v40, v12
	;; [unrolled: 1-line block ×10, first 2 shown]
	s_waitcnt lgkmcnt(10)
	v_add_f64 v[25:26], v[23:24], v[31:32]
	s_waitcnt lgkmcnt(8)
	v_add_f64 v[11:12], v[11:12], v[27:28]
	;; [unrolled: 2-line block ×5, first 2 shown]
	v_xor_b32_e32 v9, 2, v44
	s_waitcnt lgkmcnt(0)
	v_add_f64 v[29:30], v[13:14], v[39:40]
	s_delay_alu instid0(VALU_DEP_2) | instskip(SKIP_1) | instid1(VALU_DEP_1)
	v_cmp_gt_i32_e32 vcc_lo, 32, v9
	v_cndmask_b32_e32 v9, v44, v9, vcc_lo
	v_lshlrev_b32_e32 v23, 2, v9
	ds_bpermute_b32 v9, v23, v19
	ds_bpermute_b32 v10, v23, v20
	;; [unrolled: 1-line block ×16, first 2 shown]
	s_waitcnt lgkmcnt(14)
	v_add_f64 v[9:10], v[19:20], v[9:10]
	s_waitcnt lgkmcnt(8)
	v_add_f64 v[23:24], v[11:12], v[13:14]
	v_add_f64 v[11:12], v[21:22], v[31:32]
	;; [unrolled: 1-line block ×3, first 2 shown]
	s_waitcnt lgkmcnt(6)
	v_add_f64 v[13:14], v[15:16], v[35:36]
	s_waitcnt lgkmcnt(4)
	v_add_f64 v[19:20], v[17:18], v[37:38]
	v_xor_b32_e32 v25, 1, v44
	s_waitcnt lgkmcnt(2)
	v_add_f64 v[15:16], v[27:28], v[39:40]
	s_waitcnt lgkmcnt(0)
	v_add_f64 v[17:18], v[29:30], v[42:43]
	v_cmp_gt_i32_e32 vcc_lo, 32, v25
	v_cndmask_b32_e32 v25, v44, v25, vcc_lo
	v_cmp_eq_u32_e32 vcc_lo, 31, v41
	s_delay_alu instid0(VALU_DEP_2)
	v_lshlrev_b32_e32 v28, 2, v25
	ds_bpermute_b32 v39, v28, v9
	ds_bpermute_b32 v40, v28, v10
	;; [unrolled: 1-line block ×16, first 2 shown]
	s_and_b32 exec_lo, exec_lo, vcc_lo
	s_cbranch_execz .LBB129_25
; %bb.21:
	v_cmp_eq_f64_e32 vcc_lo, 0, v[4:5]
	v_cmp_eq_f64_e64 s0, 0, v[6:7]
	s_waitcnt lgkmcnt(14)
	v_add_f64 v[9:10], v[9:10], v[39:40]
	s_waitcnt lgkmcnt(12)
	v_add_f64 v[23:24], v[23:24], v[37:38]
	;; [unrolled: 2-line block ×8, first 2 shown]
	s_load_b64 s[2:3], s[2:3], 0x48
	s_and_b32 s0, vcc_lo, s0
	s_delay_alu instid0(SALU_CYCLE_1) | instskip(NEXT) | instid1(SALU_CYCLE_1)
	s_and_saveexec_b32 s1, s0
	s_xor_b32 s0, exec_lo, s1
	s_cbranch_execz .LBB129_23
; %bb.22:
	v_mul_f64 v[4:5], v[23:24], -v[2:3]
	v_mul_f64 v[6:7], v[0:1], v[23:24]
	v_mul_f64 v[23:24], v[21:22], -v[2:3]
	v_mul_f64 v[21:22], v[0:1], v[21:22]
	;; [unrolled: 2-line block ×4, first 2 shown]
	v_fma_f64 v[4:5], v[0:1], v[9:10], v[4:5]
	v_fma_f64 v[6:7], v[2:3], v[9:10], v[6:7]
	;; [unrolled: 1-line block ×8, first 2 shown]
	v_lshlrev_b32_e32 v13, 2, v8
                                        ; implicit-def: $vgpr8
                                        ; implicit-def: $vgpr23_vgpr24
                                        ; implicit-def: $vgpr21_vgpr22
                                        ; implicit-def: $vgpr15_vgpr16
	s_delay_alu instid0(VALU_DEP_1) | instskip(NEXT) | instid1(VALU_DEP_1)
	v_ashrrev_i32_e32 v14, 31, v13
	v_lshlrev_b64 v[13:14], 4, v[13:14]
	s_waitcnt lgkmcnt(0)
	s_delay_alu instid0(VALU_DEP_1) | instskip(NEXT) | instid1(VALU_DEP_2)
	v_add_co_u32 v13, vcc_lo, s2, v13
	v_add_co_ci_u32_e32 v14, vcc_lo, s3, v14, vcc_lo
	s_clause 0x3
	global_store_b128 v[13:14], v[4:7], off
	global_store_b128 v[13:14], v[9:12], off offset:16
	global_store_b128 v[13:14], v[17:20], off offset:32
	;; [unrolled: 1-line block ×3, first 2 shown]
                                        ; implicit-def: $vgpr0_vgpr1
                                        ; implicit-def: $vgpr2_vgpr3
                                        ; implicit-def: $vgpr4_vgpr5
                                        ; implicit-def: $vgpr6_vgpr7
                                        ; implicit-def: $vgpr9_vgpr10
                                        ; implicit-def: $vgpr11_vgpr12
                                        ; implicit-def: $vgpr13_vgpr14
                                        ; implicit-def: $vgpr19_vgpr20
                                        ; implicit-def: $vgpr17_vgpr18
.LBB129_23:
	s_and_not1_saveexec_b32 s0, s0
	s_cbranch_execz .LBB129_25
; %bb.24:
	v_lshlrev_b32_e32 v25, 2, v8
	v_mul_f64 v[43:44], v[23:24], -v[2:3]
	v_mul_f64 v[23:24], v[0:1], v[23:24]
	v_mul_f64 v[45:46], v[21:22], -v[2:3]
	v_mul_f64 v[21:22], v[0:1], v[21:22]
	v_ashrrev_i32_e32 v26, 31, v25
	v_mul_f64 v[47:48], v[19:20], -v[2:3]
	v_mul_f64 v[19:20], v[0:1], v[19:20]
	v_mul_f64 v[49:50], v[17:18], -v[2:3]
	v_mul_f64 v[17:18], v[0:1], v[17:18]
	v_lshlrev_b64 v[25:26], 4, v[25:26]
	s_waitcnt lgkmcnt(0)
	s_delay_alu instid0(VALU_DEP_1) | instskip(NEXT) | instid1(VALU_DEP_2)
	v_add_co_u32 v41, vcc_lo, s2, v25
	v_add_co_ci_u32_e32 v42, vcc_lo, s3, v26, vcc_lo
	s_clause 0x3
	global_load_b128 v[25:28], v[41:42], off
	global_load_b128 v[29:32], v[41:42], off offset:16
	global_load_b128 v[33:36], v[41:42], off offset:32
	;; [unrolled: 1-line block ×3, first 2 shown]
	v_fma_f64 v[43:44], v[0:1], v[9:10], v[43:44]
	v_fma_f64 v[8:9], v[2:3], v[9:10], v[23:24]
	v_fma_f64 v[23:24], v[0:1], v[11:12], v[45:46]
	v_fma_f64 v[10:11], v[2:3], v[11:12], v[21:22]
	v_fma_f64 v[21:22], v[0:1], v[13:14], v[47:48]
	v_fma_f64 v[12:13], v[2:3], v[13:14], v[19:20]
	v_fma_f64 v[0:1], v[0:1], v[15:16], v[49:50]
	v_fma_f64 v[2:3], v[2:3], v[15:16], v[17:18]
	s_waitcnt vmcnt(3)
	v_fma_f64 v[14:15], v[4:5], v[25:26], v[43:44]
	v_fma_f64 v[8:9], v[6:7], v[25:26], v[8:9]
	s_waitcnt vmcnt(2)
	v_fma_f64 v[16:17], v[4:5], v[29:30], v[23:24]
	v_fma_f64 v[10:11], v[6:7], v[29:30], v[10:11]
	;; [unrolled: 3-line block ×4, first 2 shown]
	v_fma_f64 v[0:1], -v[6:7], v[27:28], v[14:15]
	v_fma_f64 v[2:3], v[4:5], v[27:28], v[8:9]
	v_fma_f64 v[8:9], -v[6:7], v[31:32], v[16:17]
	v_fma_f64 v[10:11], v[4:5], v[31:32], v[10:11]
	;; [unrolled: 2-line block ×4, first 2 shown]
	s_clause 0x3
	global_store_b128 v[41:42], v[0:3], off
	global_store_b128 v[41:42], v[8:11], off offset:16
	global_store_b128 v[41:42], v[12:15], off offset:32
	;; [unrolled: 1-line block ×3, first 2 shown]
.LBB129_25:
	s_nop 0
	s_sendmsg sendmsg(MSG_DEALLOC_VGPRS)
	s_endpgm
	.section	.rodata,"a",@progbits
	.p2align	6, 0x0
	.amdhsa_kernel _ZN9rocsparseL19gebsrmvn_4xn_kernelILj128ELj5ELj32E21rocsparse_complex_numIdEEEvi20rocsparse_direction_NS_24const_host_device_scalarIT2_EEPKiS8_PKS5_SA_S6_PS5_21rocsparse_index_base_b
		.amdhsa_group_segment_fixed_size 2048
		.amdhsa_private_segment_fixed_size 0
		.amdhsa_kernarg_size 88
		.amdhsa_user_sgpr_count 15
		.amdhsa_user_sgpr_dispatch_ptr 1
		.amdhsa_user_sgpr_queue_ptr 0
		.amdhsa_user_sgpr_kernarg_segment_ptr 1
		.amdhsa_user_sgpr_dispatch_id 0
		.amdhsa_user_sgpr_private_segment_size 0
		.amdhsa_wavefront_size32 1
		.amdhsa_uses_dynamic_stack 0
		.amdhsa_enable_private_segment 0
		.amdhsa_system_sgpr_workgroup_id_x 1
		.amdhsa_system_sgpr_workgroup_id_y 0
		.amdhsa_system_sgpr_workgroup_id_z 0
		.amdhsa_system_sgpr_workgroup_info 0
		.amdhsa_system_vgpr_workitem_id 2
		.amdhsa_next_free_vgpr 134
		.amdhsa_next_free_sgpr 18
		.amdhsa_reserve_vcc 1
		.amdhsa_float_round_mode_32 0
		.amdhsa_float_round_mode_16_64 0
		.amdhsa_float_denorm_mode_32 3
		.amdhsa_float_denorm_mode_16_64 3
		.amdhsa_dx10_clamp 1
		.amdhsa_ieee_mode 1
		.amdhsa_fp16_overflow 0
		.amdhsa_workgroup_processor_mode 1
		.amdhsa_memory_ordered 1
		.amdhsa_forward_progress 0
		.amdhsa_shared_vgpr_count 0
		.amdhsa_exception_fp_ieee_invalid_op 0
		.amdhsa_exception_fp_denorm_src 0
		.amdhsa_exception_fp_ieee_div_zero 0
		.amdhsa_exception_fp_ieee_overflow 0
		.amdhsa_exception_fp_ieee_underflow 0
		.amdhsa_exception_fp_ieee_inexact 0
		.amdhsa_exception_int_div_zero 0
	.end_amdhsa_kernel
	.section	.text._ZN9rocsparseL19gebsrmvn_4xn_kernelILj128ELj5ELj32E21rocsparse_complex_numIdEEEvi20rocsparse_direction_NS_24const_host_device_scalarIT2_EEPKiS8_PKS5_SA_S6_PS5_21rocsparse_index_base_b,"axG",@progbits,_ZN9rocsparseL19gebsrmvn_4xn_kernelILj128ELj5ELj32E21rocsparse_complex_numIdEEEvi20rocsparse_direction_NS_24const_host_device_scalarIT2_EEPKiS8_PKS5_SA_S6_PS5_21rocsparse_index_base_b,comdat
.Lfunc_end129:
	.size	_ZN9rocsparseL19gebsrmvn_4xn_kernelILj128ELj5ELj32E21rocsparse_complex_numIdEEEvi20rocsparse_direction_NS_24const_host_device_scalarIT2_EEPKiS8_PKS5_SA_S6_PS5_21rocsparse_index_base_b, .Lfunc_end129-_ZN9rocsparseL19gebsrmvn_4xn_kernelILj128ELj5ELj32E21rocsparse_complex_numIdEEEvi20rocsparse_direction_NS_24const_host_device_scalarIT2_EEPKiS8_PKS5_SA_S6_PS5_21rocsparse_index_base_b
                                        ; -- End function
	.section	.AMDGPU.csdata,"",@progbits
; Kernel info:
; codeLenInByte = 5544
; NumSgprs: 20
; NumVgprs: 134
; ScratchSize: 0
; MemoryBound: 0
; FloatMode: 240
; IeeeMode: 1
; LDSByteSize: 2048 bytes/workgroup (compile time only)
; SGPRBlocks: 2
; VGPRBlocks: 16
; NumSGPRsForWavesPerEU: 20
; NumVGPRsForWavesPerEU: 134
; Occupancy: 10
; WaveLimiterHint : 1
; COMPUTE_PGM_RSRC2:SCRATCH_EN: 0
; COMPUTE_PGM_RSRC2:USER_SGPR: 15
; COMPUTE_PGM_RSRC2:TRAP_HANDLER: 0
; COMPUTE_PGM_RSRC2:TGID_X_EN: 1
; COMPUTE_PGM_RSRC2:TGID_Y_EN: 0
; COMPUTE_PGM_RSRC2:TGID_Z_EN: 0
; COMPUTE_PGM_RSRC2:TIDIG_COMP_CNT: 2
	.section	.text._ZN9rocsparseL19gebsrmvn_4xn_kernelILj128ELj5ELj64E21rocsparse_complex_numIdEEEvi20rocsparse_direction_NS_24const_host_device_scalarIT2_EEPKiS8_PKS5_SA_S6_PS5_21rocsparse_index_base_b,"axG",@progbits,_ZN9rocsparseL19gebsrmvn_4xn_kernelILj128ELj5ELj64E21rocsparse_complex_numIdEEEvi20rocsparse_direction_NS_24const_host_device_scalarIT2_EEPKiS8_PKS5_SA_S6_PS5_21rocsparse_index_base_b,comdat
	.globl	_ZN9rocsparseL19gebsrmvn_4xn_kernelILj128ELj5ELj64E21rocsparse_complex_numIdEEEvi20rocsparse_direction_NS_24const_host_device_scalarIT2_EEPKiS8_PKS5_SA_S6_PS5_21rocsparse_index_base_b ; -- Begin function _ZN9rocsparseL19gebsrmvn_4xn_kernelILj128ELj5ELj64E21rocsparse_complex_numIdEEEvi20rocsparse_direction_NS_24const_host_device_scalarIT2_EEPKiS8_PKS5_SA_S6_PS5_21rocsparse_index_base_b
	.p2align	8
	.type	_ZN9rocsparseL19gebsrmvn_4xn_kernelILj128ELj5ELj64E21rocsparse_complex_numIdEEEvi20rocsparse_direction_NS_24const_host_device_scalarIT2_EEPKiS8_PKS5_SA_S6_PS5_21rocsparse_index_base_b,@function
_ZN9rocsparseL19gebsrmvn_4xn_kernelILj128ELj5ELj64E21rocsparse_complex_numIdEEEvi20rocsparse_direction_NS_24const_host_device_scalarIT2_EEPKiS8_PKS5_SA_S6_PS5_21rocsparse_index_base_b: ; @_ZN9rocsparseL19gebsrmvn_4xn_kernelILj128ELj5ELj64E21rocsparse_complex_numIdEEEvi20rocsparse_direction_NS_24const_host_device_scalarIT2_EEPKiS8_PKS5_SA_S6_PS5_21rocsparse_index_base_b
; %bb.0:
	s_load_b64 s[12:13], s[2:3], 0x50
	s_load_b64 s[16:17], s[0:1], 0x4
	s_load_b128 s[8:11], s[2:3], 0x8
	v_bfe_u32 v1, v0, 10, 10
	s_mov_b64 s[0:1], src_shared_base
	s_load_b128 s[4:7], s[2:3], 0x38
	v_and_b32_e32 v10, 0x3ff, v0
	v_bfe_u32 v0, v0, 20, 10
	s_waitcnt lgkmcnt(0)
	s_bitcmp1_b32 s13, 0
	v_mul_u32_u24_e32 v1, s17, v1
	s_cselect_b32 s0, -1, 0
	s_delay_alu instid0(SALU_CYCLE_1)
	s_and_b32 vcc_lo, s0, exec_lo
	s_cselect_b32 s13, s1, s9
	s_lshr_b32 s14, s16, 16
	v_dual_mov_b32 v2, s4 :: v_dual_mov_b32 v3, s5
	s_mul_i32 s14, s14, s17
	v_mov_b32_e32 v6, s13
	v_mad_u32_u24 v1, s14, v10, v1
	s_delay_alu instid0(VALU_DEP_1) | instskip(SKIP_1) | instid1(VALU_DEP_2)
	v_add_lshl_u32 v4, v1, v0, 3
	v_dual_mov_b32 v0, s8 :: v_dual_mov_b32 v1, s9
	v_add_nc_u32_e32 v5, 0x400, v4
	ds_store_2addr_stride64_b64 v4, v[2:3], v[0:1] offset1:2
	v_dual_mov_b32 v2, s10 :: v_dual_mov_b32 v3, s11
	v_cndmask_b32_e64 v5, s8, v5, s0
	s_xor_b32 s10, s0, -1
	flat_load_b64 v[0:1], v[5:6]
	s_cbranch_vccnz .LBB130_2
; %bb.1:
	v_dual_mov_b32 v2, s8 :: v_dual_mov_b32 v3, s9
	flat_load_b64 v[2:3], v[2:3] offset:8
.LBB130_2:
	s_and_b32 s8, s0, exec_lo
	s_cselect_b32 s1, s1, s5
	v_cndmask_b32_e64 v4, s4, v4, s0
	v_dual_mov_b32 v5, s1 :: v_dual_mov_b32 v6, s6
	v_mov_b32_e32 v7, s7
	s_and_not1_b32 vcc_lo, exec_lo, s10
	flat_load_b64 v[4:5], v[4:5]
	s_cbranch_vccnz .LBB130_4
; %bb.3:
	v_dual_mov_b32 v7, s5 :: v_dual_mov_b32 v6, s4
	flat_load_b64 v[6:7], v[6:7] offset:8
.LBB130_4:
	s_waitcnt vmcnt(1) lgkmcnt(1)
	v_cmp_eq_f64_e32 vcc_lo, 0, v[0:1]
	v_cmp_eq_f64_e64 s0, 0, v[2:3]
	s_delay_alu instid0(VALU_DEP_1)
	s_and_b32 s4, vcc_lo, s0
	s_mov_b32 s0, -1
	s_and_saveexec_b32 s1, s4
	s_cbranch_execz .LBB130_6
; %bb.5:
	s_waitcnt vmcnt(0) lgkmcnt(0)
	v_cmp_neq_f64_e32 vcc_lo, 1.0, v[4:5]
	v_cmp_neq_f64_e64 s0, 0, v[6:7]
	s_delay_alu instid0(VALU_DEP_1) | instskip(NEXT) | instid1(SALU_CYCLE_1)
	s_or_b32 s0, vcc_lo, s0
	s_or_not1_b32 s0, s0, exec_lo
.LBB130_6:
	s_or_b32 exec_lo, exec_lo, s1
	s_and_saveexec_b32 s1, s0
	s_cbranch_execz .LBB130_25
; %bb.7:
	s_load_b64 s[0:1], s[2:3], 0x0
	v_lshrrev_b32_e32 v8, 6, v10
	s_delay_alu instid0(VALU_DEP_1) | instskip(SKIP_1) | instid1(VALU_DEP_1)
	v_lshl_or_b32 v8, s15, 1, v8
	s_waitcnt lgkmcnt(0)
	v_cmp_gt_i32_e32 vcc_lo, s0, v8
	s_and_b32 exec_lo, exec_lo, vcc_lo
	s_cbranch_execz .LBB130_25
; %bb.8:
	s_load_b256 s[4:11], s[2:3], 0x18
	v_ashrrev_i32_e32 v9, 31, v8
	v_and_b32_e32 v41, 63, v10
	s_cmp_lg_u32 s1, 0
	s_delay_alu instid0(VALU_DEP_2) | instskip(SKIP_1) | instid1(VALU_DEP_1)
	v_lshlrev_b64 v[11:12], 2, v[8:9]
	s_waitcnt lgkmcnt(0)
	v_add_co_u32 v11, vcc_lo, s4, v11
	s_delay_alu instid0(VALU_DEP_2) | instskip(SKIP_4) | instid1(VALU_DEP_2)
	v_add_co_ci_u32_e32 v12, vcc_lo, s5, v12, vcc_lo
	global_load_b64 v[11:12], v[11:12], off
	s_waitcnt vmcnt(0)
	v_subrev_nc_u32_e32 v9, s12, v11
	v_subrev_nc_u32_e32 v31, s12, v12
	v_add_nc_u32_e32 v25, v9, v41
	s_delay_alu instid0(VALU_DEP_1)
	v_cmp_lt_i32_e64 s0, v25, v31
	s_cbranch_scc0 .LBB130_14
; %bb.9:
	v_mov_b32_e32 v11, 0
	v_mov_b32_e32 v12, 0
	s_delay_alu instid0(VALU_DEP_1)
	v_dual_mov_b32 v9, v11 :: v_dual_mov_b32 v10, v12
	v_dual_mov_b32 v20, v12 :: v_dual_mov_b32 v19, v11
	;; [unrolled: 1-line block ×7, first 2 shown]
	s_and_saveexec_b32 s1, s0
	s_cbranch_execz .LBB130_13
; %bb.10:
	v_dual_mov_b32 v11, 0 :: v_dual_mov_b32 v28, 0
	v_dual_mov_b32 v12, 0 :: v_dual_mov_b32 v29, v25
	v_mad_u64_u32 v[26:27], null, v25, 20, 16
	s_delay_alu instid0(VALU_DEP_2)
	v_dual_mov_b32 v9, v11 :: v_dual_mov_b32 v10, v12
	v_dual_mov_b32 v20, v12 :: v_dual_mov_b32 v19, v11
	;; [unrolled: 1-line block ×7, first 2 shown]
	s_mov_b32 s4, 0
.LBB130_11:                             ; =>This Inner Loop Header: Depth=1
	v_ashrrev_i32_e32 v30, 31, v29
	v_add_nc_u32_e32 v27, -16, v26
	v_mov_b32_e32 v131, v28
	s_delay_alu instid0(VALU_DEP_3) | instskip(SKIP_1) | instid1(VALU_DEP_2)
	v_lshlrev_b64 v[32:33], 2, v[29:30]
	v_add_nc_u32_e32 v29, 64, v29
	v_add_co_u32 v32, vcc_lo, s6, v32
	s_delay_alu instid0(VALU_DEP_3) | instskip(SKIP_2) | instid1(VALU_DEP_1)
	v_add_co_ci_u32_e32 v33, vcc_lo, s7, v33, vcc_lo
	global_load_b32 v30, v[32:33], off
	v_lshlrev_b64 v[32:33], 4, v[27:28]
	v_add_co_u32 v46, vcc_lo, s8, v32
	s_delay_alu instid0(VALU_DEP_2)
	v_add_co_ci_u32_e32 v47, vcc_lo, s9, v33, vcc_lo
	s_clause 0x3
	global_load_b128 v[32:35], v[46:47], off offset:48
	global_load_b128 v[36:39], v[46:47], off offset:32
	;; [unrolled: 1-line block ×3, first 2 shown]
	global_load_b128 v[46:49], v[46:47], off
	s_waitcnt vmcnt(4)
	v_subrev_nc_u32_e32 v27, s12, v30
	s_delay_alu instid0(VALU_DEP_1) | instskip(SKIP_1) | instid1(VALU_DEP_1)
	v_lshl_add_u32 v130, v27, 2, v27
	v_add_nc_u32_e32 v27, -12, v26
	v_lshlrev_b64 v[54:55], 4, v[27:28]
	s_delay_alu instid0(VALU_DEP_3) | instskip(NEXT) | instid1(VALU_DEP_1)
	v_add_nc_u32_e32 v27, 1, v130
	v_lshlrev_b64 v[70:71], 4, v[27:28]
	v_add_nc_u32_e32 v27, -8, v26
	s_delay_alu instid0(VALU_DEP_1) | instskip(SKIP_1) | instid1(VALU_DEP_1)
	v_lshlrev_b64 v[74:75], 4, v[27:28]
	v_add_nc_u32_e32 v27, 2, v130
	v_lshlrev_b64 v[76:77], 4, v[27:28]
	v_add_nc_u32_e32 v27, -4, v26
	s_delay_alu instid0(VALU_DEP_1) | instskip(SKIP_1) | instid1(VALU_DEP_1)
	v_lshlrev_b64 v[94:95], 4, v[27:28]
	v_add_nc_u32_e32 v27, 3, v130
	v_lshlrev_b64 v[96:97], 4, v[27:28]
	v_mov_b32_e32 v27, v28
	s_delay_alu instid0(VALU_DEP_1) | instskip(SKIP_3) | instid1(VALU_DEP_2)
	v_lshlrev_b64 v[114:115], 4, v[26:27]
	v_add_nc_u32_e32 v26, 0x500, v26
	v_lshlrev_b64 v[50:51], 4, v[130:131]
	v_add_nc_u32_e32 v27, 4, v130
	v_add_co_u32 v50, vcc_lo, s10, v50
	s_delay_alu instid0(VALU_DEP_3)
	v_add_co_ci_u32_e32 v51, vcc_lo, s11, v51, vcc_lo
	v_add_co_u32 v66, vcc_lo, s8, v54
	v_add_co_ci_u32_e32 v67, vcc_lo, s9, v55, vcc_lo
	global_load_b128 v[50:53], v[50:51], off
	v_add_co_u32 v70, vcc_lo, s10, v70
	v_add_co_ci_u32_e32 v71, vcc_lo, s11, v71, vcc_lo
	s_clause 0x3
	global_load_b128 v[54:57], v[66:67], off offset:48
	global_load_b128 v[58:61], v[66:67], off offset:32
	;; [unrolled: 1-line block ×3, first 2 shown]
	global_load_b128 v[66:69], v[66:67], off
	v_add_co_u32 v86, vcc_lo, s8, v74
	global_load_b128 v[70:73], v[70:71], off
	v_add_co_ci_u32_e32 v87, vcc_lo, s9, v75, vcc_lo
	v_add_co_u32 v90, vcc_lo, s10, v76
	v_add_co_ci_u32_e32 v91, vcc_lo, s11, v77, vcc_lo
	s_clause 0x3
	global_load_b128 v[74:77], v[86:87], off offset:48
	global_load_b128 v[78:81], v[86:87], off offset:32
	;; [unrolled: 1-line block ×3, first 2 shown]
	global_load_b128 v[86:89], v[86:87], off
	global_load_b128 v[90:93], v[90:91], off
	v_add_co_u32 v106, vcc_lo, s8, v94
	v_add_co_ci_u32_e32 v107, vcc_lo, s9, v95, vcc_lo
	v_add_co_u32 v110, vcc_lo, s10, v96
	v_add_co_ci_u32_e32 v111, vcc_lo, s11, v97, vcc_lo
	s_clause 0x3
	global_load_b128 v[94:97], v[106:107], off offset:48
	global_load_b128 v[98:101], v[106:107], off offset:32
	;; [unrolled: 1-line block ×3, first 2 shown]
	global_load_b128 v[106:109], v[106:107], off
	global_load_b128 v[110:113], v[110:111], off
	v_lshlrev_b64 v[130:131], 4, v[27:28]
	v_add_co_u32 v126, vcc_lo, s8, v114
	v_add_co_ci_u32_e32 v127, vcc_lo, s9, v115, vcc_lo
	s_clause 0x3
	global_load_b128 v[114:117], v[126:127], off offset:48
	global_load_b128 v[118:121], v[126:127], off offset:32
	;; [unrolled: 1-line block ×3, first 2 shown]
	global_load_b128 v[126:129], v[126:127], off
	v_add_co_u32 v130, vcc_lo, s10, v130
	v_add_co_ci_u32_e32 v131, vcc_lo, s11, v131, vcc_lo
	v_cmp_ge_i32_e32 vcc_lo, v29, v31
	global_load_b128 v[130:133], v[130:131], off
	s_or_b32 s4, vcc_lo, s4
	s_waitcnt vmcnt(20)
	v_fma_f64 v[19:20], v[46:47], v[50:51], v[19:20]
	v_fma_f64 v[11:12], v[48:49], v[50:51], v[11:12]
	v_fma_f64 v[21:22], v[42:43], v[50:51], v[21:22]
	v_fma_f64 v[23:24], v[44:45], v[50:51], v[23:24]
	v_fma_f64 v[15:16], v[36:37], v[50:51], v[15:16]
	v_fma_f64 v[17:18], v[38:39], v[50:51], v[17:18]
	v_fma_f64 v[9:10], v[32:33], v[50:51], v[9:10]
	v_fma_f64 v[13:14], v[34:35], v[50:51], v[13:14]
	v_fma_f64 v[19:20], -v[48:49], v[52:53], v[19:20]
	v_fma_f64 v[11:12], v[46:47], v[52:53], v[11:12]
	v_fma_f64 v[21:22], -v[44:45], v[52:53], v[21:22]
	v_fma_f64 v[23:24], v[42:43], v[52:53], v[23:24]
	v_fma_f64 v[15:16], -v[38:39], v[52:53], v[15:16]
	v_fma_f64 v[17:18], v[36:37], v[52:53], v[17:18]
	v_fma_f64 v[9:10], -v[34:35], v[52:53], v[9:10]
	v_fma_f64 v[13:14], v[32:33], v[52:53], v[13:14]
	s_waitcnt vmcnt(15)
	v_fma_f64 v[19:20], v[66:67], v[70:71], v[19:20]
	v_fma_f64 v[11:12], v[68:69], v[70:71], v[11:12]
	v_fma_f64 v[21:22], v[62:63], v[70:71], v[21:22]
	v_fma_f64 v[23:24], v[64:65], v[70:71], v[23:24]
	v_fma_f64 v[15:16], v[58:59], v[70:71], v[15:16]
	v_fma_f64 v[17:18], v[60:61], v[70:71], v[17:18]
	v_fma_f64 v[9:10], v[54:55], v[70:71], v[9:10]
	v_fma_f64 v[13:14], v[56:57], v[70:71], v[13:14]
	v_fma_f64 v[19:20], -v[68:69], v[72:73], v[19:20]
	v_fma_f64 v[11:12], v[66:67], v[72:73], v[11:12]
	v_fma_f64 v[21:22], -v[64:65], v[72:73], v[21:22]
	v_fma_f64 v[23:24], v[62:63], v[72:73], v[23:24]
	v_fma_f64 v[15:16], -v[60:61], v[72:73], v[15:16]
	v_fma_f64 v[17:18], v[58:59], v[72:73], v[17:18]
	v_fma_f64 v[9:10], -v[56:57], v[72:73], v[9:10]
	v_fma_f64 v[13:14], v[54:55], v[72:73], v[13:14]
	;; [unrolled: 17-line block ×5, first 2 shown]
	s_and_not1_b32 exec_lo, exec_lo, s4
	s_cbranch_execnz .LBB130_11
; %bb.12:
	s_or_b32 exec_lo, exec_lo, s4
.LBB130_13:
	s_delay_alu instid0(SALU_CYCLE_1)
	s_or_b32 exec_lo, exec_lo, s1
	s_cbranch_execz .LBB130_15
	s_branch .LBB130_20
.LBB130_14:
                                        ; implicit-def: $vgpr11_vgpr12
                                        ; implicit-def: $vgpr19_vgpr20
                                        ; implicit-def: $vgpr9_vgpr10
                                        ; implicit-def: $vgpr13_vgpr14
                                        ; implicit-def: $vgpr15_vgpr16
                                        ; implicit-def: $vgpr17_vgpr18
                                        ; implicit-def: $vgpr21_vgpr22
                                        ; implicit-def: $vgpr23_vgpr24
.LBB130_15:
	v_mov_b32_e32 v11, 0
	v_mov_b32_e32 v12, 0
	s_delay_alu instid0(VALU_DEP_1)
	v_dual_mov_b32 v9, v11 :: v_dual_mov_b32 v10, v12
	v_dual_mov_b32 v20, v12 :: v_dual_mov_b32 v19, v11
	v_dual_mov_b32 v14, v12 :: v_dual_mov_b32 v13, v11
	v_dual_mov_b32 v16, v12 :: v_dual_mov_b32 v15, v11
	v_dual_mov_b32 v18, v12 :: v_dual_mov_b32 v17, v11
	v_dual_mov_b32 v22, v12 :: v_dual_mov_b32 v21, v11
	v_dual_mov_b32 v24, v12 :: v_dual_mov_b32 v23, v11
	s_and_saveexec_b32 s1, s0
	s_cbranch_execz .LBB130_19
; %bb.16:
	v_mov_b32_e32 v11, 0
	v_dual_mov_b32 v12, 0 :: v_dual_mov_b32 v29, 0
	v_mad_u64_u32 v[27:28], null, v25, 20, 19
	s_delay_alu instid0(VALU_DEP_2)
	v_dual_mov_b32 v9, v11 :: v_dual_mov_b32 v10, v12
	v_dual_mov_b32 v20, v12 :: v_dual_mov_b32 v19, v11
	;; [unrolled: 1-line block ×7, first 2 shown]
	s_mov_b32 s0, 0
.LBB130_17:                             ; =>This Inner Loop Header: Depth=1
	v_ashrrev_i32_e32 v26, 31, v25
	v_subrev_nc_u32_e32 v28, 19, v27
	v_add_nc_u32_e32 v34, -9, v27
	v_dual_mov_b32 v35, v29 :: v_dual_add_nc_u32 v36, -4, v27
	s_delay_alu instid0(VALU_DEP_4) | instskip(NEXT) | instid1(VALU_DEP_4)
	v_lshlrev_b64 v[32:33], 2, v[25:26]
	v_lshlrev_b64 v[38:39], 4, v[28:29]
	v_mov_b32_e32 v111, v29
	v_add_nc_u32_e32 v25, 64, v25
	s_delay_alu instid0(VALU_DEP_4)
	v_add_co_u32 v32, vcc_lo, s6, v32
	v_add_co_ci_u32_e32 v33, vcc_lo, s7, v33, vcc_lo
	v_add_co_u32 v78, vcc_lo, s8, v38
	v_add_co_ci_u32_e32 v79, vcc_lo, s9, v39, vcc_lo
	global_load_b32 v26, v[32:33], off
	v_dual_mov_b32 v33, v29 :: v_dual_add_nc_u32 v32, -14, v27
	v_lshlrev_b64 v[34:35], 4, v[34:35]
	s_delay_alu instid0(VALU_DEP_2) | instskip(NEXT) | instid1(VALU_DEP_1)
	v_lshlrev_b64 v[32:33], 4, v[32:33]
	v_add_co_u32 v42, vcc_lo, s8, v32
	s_delay_alu instid0(VALU_DEP_2) | instskip(NEXT) | instid1(VALU_DEP_4)
	v_add_co_ci_u32_e32 v43, vcc_lo, s9, v33, vcc_lo
	v_add_co_u32 v46, vcc_lo, s8, v34
	v_add_co_ci_u32_e32 v47, vcc_lo, s9, v35, vcc_lo
	s_waitcnt vmcnt(0)
	v_subrev_nc_u32_e32 v26, s12, v26
	s_delay_alu instid0(VALU_DEP_1) | instskip(NEXT) | instid1(VALU_DEP_1)
	v_lshl_add_u32 v110, v26, 2, v26
	v_dual_mov_b32 v37, v29 :: v_dual_add_nc_u32 v28, 1, v110
	s_delay_alu instid0(VALU_DEP_1) | instskip(SKIP_1) | instid1(VALU_DEP_3)
	v_lshlrev_b64 v[36:37], 4, v[36:37]
	v_lshlrev_b64 v[54:55], 4, v[110:111]
	;; [unrolled: 1-line block ×3, first 2 shown]
	v_add_nc_u32_e32 v28, -13, v27
	s_delay_alu instid0(VALU_DEP_4)
	v_add_co_u32 v50, vcc_lo, s8, v36
	v_add_co_ci_u32_e32 v51, vcc_lo, s9, v37, vcc_lo
	v_add_co_u32 v54, vcc_lo, s10, v54
	v_add_co_ci_u32_e32 v55, vcc_lo, s11, v55, vcc_lo
	s_clause 0x4
	global_load_b128 v[32:35], v[78:79], off offset:16
	global_load_b128 v[36:39], v[78:79], off
	global_load_b128 v[42:45], v[42:43], off
	;; [unrolled: 1-line block ×4, first 2 shown]
	v_lshlrev_b64 v[62:63], 4, v[28:29]
	v_add_nc_u32_e32 v28, -8, v27
	global_load_b128 v[54:57], v[54:55], off
	v_add_co_u32 v58, vcc_lo, s10, v58
	v_add_co_ci_u32_e32 v59, vcc_lo, s11, v59, vcc_lo
	v_lshlrev_b64 v[64:65], 4, v[28:29]
	v_add_nc_u32_e32 v28, -3, v27
	v_add_co_u32 v62, vcc_lo, s8, v62
	global_load_b128 v[58:61], v[58:59], off
	v_add_co_ci_u32_e32 v63, vcc_lo, s9, v63, vcc_lo
	v_lshlrev_b64 v[66:67], 4, v[28:29]
	v_add_co_u32 v68, vcc_lo, s8, v64
	v_add_co_ci_u32_e32 v69, vcc_lo, s9, v65, vcc_lo
	v_mov_b32_e32 v28, v29
	s_delay_alu instid0(VALU_DEP_4)
	v_add_co_u32 v70, vcc_lo, s8, v66
	v_add_co_ci_u32_e32 v71, vcc_lo, s9, v67, vcc_lo
	s_clause 0x2
	global_load_b128 v[62:65], v[62:63], off
	global_load_b128 v[66:69], v[68:69], off
	;; [unrolled: 1-line block ×3, first 2 shown]
	v_lshlrev_b64 v[74:75], 4, v[27:28]
	v_add_nc_u32_e32 v28, 2, v110
	s_delay_alu instid0(VALU_DEP_1) | instskip(SKIP_1) | instid1(VALU_DEP_4)
	v_lshlrev_b64 v[82:83], 4, v[28:29]
	v_add_nc_u32_e32 v28, -12, v27
	v_add_co_u32 v98, vcc_lo, s8, v74
	v_add_co_ci_u32_e32 v99, vcc_lo, s9, v75, vcc_lo
	s_delay_alu instid0(VALU_DEP_3) | instskip(SKIP_3) | instid1(VALU_DEP_3)
	v_lshlrev_b64 v[86:87], 4, v[28:29]
	v_add_nc_u32_e32 v28, -7, v27
	v_add_co_u32 v82, vcc_lo, s10, v82
	v_add_co_ci_u32_e32 v83, vcc_lo, s11, v83, vcc_lo
	v_lshlrev_b64 v[88:89], 4, v[28:29]
	v_add_nc_u32_e32 v28, -2, v27
	v_add_co_u32 v86, vcc_lo, s8, v86
	v_add_co_ci_u32_e32 v87, vcc_lo, s9, v87, vcc_lo
	s_delay_alu instid0(VALU_DEP_3)
	v_lshlrev_b64 v[90:91], 4, v[28:29]
	v_add_co_u32 v92, vcc_lo, s8, v88
	v_add_co_ci_u32_e32 v93, vcc_lo, s9, v89, vcc_lo
	s_clause 0x1
	global_load_b128 v[74:77], v[78:79], off offset:48
	global_load_b128 v[78:81], v[78:79], off offset:32
	v_add_co_u32 v94, vcc_lo, s8, v90
	v_add_co_ci_u32_e32 v95, vcc_lo, s9, v91, vcc_lo
	global_load_b128 v[82:85], v[82:83], off
	s_clause 0x3
	global_load_b128 v[86:89], v[86:87], off
	global_load_b128 v[90:93], v[92:93], off
	;; [unrolled: 1-line block ×4, first 2 shown]
	v_add_nc_u32_e32 v28, 3, v110
	s_delay_alu instid0(VALU_DEP_1) | instskip(SKIP_1) | instid1(VALU_DEP_1)
	v_lshlrev_b64 v[102:103], 4, v[28:29]
	v_add_nc_u32_e32 v28, -11, v27
	v_lshlrev_b64 v[106:107], 4, v[28:29]
	v_add_nc_u32_e32 v28, -6, v27
	s_delay_alu instid0(VALU_DEP_4) | instskip(SKIP_1) | instid1(VALU_DEP_3)
	v_add_co_u32 v102, vcc_lo, s10, v102
	v_add_co_ci_u32_e32 v103, vcc_lo, s11, v103, vcc_lo
	v_lshlrev_b64 v[108:109], 4, v[28:29]
	v_add_nc_u32_e32 v28, -1, v27
	v_add_co_u32 v106, vcc_lo, s8, v106
	v_add_co_ci_u32_e32 v107, vcc_lo, s9, v107, vcc_lo
	s_delay_alu instid0(VALU_DEP_3) | instskip(SKIP_3) | instid1(VALU_DEP_3)
	v_lshlrev_b64 v[114:115], 4, v[28:29]
	v_add_nc_u32_e32 v28, -15, v27
	v_add_co_u32 v111, vcc_lo, s8, v108
	v_add_co_ci_u32_e32 v112, vcc_lo, s9, v109, vcc_lo
	v_lshlrev_b64 v[116:117], 4, v[28:29]
	v_add_co_u32 v114, vcc_lo, s8, v114
	v_add_co_ci_u32_e32 v115, vcc_lo, s9, v115, vcc_lo
	global_load_b128 v[102:105], v[102:103], off
	v_add_co_u32 v120, vcc_lo, s8, v116
	global_load_b128 v[106:109], v[106:107], off
	v_add_nc_u32_e32 v28, 4, v110
	global_load_b128 v[110:113], v[111:112], off
	v_add_co_ci_u32_e32 v121, vcc_lo, s9, v117, vcc_lo
	global_load_b128 v[114:117], v[114:115], off
	v_lshlrev_b64 v[118:119], 4, v[28:29]
	v_add_nc_u32_e32 v28, -10, v27
	s_delay_alu instid0(VALU_DEP_1) | instskip(SKIP_1) | instid1(VALU_DEP_4)
	v_lshlrev_b64 v[122:123], 4, v[28:29]
	v_add_nc_u32_e32 v28, -5, v27
	v_add_co_u32 v124, vcc_lo, s10, v118
	v_add_co_ci_u32_e32 v125, vcc_lo, s11, v119, vcc_lo
	global_load_b128 v[118:121], v[120:121], off
	v_add_co_u32 v122, vcc_lo, s8, v122
	v_add_co_ci_u32_e32 v123, vcc_lo, s9, v123, vcc_lo
	v_add_nc_u32_e32 v27, 0x500, v27
	s_waitcnt vmcnt(16)
	v_fma_f64 v[11:12], v[38:39], v[54:55], v[11:12]
	v_fma_f64 v[19:20], v[36:37], v[54:55], v[19:20]
	;; [unrolled: 1-line block ×9, first 2 shown]
	v_lshlrev_b64 v[36:37], 4, v[28:29]
	v_fma_f64 v[19:20], -v[38:39], v[56:57], v[19:20]
	v_fma_f64 v[21:22], -v[44:45], v[56:57], v[21:22]
	v_fma_f64 v[23:24], v[42:43], v[56:57], v[23:24]
	v_fma_f64 v[15:16], -v[48:49], v[56:57], v[15:16]
	v_fma_f64 v[17:18], v[46:47], v[56:57], v[17:18]
	v_add_co_u32 v126, vcc_lo, s8, v36
	v_add_co_ci_u32_e32 v127, vcc_lo, s9, v37, vcc_lo
	global_load_b128 v[36:39], v[124:125], off
	s_clause 0x1
	global_load_b128 v[42:45], v[122:123], off
	global_load_b128 v[122:125], v[126:127], off
	v_fma_f64 v[9:10], -v[52:53], v[56:57], v[9:10]
	v_fma_f64 v[13:14], v[50:51], v[56:57], v[13:14]
	v_cmp_ge_i32_e32 vcc_lo, v25, v31
	s_or_b32 s0, vcc_lo, s0
	s_waitcnt vmcnt(18)
	v_fma_f64 v[11:12], v[34:35], v[58:59], v[11:12]
	v_fma_f64 v[19:20], v[32:33], v[58:59], v[19:20]
	s_waitcnt vmcnt(17)
	v_fma_f64 v[21:22], v[62:63], v[58:59], v[21:22]
	v_fma_f64 v[23:24], v[64:65], v[58:59], v[23:24]
	s_waitcnt vmcnt(16)
	v_fma_f64 v[15:16], v[66:67], v[58:59], v[15:16]
	v_fma_f64 v[17:18], v[68:69], v[58:59], v[17:18]
	s_waitcnt vmcnt(15)
	v_fma_f64 v[9:10], v[70:71], v[58:59], v[9:10]
	v_fma_f64 v[13:14], v[72:73], v[58:59], v[13:14]
	v_fma_f64 v[11:12], v[32:33], v[60:61], v[11:12]
	v_fma_f64 v[19:20], -v[34:35], v[60:61], v[19:20]
	v_fma_f64 v[21:22], -v[64:65], v[60:61], v[21:22]
	v_fma_f64 v[23:24], v[62:63], v[60:61], v[23:24]
	v_fma_f64 v[15:16], -v[68:69], v[60:61], v[15:16]
	v_fma_f64 v[17:18], v[66:67], v[60:61], v[17:18]
	v_fma_f64 v[9:10], -v[72:73], v[60:61], v[9:10]
	v_fma_f64 v[13:14], v[70:71], v[60:61], v[13:14]
	s_waitcnt vmcnt(12)
	v_fma_f64 v[11:12], v[80:81], v[82:83], v[11:12]
	v_fma_f64 v[19:20], v[78:79], v[82:83], v[19:20]
	s_waitcnt vmcnt(11)
	v_fma_f64 v[21:22], v[86:87], v[82:83], v[21:22]
	v_fma_f64 v[23:24], v[88:89], v[82:83], v[23:24]
	s_waitcnt vmcnt(10)
	v_fma_f64 v[15:16], v[90:91], v[82:83], v[15:16]
	v_fma_f64 v[17:18], v[92:93], v[82:83], v[17:18]
	s_waitcnt vmcnt(9)
	v_fma_f64 v[9:10], v[94:95], v[82:83], v[9:10]
	v_fma_f64 v[13:14], v[96:97], v[82:83], v[13:14]
	v_fma_f64 v[11:12], v[78:79], v[84:85], v[11:12]
	v_fma_f64 v[19:20], -v[80:81], v[84:85], v[19:20]
	v_fma_f64 v[21:22], -v[88:89], v[84:85], v[21:22]
	v_fma_f64 v[23:24], v[86:87], v[84:85], v[23:24]
	v_fma_f64 v[15:16], -v[92:93], v[84:85], v[15:16]
	v_fma_f64 v[17:18], v[90:91], v[84:85], v[17:18]
	v_fma_f64 v[9:10], -v[96:97], v[84:85], v[9:10]
	v_fma_f64 v[13:14], v[94:95], v[84:85], v[13:14]
	;; [unrolled: 20-line block ×3, first 2 shown]
	s_waitcnt vmcnt(2)
	v_fma_f64 v[19:20], v[118:119], v[36:37], v[19:20]
	v_fma_f64 v[11:12], v[120:121], v[36:37], v[11:12]
	s_waitcnt vmcnt(1)
	v_fma_f64 v[21:22], v[42:43], v[36:37], v[21:22]
	v_fma_f64 v[23:24], v[44:45], v[36:37], v[23:24]
	;; [unrolled: 3-line block ×3, first 2 shown]
	v_fma_f64 v[9:10], v[98:99], v[36:37], v[9:10]
	v_fma_f64 v[13:14], v[100:101], v[36:37], v[13:14]
	v_fma_f64 v[19:20], -v[120:121], v[38:39], v[19:20]
	v_fma_f64 v[11:12], v[118:119], v[38:39], v[11:12]
	v_fma_f64 v[21:22], -v[44:45], v[38:39], v[21:22]
	;; [unrolled: 2-line block ×4, first 2 shown]
	v_fma_f64 v[13:14], v[98:99], v[38:39], v[13:14]
	s_and_not1_b32 exec_lo, exec_lo, s0
	s_cbranch_execnz .LBB130_17
; %bb.18:
	s_or_b32 exec_lo, exec_lo, s0
.LBB130_19:
	s_delay_alu instid0(SALU_CYCLE_1)
	s_or_b32 exec_lo, exec_lo, s1
.LBB130_20:
	v_mbcnt_lo_u32_b32 v44, -1, 0
	s_delay_alu instid0(VALU_DEP_1) | instskip(NEXT) | instid1(VALU_DEP_1)
	v_or_b32_e32 v25, 32, v44
	v_cmp_gt_i32_e32 vcc_lo, 32, v25
	v_cndmask_b32_e32 v25, v44, v25, vcc_lo
	s_delay_alu instid0(VALU_DEP_1)
	v_lshlrev_b32_e32 v40, 2, v25
	ds_bpermute_b32 v25, v40, v19
	ds_bpermute_b32 v26, v40, v20
	ds_bpermute_b32 v27, v40, v11
	ds_bpermute_b32 v28, v40, v12
	ds_bpermute_b32 v29, v40, v21
	ds_bpermute_b32 v30, v40, v22
	ds_bpermute_b32 v31, v40, v23
	ds_bpermute_b32 v32, v40, v24
	ds_bpermute_b32 v33, v40, v15
	ds_bpermute_b32 v34, v40, v16
	ds_bpermute_b32 v35, v40, v17
	ds_bpermute_b32 v36, v40, v18
	ds_bpermute_b32 v37, v40, v9
	ds_bpermute_b32 v38, v40, v10
	ds_bpermute_b32 v39, v40, v13
	ds_bpermute_b32 v40, v40, v14
	s_waitcnt lgkmcnt(14)
	v_add_f64 v[19:20], v[19:20], v[25:26]
	v_xor_b32_e32 v25, 16, v44
	s_waitcnt lgkmcnt(12)
	v_add_f64 v[11:12], v[11:12], v[27:28]
	s_waitcnt lgkmcnt(10)
	v_add_f64 v[21:22], v[21:22], v[29:30]
	s_waitcnt lgkmcnt(8)
	v_add_f64 v[23:24], v[23:24], v[31:32]
	v_cmp_gt_i32_e32 vcc_lo, 32, v25
	s_waitcnt lgkmcnt(6)
	v_add_f64 v[15:16], v[15:16], v[33:34]
	s_waitcnt lgkmcnt(4)
	v_add_f64 v[17:18], v[17:18], v[35:36]
	s_waitcnt lgkmcnt(2)
	v_add_f64 v[9:10], v[9:10], v[37:38]
	v_cndmask_b32_e32 v25, v44, v25, vcc_lo
	s_waitcnt lgkmcnt(0)
	v_add_f64 v[13:14], v[13:14], v[39:40]
	s_delay_alu instid0(VALU_DEP_2)
	v_lshlrev_b32_e32 v40, 2, v25
	ds_bpermute_b32 v25, v40, v19
	ds_bpermute_b32 v26, v40, v20
	ds_bpermute_b32 v27, v40, v11
	ds_bpermute_b32 v28, v40, v12
	ds_bpermute_b32 v29, v40, v21
	ds_bpermute_b32 v30, v40, v22
	ds_bpermute_b32 v31, v40, v23
	ds_bpermute_b32 v32, v40, v24
	ds_bpermute_b32 v33, v40, v15
	ds_bpermute_b32 v34, v40, v16
	ds_bpermute_b32 v35, v40, v17
	ds_bpermute_b32 v36, v40, v18
	ds_bpermute_b32 v37, v40, v9
	ds_bpermute_b32 v38, v40, v10
	ds_bpermute_b32 v39, v40, v13
	ds_bpermute_b32 v40, v40, v14
	s_waitcnt lgkmcnt(14)
	v_add_f64 v[19:20], v[19:20], v[25:26]
	v_xor_b32_e32 v25, 8, v44
	s_waitcnt lgkmcnt(12)
	v_add_f64 v[11:12], v[11:12], v[27:28]
	s_waitcnt lgkmcnt(10)
	v_add_f64 v[21:22], v[21:22], v[29:30]
	s_waitcnt lgkmcnt(8)
	v_add_f64 v[23:24], v[23:24], v[31:32]
	v_cmp_gt_i32_e32 vcc_lo, 32, v25
	s_waitcnt lgkmcnt(6)
	v_add_f64 v[15:16], v[15:16], v[33:34]
	s_waitcnt lgkmcnt(4)
	v_add_f64 v[17:18], v[17:18], v[35:36]
	s_waitcnt lgkmcnt(2)
	v_add_f64 v[9:10], v[9:10], v[37:38]
	v_cndmask_b32_e32 v25, v44, v25, vcc_lo
	s_waitcnt lgkmcnt(0)
	v_add_f64 v[13:14], v[13:14], v[39:40]
	s_delay_alu instid0(VALU_DEP_2)
	;; [unrolled: 37-line block ×3, first 2 shown]
	v_lshlrev_b32_e32 v40, 2, v25
	ds_bpermute_b32 v25, v40, v19
	ds_bpermute_b32 v26, v40, v20
	;; [unrolled: 1-line block ×16, first 2 shown]
	s_waitcnt lgkmcnt(14)
	v_add_f64 v[19:20], v[19:20], v[25:26]
	s_waitcnt lgkmcnt(12)
	v_add_f64 v[11:12], v[11:12], v[27:28]
	;; [unrolled: 2-line block ×7, first 2 shown]
	v_xor_b32_e32 v9, 2, v44
	s_waitcnt lgkmcnt(0)
	v_add_f64 v[29:30], v[13:14], v[39:40]
	s_delay_alu instid0(VALU_DEP_2) | instskip(SKIP_1) | instid1(VALU_DEP_1)
	v_cmp_gt_i32_e32 vcc_lo, 32, v9
	v_cndmask_b32_e32 v9, v44, v9, vcc_lo
	v_lshlrev_b32_e32 v23, 2, v9
	ds_bpermute_b32 v9, v23, v19
	ds_bpermute_b32 v10, v23, v20
	;; [unrolled: 1-line block ×16, first 2 shown]
	s_waitcnt lgkmcnt(14)
	v_add_f64 v[9:10], v[19:20], v[9:10]
	s_waitcnt lgkmcnt(12)
	v_add_f64 v[23:24], v[11:12], v[13:14]
	;; [unrolled: 2-line block ×4, first 2 shown]
	v_xor_b32_e32 v25, 1, v44
	s_waitcnt lgkmcnt(6)
	v_add_f64 v[13:14], v[15:16], v[35:36]
	s_waitcnt lgkmcnt(4)
	v_add_f64 v[19:20], v[17:18], v[37:38]
	;; [unrolled: 2-line block ×3, first 2 shown]
	v_cmp_gt_i32_e32 vcc_lo, 32, v25
	s_waitcnt lgkmcnt(0)
	v_add_f64 v[17:18], v[29:30], v[42:43]
	v_cndmask_b32_e32 v25, v44, v25, vcc_lo
	v_cmp_eq_u32_e32 vcc_lo, 63, v41
	s_delay_alu instid0(VALU_DEP_2)
	v_lshlrev_b32_e32 v28, 2, v25
	ds_bpermute_b32 v39, v28, v9
	ds_bpermute_b32 v40, v28, v10
	;; [unrolled: 1-line block ×16, first 2 shown]
	s_and_b32 exec_lo, exec_lo, vcc_lo
	s_cbranch_execz .LBB130_25
; %bb.21:
	v_cmp_eq_f64_e32 vcc_lo, 0, v[4:5]
	v_cmp_eq_f64_e64 s0, 0, v[6:7]
	s_waitcnt lgkmcnt(14)
	v_add_f64 v[9:10], v[9:10], v[39:40]
	s_waitcnt lgkmcnt(12)
	v_add_f64 v[23:24], v[23:24], v[37:38]
	;; [unrolled: 2-line block ×8, first 2 shown]
	s_load_b64 s[2:3], s[2:3], 0x48
	s_and_b32 s0, vcc_lo, s0
	s_delay_alu instid0(SALU_CYCLE_1) | instskip(NEXT) | instid1(SALU_CYCLE_1)
	s_and_saveexec_b32 s1, s0
	s_xor_b32 s0, exec_lo, s1
	s_cbranch_execz .LBB130_23
; %bb.22:
	v_mul_f64 v[4:5], v[23:24], -v[2:3]
	v_mul_f64 v[6:7], v[0:1], v[23:24]
	v_mul_f64 v[23:24], v[21:22], -v[2:3]
	v_mul_f64 v[21:22], v[0:1], v[21:22]
	;; [unrolled: 2-line block ×4, first 2 shown]
	v_fma_f64 v[4:5], v[0:1], v[9:10], v[4:5]
	v_fma_f64 v[6:7], v[2:3], v[9:10], v[6:7]
	;; [unrolled: 1-line block ×8, first 2 shown]
	v_lshlrev_b32_e32 v13, 2, v8
                                        ; implicit-def: $vgpr8
                                        ; implicit-def: $vgpr23_vgpr24
                                        ; implicit-def: $vgpr21_vgpr22
                                        ; implicit-def: $vgpr15_vgpr16
	s_delay_alu instid0(VALU_DEP_1) | instskip(NEXT) | instid1(VALU_DEP_1)
	v_ashrrev_i32_e32 v14, 31, v13
	v_lshlrev_b64 v[13:14], 4, v[13:14]
	s_waitcnt lgkmcnt(0)
	s_delay_alu instid0(VALU_DEP_1) | instskip(NEXT) | instid1(VALU_DEP_2)
	v_add_co_u32 v13, vcc_lo, s2, v13
	v_add_co_ci_u32_e32 v14, vcc_lo, s3, v14, vcc_lo
	s_clause 0x3
	global_store_b128 v[13:14], v[4:7], off
	global_store_b128 v[13:14], v[9:12], off offset:16
	global_store_b128 v[13:14], v[17:20], off offset:32
	;; [unrolled: 1-line block ×3, first 2 shown]
                                        ; implicit-def: $vgpr0_vgpr1
                                        ; implicit-def: $vgpr2_vgpr3
                                        ; implicit-def: $vgpr4_vgpr5
                                        ; implicit-def: $vgpr6_vgpr7
                                        ; implicit-def: $vgpr9_vgpr10
                                        ; implicit-def: $vgpr11_vgpr12
                                        ; implicit-def: $vgpr13_vgpr14
                                        ; implicit-def: $vgpr19_vgpr20
                                        ; implicit-def: $vgpr17_vgpr18
.LBB130_23:
	s_and_not1_saveexec_b32 s0, s0
	s_cbranch_execz .LBB130_25
; %bb.24:
	v_lshlrev_b32_e32 v25, 2, v8
	v_mul_f64 v[43:44], v[23:24], -v[2:3]
	v_mul_f64 v[23:24], v[0:1], v[23:24]
	v_mul_f64 v[45:46], v[21:22], -v[2:3]
	v_mul_f64 v[21:22], v[0:1], v[21:22]
	v_ashrrev_i32_e32 v26, 31, v25
	v_mul_f64 v[47:48], v[19:20], -v[2:3]
	v_mul_f64 v[19:20], v[0:1], v[19:20]
	v_mul_f64 v[49:50], v[17:18], -v[2:3]
	v_mul_f64 v[17:18], v[0:1], v[17:18]
	v_lshlrev_b64 v[25:26], 4, v[25:26]
	s_waitcnt lgkmcnt(0)
	s_delay_alu instid0(VALU_DEP_1) | instskip(NEXT) | instid1(VALU_DEP_2)
	v_add_co_u32 v41, vcc_lo, s2, v25
	v_add_co_ci_u32_e32 v42, vcc_lo, s3, v26, vcc_lo
	s_clause 0x3
	global_load_b128 v[25:28], v[41:42], off
	global_load_b128 v[29:32], v[41:42], off offset:16
	global_load_b128 v[33:36], v[41:42], off offset:32
	;; [unrolled: 1-line block ×3, first 2 shown]
	v_fma_f64 v[43:44], v[0:1], v[9:10], v[43:44]
	v_fma_f64 v[8:9], v[2:3], v[9:10], v[23:24]
	;; [unrolled: 1-line block ×8, first 2 shown]
	s_waitcnt vmcnt(3)
	v_fma_f64 v[14:15], v[4:5], v[25:26], v[43:44]
	v_fma_f64 v[8:9], v[6:7], v[25:26], v[8:9]
	s_waitcnt vmcnt(2)
	v_fma_f64 v[16:17], v[4:5], v[29:30], v[23:24]
	v_fma_f64 v[10:11], v[6:7], v[29:30], v[10:11]
	;; [unrolled: 3-line block ×4, first 2 shown]
	v_fma_f64 v[0:1], -v[6:7], v[27:28], v[14:15]
	v_fma_f64 v[2:3], v[4:5], v[27:28], v[8:9]
	v_fma_f64 v[8:9], -v[6:7], v[31:32], v[16:17]
	v_fma_f64 v[10:11], v[4:5], v[31:32], v[10:11]
	;; [unrolled: 2-line block ×4, first 2 shown]
	s_clause 0x3
	global_store_b128 v[41:42], v[0:3], off
	global_store_b128 v[41:42], v[8:11], off offset:16
	global_store_b128 v[41:42], v[12:15], off offset:32
	;; [unrolled: 1-line block ×3, first 2 shown]
.LBB130_25:
	s_nop 0
	s_sendmsg sendmsg(MSG_DEALLOC_VGPRS)
	s_endpgm
	.section	.rodata,"a",@progbits
	.p2align	6, 0x0
	.amdhsa_kernel _ZN9rocsparseL19gebsrmvn_4xn_kernelILj128ELj5ELj64E21rocsparse_complex_numIdEEEvi20rocsparse_direction_NS_24const_host_device_scalarIT2_EEPKiS8_PKS5_SA_S6_PS5_21rocsparse_index_base_b
		.amdhsa_group_segment_fixed_size 2048
		.amdhsa_private_segment_fixed_size 0
		.amdhsa_kernarg_size 88
		.amdhsa_user_sgpr_count 15
		.amdhsa_user_sgpr_dispatch_ptr 1
		.amdhsa_user_sgpr_queue_ptr 0
		.amdhsa_user_sgpr_kernarg_segment_ptr 1
		.amdhsa_user_sgpr_dispatch_id 0
		.amdhsa_user_sgpr_private_segment_size 0
		.amdhsa_wavefront_size32 1
		.amdhsa_uses_dynamic_stack 0
		.amdhsa_enable_private_segment 0
		.amdhsa_system_sgpr_workgroup_id_x 1
		.amdhsa_system_sgpr_workgroup_id_y 0
		.amdhsa_system_sgpr_workgroup_id_z 0
		.amdhsa_system_sgpr_workgroup_info 0
		.amdhsa_system_vgpr_workitem_id 2
		.amdhsa_next_free_vgpr 134
		.amdhsa_next_free_sgpr 18
		.amdhsa_reserve_vcc 1
		.amdhsa_float_round_mode_32 0
		.amdhsa_float_round_mode_16_64 0
		.amdhsa_float_denorm_mode_32 3
		.amdhsa_float_denorm_mode_16_64 3
		.amdhsa_dx10_clamp 1
		.amdhsa_ieee_mode 1
		.amdhsa_fp16_overflow 0
		.amdhsa_workgroup_processor_mode 1
		.amdhsa_memory_ordered 1
		.amdhsa_forward_progress 0
		.amdhsa_shared_vgpr_count 0
		.amdhsa_exception_fp_ieee_invalid_op 0
		.amdhsa_exception_fp_denorm_src 0
		.amdhsa_exception_fp_ieee_div_zero 0
		.amdhsa_exception_fp_ieee_overflow 0
		.amdhsa_exception_fp_ieee_underflow 0
		.amdhsa_exception_fp_ieee_inexact 0
		.amdhsa_exception_int_div_zero 0
	.end_amdhsa_kernel
	.section	.text._ZN9rocsparseL19gebsrmvn_4xn_kernelILj128ELj5ELj64E21rocsparse_complex_numIdEEEvi20rocsparse_direction_NS_24const_host_device_scalarIT2_EEPKiS8_PKS5_SA_S6_PS5_21rocsparse_index_base_b,"axG",@progbits,_ZN9rocsparseL19gebsrmvn_4xn_kernelILj128ELj5ELj64E21rocsparse_complex_numIdEEEvi20rocsparse_direction_NS_24const_host_device_scalarIT2_EEPKiS8_PKS5_SA_S6_PS5_21rocsparse_index_base_b,comdat
.Lfunc_end130:
	.size	_ZN9rocsparseL19gebsrmvn_4xn_kernelILj128ELj5ELj64E21rocsparse_complex_numIdEEEvi20rocsparse_direction_NS_24const_host_device_scalarIT2_EEPKiS8_PKS5_SA_S6_PS5_21rocsparse_index_base_b, .Lfunc_end130-_ZN9rocsparseL19gebsrmvn_4xn_kernelILj128ELj5ELj64E21rocsparse_complex_numIdEEEvi20rocsparse_direction_NS_24const_host_device_scalarIT2_EEPKiS8_PKS5_SA_S6_PS5_21rocsparse_index_base_b
                                        ; -- End function
	.section	.AMDGPU.csdata,"",@progbits
; Kernel info:
; codeLenInByte = 5788
; NumSgprs: 20
; NumVgprs: 134
; ScratchSize: 0
; MemoryBound: 0
; FloatMode: 240
; IeeeMode: 1
; LDSByteSize: 2048 bytes/workgroup (compile time only)
; SGPRBlocks: 2
; VGPRBlocks: 16
; NumSGPRsForWavesPerEU: 20
; NumVGPRsForWavesPerEU: 134
; Occupancy: 10
; WaveLimiterHint : 1
; COMPUTE_PGM_RSRC2:SCRATCH_EN: 0
; COMPUTE_PGM_RSRC2:USER_SGPR: 15
; COMPUTE_PGM_RSRC2:TRAP_HANDLER: 0
; COMPUTE_PGM_RSRC2:TGID_X_EN: 1
; COMPUTE_PGM_RSRC2:TGID_Y_EN: 0
; COMPUTE_PGM_RSRC2:TGID_Z_EN: 0
; COMPUTE_PGM_RSRC2:TIDIG_COMP_CNT: 2
	.section	.text._ZN9rocsparseL19gebsrmvn_4xn_kernelILj128ELj6ELj4E21rocsparse_complex_numIdEEEvi20rocsparse_direction_NS_24const_host_device_scalarIT2_EEPKiS8_PKS5_SA_S6_PS5_21rocsparse_index_base_b,"axG",@progbits,_ZN9rocsparseL19gebsrmvn_4xn_kernelILj128ELj6ELj4E21rocsparse_complex_numIdEEEvi20rocsparse_direction_NS_24const_host_device_scalarIT2_EEPKiS8_PKS5_SA_S6_PS5_21rocsparse_index_base_b,comdat
	.globl	_ZN9rocsparseL19gebsrmvn_4xn_kernelILj128ELj6ELj4E21rocsparse_complex_numIdEEEvi20rocsparse_direction_NS_24const_host_device_scalarIT2_EEPKiS8_PKS5_SA_S6_PS5_21rocsparse_index_base_b ; -- Begin function _ZN9rocsparseL19gebsrmvn_4xn_kernelILj128ELj6ELj4E21rocsparse_complex_numIdEEEvi20rocsparse_direction_NS_24const_host_device_scalarIT2_EEPKiS8_PKS5_SA_S6_PS5_21rocsparse_index_base_b
	.p2align	8
	.type	_ZN9rocsparseL19gebsrmvn_4xn_kernelILj128ELj6ELj4E21rocsparse_complex_numIdEEEvi20rocsparse_direction_NS_24const_host_device_scalarIT2_EEPKiS8_PKS5_SA_S6_PS5_21rocsparse_index_base_b,@function
_ZN9rocsparseL19gebsrmvn_4xn_kernelILj128ELj6ELj4E21rocsparse_complex_numIdEEEvi20rocsparse_direction_NS_24const_host_device_scalarIT2_EEPKiS8_PKS5_SA_S6_PS5_21rocsparse_index_base_b: ; @_ZN9rocsparseL19gebsrmvn_4xn_kernelILj128ELj6ELj4E21rocsparse_complex_numIdEEEvi20rocsparse_direction_NS_24const_host_device_scalarIT2_EEPKiS8_PKS5_SA_S6_PS5_21rocsparse_index_base_b
; %bb.0:
	s_load_b64 s[12:13], s[2:3], 0x50
	s_load_b64 s[16:17], s[0:1], 0x4
	s_load_b128 s[8:11], s[2:3], 0x8
	v_bfe_u32 v1, v0, 10, 10
	s_mov_b64 s[0:1], src_shared_base
	s_load_b128 s[4:7], s[2:3], 0x38
	v_and_b32_e32 v10, 0x3ff, v0
	v_bfe_u32 v0, v0, 20, 10
	s_waitcnt lgkmcnt(0)
	s_bitcmp1_b32 s13, 0
	v_mul_u32_u24_e32 v1, s17, v1
	s_cselect_b32 s0, -1, 0
	s_delay_alu instid0(SALU_CYCLE_1)
	s_and_b32 vcc_lo, s0, exec_lo
	s_cselect_b32 s13, s1, s9
	s_lshr_b32 s14, s16, 16
	v_dual_mov_b32 v2, s4 :: v_dual_mov_b32 v3, s5
	s_mul_i32 s14, s14, s17
	v_mov_b32_e32 v6, s13
	v_mad_u32_u24 v1, s14, v10, v1
	s_delay_alu instid0(VALU_DEP_1) | instskip(SKIP_1) | instid1(VALU_DEP_2)
	v_add_lshl_u32 v4, v1, v0, 3
	v_dual_mov_b32 v0, s8 :: v_dual_mov_b32 v1, s9
	v_add_nc_u32_e32 v5, 0x400, v4
	ds_store_2addr_stride64_b64 v4, v[2:3], v[0:1] offset1:2
	v_dual_mov_b32 v2, s10 :: v_dual_mov_b32 v3, s11
	v_cndmask_b32_e64 v5, s8, v5, s0
	s_xor_b32 s10, s0, -1
	flat_load_b64 v[0:1], v[5:6]
	s_cbranch_vccnz .LBB131_2
; %bb.1:
	v_dual_mov_b32 v2, s8 :: v_dual_mov_b32 v3, s9
	flat_load_b64 v[2:3], v[2:3] offset:8
.LBB131_2:
	s_and_b32 s8, s0, exec_lo
	s_cselect_b32 s1, s1, s5
	v_cndmask_b32_e64 v4, s4, v4, s0
	v_dual_mov_b32 v5, s1 :: v_dual_mov_b32 v6, s6
	v_mov_b32_e32 v7, s7
	s_and_not1_b32 vcc_lo, exec_lo, s10
	flat_load_b64 v[4:5], v[4:5]
	s_cbranch_vccnz .LBB131_4
; %bb.3:
	v_dual_mov_b32 v7, s5 :: v_dual_mov_b32 v6, s4
	flat_load_b64 v[6:7], v[6:7] offset:8
.LBB131_4:
	s_waitcnt vmcnt(1) lgkmcnt(1)
	v_cmp_eq_f64_e32 vcc_lo, 0, v[0:1]
	v_cmp_eq_f64_e64 s0, 0, v[2:3]
	s_delay_alu instid0(VALU_DEP_1)
	s_and_b32 s4, vcc_lo, s0
	s_mov_b32 s0, -1
	s_and_saveexec_b32 s1, s4
	s_cbranch_execz .LBB131_6
; %bb.5:
	s_waitcnt vmcnt(0) lgkmcnt(0)
	v_cmp_neq_f64_e32 vcc_lo, 1.0, v[4:5]
	v_cmp_neq_f64_e64 s0, 0, v[6:7]
	s_delay_alu instid0(VALU_DEP_1) | instskip(NEXT) | instid1(SALU_CYCLE_1)
	s_or_b32 s0, vcc_lo, s0
	s_or_not1_b32 s0, s0, exec_lo
.LBB131_6:
	s_or_b32 exec_lo, exec_lo, s1
	s_and_saveexec_b32 s1, s0
	s_cbranch_execz .LBB131_29
; %bb.7:
	s_load_b64 s[0:1], s[2:3], 0x0
	v_lshrrev_b32_e32 v8, 2, v10
	s_delay_alu instid0(VALU_DEP_1) | instskip(SKIP_1) | instid1(VALU_DEP_1)
	v_lshl_or_b32 v8, s15, 5, v8
	s_waitcnt lgkmcnt(0)
	v_cmp_gt_i32_e32 vcc_lo, s0, v8
	s_and_b32 exec_lo, exec_lo, vcc_lo
	s_cbranch_execz .LBB131_29
; %bb.8:
	s_load_b256 s[4:11], s[2:3], 0x18
	v_ashrrev_i32_e32 v9, 31, v8
	v_and_b32_e32 v41, 3, v10
	s_cmp_lg_u32 s1, 0
	s_delay_alu instid0(VALU_DEP_2) | instskip(SKIP_1) | instid1(VALU_DEP_1)
	v_lshlrev_b64 v[11:12], 2, v[8:9]
	s_waitcnt lgkmcnt(0)
	v_add_co_u32 v11, vcc_lo, s4, v11
	s_delay_alu instid0(VALU_DEP_2) | instskip(SKIP_4) | instid1(VALU_DEP_2)
	v_add_co_ci_u32_e32 v12, vcc_lo, s5, v12, vcc_lo
	global_load_b64 v[11:12], v[11:12], off
	s_waitcnt vmcnt(0)
	v_subrev_nc_u32_e32 v9, s12, v11
	v_subrev_nc_u32_e32 v32, s12, v12
	v_add_nc_u32_e32 v9, v9, v41
	s_delay_alu instid0(VALU_DEP_1)
	v_cmp_lt_i32_e64 s0, v9, v32
	s_cbranch_scc0 .LBB131_16
; %bb.9:
	v_mov_b32_e32 v11, 0
	v_mov_b32_e32 v12, 0
	s_delay_alu instid0(VALU_DEP_1)
	v_dual_mov_b32 v18, v12 :: v_dual_mov_b32 v17, v11
	v_dual_mov_b32 v14, v12 :: v_dual_mov_b32 v13, v11
	;; [unrolled: 1-line block ×7, first 2 shown]
	s_and_saveexec_b32 s1, s0
	s_cbranch_execz .LBB131_15
; %bb.10:
	v_dual_mov_b32 v11, 0 :: v_dual_mov_b32 v28, 0
	v_dual_mov_b32 v12, 0 :: v_dual_mov_b32 v29, v9
	v_mul_lo_u32 v10, v9, 24
	s_mov_b32 s4, 0
	s_delay_alu instid0(VALU_DEP_2)
	v_dual_mov_b32 v18, v12 :: v_dual_mov_b32 v17, v11
	v_dual_mov_b32 v14, v12 :: v_dual_mov_b32 v13, v11
	;; [unrolled: 1-line block ×7, first 2 shown]
.LBB131_11:                             ; =>This Loop Header: Depth=1
                                        ;     Child Loop BB131_12 Depth 2
	v_ashrrev_i32_e32 v30, 31, v29
	s_mov_b32 s5, 0
	s_delay_alu instid0(VALU_DEP_1) | instskip(NEXT) | instid1(VALU_DEP_1)
	v_lshlrev_b64 v[30:31], 2, v[29:30]
	v_add_co_u32 v30, vcc_lo, s6, v30
	s_delay_alu instid0(VALU_DEP_2) | instskip(SKIP_3) | instid1(VALU_DEP_1)
	v_add_co_ci_u32_e32 v31, vcc_lo, s7, v31, vcc_lo
	global_load_b32 v27, v[30:31], off
	s_waitcnt vmcnt(0)
	v_subrev_nc_u32_e32 v27, s12, v27
	v_mul_lo_u32 v30, v27, 6
	v_mov_b32_e32 v27, v10
.LBB131_12:                             ;   Parent Loop BB131_11 Depth=1
                                        ; =>  This Inner Loop Header: Depth=2
	s_delay_alu instid0(VALU_DEP_2) | instskip(NEXT) | instid1(VALU_DEP_2)
	v_dual_mov_b32 v34, v28 :: v_dual_add_nc_u32 v33, s5, v30
	v_lshlrev_b64 v[35:36], 4, v[27:28]
	v_dual_mov_b32 v59, v28 :: v_dual_add_nc_u32 v58, 4, v27
	v_add_nc_u32_e32 v27, 8, v27
	s_delay_alu instid0(VALU_DEP_4) | instskip(SKIP_1) | instid1(VALU_DEP_4)
	v_lshlrev_b64 v[33:34], 4, v[33:34]
	s_add_i32 s5, s5, 2
	v_add_co_u32 v46, vcc_lo, s8, v35
	v_add_co_ci_u32_e32 v47, vcc_lo, s9, v36, vcc_lo
	s_delay_alu instid0(VALU_DEP_3) | instskip(NEXT) | instid1(VALU_DEP_4)
	v_add_co_u32 v54, vcc_lo, s10, v33
	v_add_co_ci_u32_e32 v55, vcc_lo, s11, v34, vcc_lo
	s_clause 0x3
	global_load_b128 v[33:36], v[46:47], off offset:48
	global_load_b128 v[37:40], v[46:47], off offset:32
	;; [unrolled: 1-line block ×3, first 2 shown]
	global_load_b128 v[46:49], v[46:47], off
	s_clause 0x1
	global_load_b128 v[50:53], v[54:55], off
	global_load_b128 v[54:57], v[54:55], off offset:16
	v_lshlrev_b64 v[58:59], 4, v[58:59]
	s_cmp_eq_u32 s5, 6
	s_delay_alu instid0(VALU_DEP_1) | instskip(NEXT) | instid1(VALU_DEP_2)
	v_add_co_u32 v70, vcc_lo, s8, v58
	v_add_co_ci_u32_e32 v71, vcc_lo, s9, v59, vcc_lo
	s_clause 0x3
	global_load_b128 v[58:61], v[70:71], off
	global_load_b128 v[62:65], v[70:71], off offset:16
	global_load_b128 v[66:69], v[70:71], off offset:32
	;; [unrolled: 1-line block ×3, first 2 shown]
	s_waitcnt vmcnt(5)
	v_fma_f64 v[17:18], v[46:47], v[50:51], v[17:18]
	v_fma_f64 v[11:12], v[48:49], v[50:51], v[11:12]
	;; [unrolled: 1-line block ×8, first 2 shown]
	v_fma_f64 v[17:18], -v[48:49], v[52:53], v[17:18]
	v_fma_f64 v[11:12], v[46:47], v[52:53], v[11:12]
	v_fma_f64 v[23:24], -v[44:45], v[52:53], v[23:24]
	v_fma_f64 v[25:26], v[42:43], v[52:53], v[25:26]
	;; [unrolled: 2-line block ×4, first 2 shown]
	s_waitcnt vmcnt(3)
	v_fma_f64 v[17:18], v[58:59], v[54:55], v[17:18]
	v_fma_f64 v[11:12], v[60:61], v[54:55], v[11:12]
	s_waitcnt vmcnt(2)
	v_fma_f64 v[23:24], v[62:63], v[54:55], v[23:24]
	v_fma_f64 v[25:26], v[64:65], v[54:55], v[25:26]
	;; [unrolled: 3-line block ×4, first 2 shown]
	v_fma_f64 v[17:18], -v[60:61], v[56:57], v[17:18]
	v_fma_f64 v[11:12], v[58:59], v[56:57], v[11:12]
	v_fma_f64 v[23:24], -v[64:65], v[56:57], v[23:24]
	v_fma_f64 v[25:26], v[62:63], v[56:57], v[25:26]
	;; [unrolled: 2-line block ×4, first 2 shown]
	s_cbranch_scc0 .LBB131_12
; %bb.13:                               ;   in Loop: Header=BB131_11 Depth=1
	v_add_nc_u32_e32 v29, 4, v29
	v_add_nc_u32_e32 v10, 0x60, v10
	s_delay_alu instid0(VALU_DEP_2) | instskip(SKIP_1) | instid1(SALU_CYCLE_1)
	v_cmp_ge_i32_e32 vcc_lo, v29, v32
	s_or_b32 s4, vcc_lo, s4
	s_and_not1_b32 exec_lo, exec_lo, s4
	s_cbranch_execnz .LBB131_11
; %bb.14:
	s_or_b32 exec_lo, exec_lo, s4
.LBB131_15:
	s_delay_alu instid0(SALU_CYCLE_1)
	s_or_b32 exec_lo, exec_lo, s1
	s_cbranch_execz .LBB131_17
	s_branch .LBB131_24
.LBB131_16:
                                        ; implicit-def: $vgpr11_vgpr12
                                        ; implicit-def: $vgpr17_vgpr18
                                        ; implicit-def: $vgpr13_vgpr14
                                        ; implicit-def: $vgpr15_vgpr16
                                        ; implicit-def: $vgpr19_vgpr20
                                        ; implicit-def: $vgpr21_vgpr22
                                        ; implicit-def: $vgpr23_vgpr24
                                        ; implicit-def: $vgpr25_vgpr26
.LBB131_17:
	v_mov_b32_e32 v11, 0
	v_mov_b32_e32 v12, 0
	s_delay_alu instid0(VALU_DEP_1)
	v_dual_mov_b32 v18, v12 :: v_dual_mov_b32 v17, v11
	v_dual_mov_b32 v14, v12 :: v_dual_mov_b32 v13, v11
	;; [unrolled: 1-line block ×7, first 2 shown]
	s_and_saveexec_b32 s1, s0
	s_cbranch_execz .LBB131_23
; %bb.18:
	v_mov_b32_e32 v11, 0
	v_dual_mov_b32 v12, 0 :: v_dual_mov_b32 v29, 0
	v_mul_lo_u32 v27, v9, 24
	s_add_u32 s0, s8, 16
	s_addc_u32 s5, s9, 0
	s_delay_alu instid0(VALU_DEP_2)
	v_dual_mov_b32 v18, v12 :: v_dual_mov_b32 v17, v11
	v_dual_mov_b32 v14, v12 :: v_dual_mov_b32 v13, v11
	;; [unrolled: 1-line block ×7, first 2 shown]
	s_mov_b32 s4, 0
.LBB131_19:                             ; =>This Loop Header: Depth=1
                                        ;     Child Loop BB131_20 Depth 2
	v_ashrrev_i32_e32 v10, 31, v9
	v_mov_b32_e32 v28, v29
	s_mov_b32 s13, 0
	s_delay_alu instid0(VALU_DEP_2) | instskip(NEXT) | instid1(VALU_DEP_1)
	v_lshlrev_b64 v[30:31], 2, v[9:10]
	v_add_co_u32 v30, vcc_lo, s6, v30
	s_delay_alu instid0(VALU_DEP_2) | instskip(SKIP_2) | instid1(VALU_DEP_1)
	v_add_co_ci_u32_e32 v31, vcc_lo, s7, v31, vcc_lo
	global_load_b32 v10, v[30:31], off
	v_lshlrev_b64 v[30:31], 4, v[27:28]
	v_add_co_u32 v30, vcc_lo, s0, v30
	s_delay_alu instid0(VALU_DEP_2) | instskip(SKIP_2) | instid1(VALU_DEP_1)
	v_add_co_ci_u32_e32 v31, vcc_lo, s5, v31, vcc_lo
	s_waitcnt vmcnt(0)
	v_subrev_nc_u32_e32 v10, s12, v10
	v_mul_lo_u32 v10, v10, 6
.LBB131_20:                             ;   Parent Loop BB131_19 Depth=1
                                        ; =>  This Inner Loop Header: Depth=2
	s_delay_alu instid0(VALU_DEP_1)
	v_add_nc_u32_e32 v28, s13, v10
	v_add_nc_u32_e32 v48, s13, v27
	s_clause 0x1
	global_load_b128 v[33:36], v[30:31], off
	global_load_b128 v[37:40], v[30:31], off offset:-16
	s_add_i32 s13, s13, 2
	s_delay_alu instid0(SALU_CYCLE_1) | instskip(SKIP_2) | instid1(VALU_DEP_1)
	s_cmp_eq_u32 s13, 6
	v_lshlrev_b64 v[42:43], 4, v[28:29]
	v_add_nc_u32_e32 v28, 6, v48
	v_lshlrev_b64 v[44:45], 4, v[28:29]
	v_add_nc_u32_e32 v28, 12, v48
	s_delay_alu instid0(VALU_DEP_4) | instskip(SKIP_1) | instid1(VALU_DEP_3)
	v_add_co_u32 v46, vcc_lo, s10, v42
	v_add_co_ci_u32_e32 v47, vcc_lo, s11, v43, vcc_lo
	v_lshlrev_b64 v[54:55], 4, v[28:29]
	v_add_nc_u32_e32 v28, 18, v48
	v_add_co_u32 v56, vcc_lo, s8, v44
	v_add_co_ci_u32_e32 v57, vcc_lo, s9, v45, vcc_lo
	s_delay_alu instid0(VALU_DEP_3)
	v_lshlrev_b64 v[58:59], 4, v[28:29]
	v_add_co_u32 v62, vcc_lo, s8, v54
	v_add_co_ci_u32_e32 v63, vcc_lo, s9, v55, vcc_lo
	s_clause 0x1
	global_load_b128 v[42:45], v[46:47], off offset:16
	global_load_b128 v[46:49], v[46:47], off
	v_add_co_u32 v70, vcc_lo, s8, v58
	v_add_co_ci_u32_e32 v71, vcc_lo, s9, v59, vcc_lo
	s_clause 0x5
	global_load_b128 v[50:53], v[56:57], off
	global_load_b128 v[54:57], v[56:57], off offset:16
	global_load_b128 v[58:61], v[62:63], off
	global_load_b128 v[62:65], v[62:63], off offset:16
	global_load_b128 v[66:69], v[70:71], off
	global_load_b128 v[70:73], v[70:71], off offset:16
	v_add_co_u32 v30, vcc_lo, v30, 32
	v_add_co_ci_u32_e32 v31, vcc_lo, 0, v31, vcc_lo
	s_waitcnt vmcnt(6)
	v_fma_f64 v[17:18], v[37:38], v[46:47], v[17:18]
	v_fma_f64 v[11:12], v[39:40], v[46:47], v[11:12]
	s_waitcnt vmcnt(3)
	v_fma_f64 v[19:20], v[58:59], v[46:47], v[19:20]
	v_fma_f64 v[21:22], v[60:61], v[46:47], v[21:22]
	;; [unrolled: 1-line block ×4, first 2 shown]
	s_waitcnt vmcnt(1)
	v_fma_f64 v[13:14], v[66:67], v[46:47], v[13:14]
	v_fma_f64 v[15:16], v[68:69], v[46:47], v[15:16]
	v_fma_f64 v[17:18], -v[39:40], v[48:49], v[17:18]
	v_fma_f64 v[11:12], v[37:38], v[48:49], v[11:12]
	v_fma_f64 v[19:20], -v[60:61], v[48:49], v[19:20]
	;; [unrolled: 2-line block ×4, first 2 shown]
	v_fma_f64 v[15:16], v[66:67], v[48:49], v[15:16]
	v_fma_f64 v[17:18], v[33:34], v[42:43], v[17:18]
	;; [unrolled: 1-line block ×7, first 2 shown]
	s_waitcnt vmcnt(0)
	v_fma_f64 v[13:14], v[70:71], v[42:43], v[13:14]
	v_fma_f64 v[15:16], v[72:73], v[42:43], v[15:16]
	v_fma_f64 v[17:18], -v[35:36], v[44:45], v[17:18]
	v_fma_f64 v[11:12], v[33:34], v[44:45], v[11:12]
	v_fma_f64 v[19:20], -v[64:65], v[44:45], v[19:20]
	;; [unrolled: 2-line block ×4, first 2 shown]
	v_fma_f64 v[15:16], v[70:71], v[44:45], v[15:16]
	s_cbranch_scc0 .LBB131_20
; %bb.21:                               ;   in Loop: Header=BB131_19 Depth=1
	v_add_nc_u32_e32 v9, 4, v9
	v_add_nc_u32_e32 v27, 0x60, v27
	s_delay_alu instid0(VALU_DEP_2) | instskip(SKIP_1) | instid1(SALU_CYCLE_1)
	v_cmp_ge_i32_e32 vcc_lo, v9, v32
	s_or_b32 s4, vcc_lo, s4
	s_and_not1_b32 exec_lo, exec_lo, s4
	s_cbranch_execnz .LBB131_19
; %bb.22:
	s_or_b32 exec_lo, exec_lo, s4
.LBB131_23:
	s_delay_alu instid0(SALU_CYCLE_1)
	s_or_b32 exec_lo, exec_lo, s1
.LBB131_24:
	v_mbcnt_lo_u32_b32 v44, -1, 0
	s_delay_alu instid0(VALU_DEP_1) | instskip(NEXT) | instid1(VALU_DEP_1)
	v_xor_b32_e32 v9, 2, v44
	v_cmp_gt_i32_e32 vcc_lo, 32, v9
	v_cndmask_b32_e32 v9, v44, v9, vcc_lo
	s_delay_alu instid0(VALU_DEP_1)
	v_lshlrev_b32_e32 v31, 2, v9
	ds_bpermute_b32 v9, v31, v17
	ds_bpermute_b32 v10, v31, v18
	;; [unrolled: 1-line block ×16, first 2 shown]
	s_waitcnt lgkmcnt(14)
	v_add_f64 v[9:10], v[17:18], v[9:10]
	s_waitcnt lgkmcnt(12)
	v_add_f64 v[31:32], v[11:12], v[27:28]
	;; [unrolled: 2-line block ×7, first 2 shown]
	v_xor_b32_e32 v13, 1, v44
	s_waitcnt lgkmcnt(0)
	v_add_f64 v[25:26], v[15:16], v[42:43]
	s_delay_alu instid0(VALU_DEP_2) | instskip(SKIP_2) | instid1(VALU_DEP_2)
	v_cmp_gt_i32_e32 vcc_lo, 32, v13
	v_cndmask_b32_e32 v13, v44, v13, vcc_lo
	v_cmp_eq_u32_e32 vcc_lo, 3, v41
	v_lshlrev_b32_e32 v34, 2, v13
	ds_bpermute_b32 v39, v34, v9
	ds_bpermute_b32 v40, v34, v10
	ds_bpermute_b32 v23, v34, v31
	ds_bpermute_b32 v24, v34, v32
	ds_bpermute_b32 v37, v34, v11
	ds_bpermute_b32 v38, v34, v12
	ds_bpermute_b32 v21, v34, v29
	ds_bpermute_b32 v22, v34, v30
	ds_bpermute_b32 v13, v34, v27
	ds_bpermute_b32 v14, v34, v28
	ds_bpermute_b32 v35, v34, v19
	ds_bpermute_b32 v36, v34, v20
	ds_bpermute_b32 v15, v34, v17
	ds_bpermute_b32 v16, v34, v18
	ds_bpermute_b32 v33, v34, v25
	ds_bpermute_b32 v34, v34, v26
	s_and_b32 exec_lo, exec_lo, vcc_lo
	s_cbranch_execz .LBB131_29
; %bb.25:
	v_cmp_eq_f64_e32 vcc_lo, 0, v[4:5]
	v_cmp_eq_f64_e64 s0, 0, v[6:7]
	s_waitcnt lgkmcnt(14)
	v_add_f64 v[9:10], v[9:10], v[39:40]
	s_waitcnt lgkmcnt(12)
	v_add_f64 v[23:24], v[31:32], v[23:24]
	;; [unrolled: 2-line block ×8, first 2 shown]
	s_load_b64 s[2:3], s[2:3], 0x48
	s_and_b32 s0, vcc_lo, s0
	s_delay_alu instid0(SALU_CYCLE_1) | instskip(NEXT) | instid1(SALU_CYCLE_1)
	s_and_saveexec_b32 s1, s0
	s_xor_b32 s0, exec_lo, s1
	s_cbranch_execz .LBB131_27
; %bb.26:
	v_mul_f64 v[4:5], v[23:24], -v[2:3]
	v_mul_f64 v[6:7], v[0:1], v[23:24]
	v_mul_f64 v[23:24], v[21:22], -v[2:3]
	v_mul_f64 v[21:22], v[0:1], v[21:22]
	;; [unrolled: 2-line block ×4, first 2 shown]
	v_fma_f64 v[4:5], v[0:1], v[9:10], v[4:5]
	v_fma_f64 v[6:7], v[2:3], v[9:10], v[6:7]
	;; [unrolled: 1-line block ×8, first 2 shown]
	v_lshlrev_b32_e32 v13, 2, v8
                                        ; implicit-def: $vgpr8
                                        ; implicit-def: $vgpr23_vgpr24
                                        ; implicit-def: $vgpr21_vgpr22
                                        ; implicit-def: $vgpr15_vgpr16
	s_delay_alu instid0(VALU_DEP_1) | instskip(NEXT) | instid1(VALU_DEP_1)
	v_ashrrev_i32_e32 v14, 31, v13
	v_lshlrev_b64 v[13:14], 4, v[13:14]
	s_waitcnt lgkmcnt(0)
	s_delay_alu instid0(VALU_DEP_1) | instskip(NEXT) | instid1(VALU_DEP_2)
	v_add_co_u32 v13, vcc_lo, s2, v13
	v_add_co_ci_u32_e32 v14, vcc_lo, s3, v14, vcc_lo
	s_clause 0x3
	global_store_b128 v[13:14], v[4:7], off
	global_store_b128 v[13:14], v[9:12], off offset:16
	global_store_b128 v[13:14], v[17:20], off offset:32
	;; [unrolled: 1-line block ×3, first 2 shown]
                                        ; implicit-def: $vgpr0_vgpr1
                                        ; implicit-def: $vgpr2_vgpr3
                                        ; implicit-def: $vgpr4_vgpr5
                                        ; implicit-def: $vgpr6_vgpr7
                                        ; implicit-def: $vgpr9_vgpr10
                                        ; implicit-def: $vgpr11_vgpr12
                                        ; implicit-def: $vgpr13_vgpr14
                                        ; implicit-def: $vgpr19_vgpr20
                                        ; implicit-def: $vgpr17_vgpr18
.LBB131_27:
	s_and_not1_saveexec_b32 s0, s0
	s_cbranch_execz .LBB131_29
; %bb.28:
	v_lshlrev_b32_e32 v25, 2, v8
	v_mul_f64 v[43:44], v[23:24], -v[2:3]
	v_mul_f64 v[23:24], v[0:1], v[23:24]
	v_mul_f64 v[45:46], v[21:22], -v[2:3]
	v_mul_f64 v[21:22], v[0:1], v[21:22]
	v_ashrrev_i32_e32 v26, 31, v25
	v_mul_f64 v[47:48], v[19:20], -v[2:3]
	v_mul_f64 v[19:20], v[0:1], v[19:20]
	v_mul_f64 v[49:50], v[17:18], -v[2:3]
	v_mul_f64 v[17:18], v[0:1], v[17:18]
	v_lshlrev_b64 v[25:26], 4, v[25:26]
	s_waitcnt lgkmcnt(0)
	s_delay_alu instid0(VALU_DEP_1) | instskip(NEXT) | instid1(VALU_DEP_2)
	v_add_co_u32 v41, vcc_lo, s2, v25
	v_add_co_ci_u32_e32 v42, vcc_lo, s3, v26, vcc_lo
	s_clause 0x3
	global_load_b128 v[25:28], v[41:42], off
	global_load_b128 v[29:32], v[41:42], off offset:16
	global_load_b128 v[33:36], v[41:42], off offset:32
	;; [unrolled: 1-line block ×3, first 2 shown]
	v_fma_f64 v[43:44], v[0:1], v[9:10], v[43:44]
	v_fma_f64 v[8:9], v[2:3], v[9:10], v[23:24]
	v_fma_f64 v[23:24], v[0:1], v[11:12], v[45:46]
	v_fma_f64 v[10:11], v[2:3], v[11:12], v[21:22]
	v_fma_f64 v[21:22], v[0:1], v[13:14], v[47:48]
	v_fma_f64 v[12:13], v[2:3], v[13:14], v[19:20]
	v_fma_f64 v[0:1], v[0:1], v[15:16], v[49:50]
	v_fma_f64 v[2:3], v[2:3], v[15:16], v[17:18]
	s_waitcnt vmcnt(3)
	v_fma_f64 v[14:15], v[4:5], v[25:26], v[43:44]
	v_fma_f64 v[8:9], v[6:7], v[25:26], v[8:9]
	s_waitcnt vmcnt(2)
	v_fma_f64 v[16:17], v[4:5], v[29:30], v[23:24]
	v_fma_f64 v[10:11], v[6:7], v[29:30], v[10:11]
	s_waitcnt vmcnt(1)
	v_fma_f64 v[18:19], v[4:5], v[33:34], v[21:22]
	v_fma_f64 v[20:21], v[6:7], v[33:34], v[12:13]
	s_waitcnt vmcnt(0)
	v_fma_f64 v[22:23], v[4:5], v[37:38], v[0:1]
	v_fma_f64 v[24:25], v[6:7], v[37:38], v[2:3]
	v_fma_f64 v[0:1], -v[6:7], v[27:28], v[14:15]
	v_fma_f64 v[2:3], v[4:5], v[27:28], v[8:9]
	v_fma_f64 v[8:9], -v[6:7], v[31:32], v[16:17]
	v_fma_f64 v[10:11], v[4:5], v[31:32], v[10:11]
	v_fma_f64 v[12:13], -v[6:7], v[35:36], v[18:19]
	v_fma_f64 v[14:15], v[4:5], v[35:36], v[20:21]
	v_fma_f64 v[16:17], -v[6:7], v[39:40], v[22:23]
	v_fma_f64 v[18:19], v[4:5], v[39:40], v[24:25]
	s_clause 0x3
	global_store_b128 v[41:42], v[0:3], off
	global_store_b128 v[41:42], v[8:11], off offset:16
	global_store_b128 v[41:42], v[12:15], off offset:32
	;; [unrolled: 1-line block ×3, first 2 shown]
.LBB131_29:
	s_nop 0
	s_sendmsg sendmsg(MSG_DEALLOC_VGPRS)
	s_endpgm
	.section	.rodata,"a",@progbits
	.p2align	6, 0x0
	.amdhsa_kernel _ZN9rocsparseL19gebsrmvn_4xn_kernelILj128ELj6ELj4E21rocsparse_complex_numIdEEEvi20rocsparse_direction_NS_24const_host_device_scalarIT2_EEPKiS8_PKS5_SA_S6_PS5_21rocsparse_index_base_b
		.amdhsa_group_segment_fixed_size 2048
		.amdhsa_private_segment_fixed_size 0
		.amdhsa_kernarg_size 88
		.amdhsa_user_sgpr_count 15
		.amdhsa_user_sgpr_dispatch_ptr 1
		.amdhsa_user_sgpr_queue_ptr 0
		.amdhsa_user_sgpr_kernarg_segment_ptr 1
		.amdhsa_user_sgpr_dispatch_id 0
		.amdhsa_user_sgpr_private_segment_size 0
		.amdhsa_wavefront_size32 1
		.amdhsa_uses_dynamic_stack 0
		.amdhsa_enable_private_segment 0
		.amdhsa_system_sgpr_workgroup_id_x 1
		.amdhsa_system_sgpr_workgroup_id_y 0
		.amdhsa_system_sgpr_workgroup_id_z 0
		.amdhsa_system_sgpr_workgroup_info 0
		.amdhsa_system_vgpr_workitem_id 2
		.amdhsa_next_free_vgpr 74
		.amdhsa_next_free_sgpr 18
		.amdhsa_reserve_vcc 1
		.amdhsa_float_round_mode_32 0
		.amdhsa_float_round_mode_16_64 0
		.amdhsa_float_denorm_mode_32 3
		.amdhsa_float_denorm_mode_16_64 3
		.amdhsa_dx10_clamp 1
		.amdhsa_ieee_mode 1
		.amdhsa_fp16_overflow 0
		.amdhsa_workgroup_processor_mode 1
		.amdhsa_memory_ordered 1
		.amdhsa_forward_progress 0
		.amdhsa_shared_vgpr_count 0
		.amdhsa_exception_fp_ieee_invalid_op 0
		.amdhsa_exception_fp_denorm_src 0
		.amdhsa_exception_fp_ieee_div_zero 0
		.amdhsa_exception_fp_ieee_overflow 0
		.amdhsa_exception_fp_ieee_underflow 0
		.amdhsa_exception_fp_ieee_inexact 0
		.amdhsa_exception_int_div_zero 0
	.end_amdhsa_kernel
	.section	.text._ZN9rocsparseL19gebsrmvn_4xn_kernelILj128ELj6ELj4E21rocsparse_complex_numIdEEEvi20rocsparse_direction_NS_24const_host_device_scalarIT2_EEPKiS8_PKS5_SA_S6_PS5_21rocsparse_index_base_b,"axG",@progbits,_ZN9rocsparseL19gebsrmvn_4xn_kernelILj128ELj6ELj4E21rocsparse_complex_numIdEEEvi20rocsparse_direction_NS_24const_host_device_scalarIT2_EEPKiS8_PKS5_SA_S6_PS5_21rocsparse_index_base_b,comdat
.Lfunc_end131:
	.size	_ZN9rocsparseL19gebsrmvn_4xn_kernelILj128ELj6ELj4E21rocsparse_complex_numIdEEEvi20rocsparse_direction_NS_24const_host_device_scalarIT2_EEPKiS8_PKS5_SA_S6_PS5_21rocsparse_index_base_b, .Lfunc_end131-_ZN9rocsparseL19gebsrmvn_4xn_kernelILj128ELj6ELj4E21rocsparse_complex_numIdEEEvi20rocsparse_direction_NS_24const_host_device_scalarIT2_EEPKiS8_PKS5_SA_S6_PS5_21rocsparse_index_base_b
                                        ; -- End function
	.section	.AMDGPU.csdata,"",@progbits
; Kernel info:
; codeLenInByte = 3184
; NumSgprs: 20
; NumVgprs: 74
; ScratchSize: 0
; MemoryBound: 0
; FloatMode: 240
; IeeeMode: 1
; LDSByteSize: 2048 bytes/workgroup (compile time only)
; SGPRBlocks: 2
; VGPRBlocks: 9
; NumSGPRsForWavesPerEU: 20
; NumVGPRsForWavesPerEU: 74
; Occupancy: 16
; WaveLimiterHint : 1
; COMPUTE_PGM_RSRC2:SCRATCH_EN: 0
; COMPUTE_PGM_RSRC2:USER_SGPR: 15
; COMPUTE_PGM_RSRC2:TRAP_HANDLER: 0
; COMPUTE_PGM_RSRC2:TGID_X_EN: 1
; COMPUTE_PGM_RSRC2:TGID_Y_EN: 0
; COMPUTE_PGM_RSRC2:TGID_Z_EN: 0
; COMPUTE_PGM_RSRC2:TIDIG_COMP_CNT: 2
	.section	.text._ZN9rocsparseL19gebsrmvn_4xn_kernelILj128ELj6ELj8E21rocsparse_complex_numIdEEEvi20rocsparse_direction_NS_24const_host_device_scalarIT2_EEPKiS8_PKS5_SA_S6_PS5_21rocsparse_index_base_b,"axG",@progbits,_ZN9rocsparseL19gebsrmvn_4xn_kernelILj128ELj6ELj8E21rocsparse_complex_numIdEEEvi20rocsparse_direction_NS_24const_host_device_scalarIT2_EEPKiS8_PKS5_SA_S6_PS5_21rocsparse_index_base_b,comdat
	.globl	_ZN9rocsparseL19gebsrmvn_4xn_kernelILj128ELj6ELj8E21rocsparse_complex_numIdEEEvi20rocsparse_direction_NS_24const_host_device_scalarIT2_EEPKiS8_PKS5_SA_S6_PS5_21rocsparse_index_base_b ; -- Begin function _ZN9rocsparseL19gebsrmvn_4xn_kernelILj128ELj6ELj8E21rocsparse_complex_numIdEEEvi20rocsparse_direction_NS_24const_host_device_scalarIT2_EEPKiS8_PKS5_SA_S6_PS5_21rocsparse_index_base_b
	.p2align	8
	.type	_ZN9rocsparseL19gebsrmvn_4xn_kernelILj128ELj6ELj8E21rocsparse_complex_numIdEEEvi20rocsparse_direction_NS_24const_host_device_scalarIT2_EEPKiS8_PKS5_SA_S6_PS5_21rocsparse_index_base_b,@function
_ZN9rocsparseL19gebsrmvn_4xn_kernelILj128ELj6ELj8E21rocsparse_complex_numIdEEEvi20rocsparse_direction_NS_24const_host_device_scalarIT2_EEPKiS8_PKS5_SA_S6_PS5_21rocsparse_index_base_b: ; @_ZN9rocsparseL19gebsrmvn_4xn_kernelILj128ELj6ELj8E21rocsparse_complex_numIdEEEvi20rocsparse_direction_NS_24const_host_device_scalarIT2_EEPKiS8_PKS5_SA_S6_PS5_21rocsparse_index_base_b
; %bb.0:
	s_load_b64 s[12:13], s[2:3], 0x50
	s_load_b64 s[16:17], s[0:1], 0x4
	s_load_b128 s[8:11], s[2:3], 0x8
	v_bfe_u32 v1, v0, 10, 10
	s_mov_b64 s[0:1], src_shared_base
	s_load_b128 s[4:7], s[2:3], 0x38
	v_and_b32_e32 v10, 0x3ff, v0
	v_bfe_u32 v0, v0, 20, 10
	s_waitcnt lgkmcnt(0)
	s_bitcmp1_b32 s13, 0
	v_mul_u32_u24_e32 v1, s17, v1
	s_cselect_b32 s0, -1, 0
	s_delay_alu instid0(SALU_CYCLE_1)
	s_and_b32 vcc_lo, s0, exec_lo
	s_cselect_b32 s13, s1, s9
	s_lshr_b32 s14, s16, 16
	v_dual_mov_b32 v2, s4 :: v_dual_mov_b32 v3, s5
	s_mul_i32 s14, s14, s17
	v_mov_b32_e32 v6, s13
	v_mad_u32_u24 v1, s14, v10, v1
	s_delay_alu instid0(VALU_DEP_1) | instskip(SKIP_1) | instid1(VALU_DEP_2)
	v_add_lshl_u32 v4, v1, v0, 3
	v_dual_mov_b32 v0, s8 :: v_dual_mov_b32 v1, s9
	v_add_nc_u32_e32 v5, 0x400, v4
	ds_store_2addr_stride64_b64 v4, v[2:3], v[0:1] offset1:2
	v_dual_mov_b32 v2, s10 :: v_dual_mov_b32 v3, s11
	v_cndmask_b32_e64 v5, s8, v5, s0
	s_xor_b32 s10, s0, -1
	flat_load_b64 v[0:1], v[5:6]
	s_cbranch_vccnz .LBB132_2
; %bb.1:
	v_dual_mov_b32 v2, s8 :: v_dual_mov_b32 v3, s9
	flat_load_b64 v[2:3], v[2:3] offset:8
.LBB132_2:
	s_and_b32 s8, s0, exec_lo
	s_cselect_b32 s1, s1, s5
	v_cndmask_b32_e64 v4, s4, v4, s0
	v_dual_mov_b32 v5, s1 :: v_dual_mov_b32 v6, s6
	v_mov_b32_e32 v7, s7
	s_and_not1_b32 vcc_lo, exec_lo, s10
	flat_load_b64 v[4:5], v[4:5]
	s_cbranch_vccnz .LBB132_4
; %bb.3:
	v_dual_mov_b32 v7, s5 :: v_dual_mov_b32 v6, s4
	flat_load_b64 v[6:7], v[6:7] offset:8
.LBB132_4:
	s_waitcnt vmcnt(1) lgkmcnt(1)
	v_cmp_eq_f64_e32 vcc_lo, 0, v[0:1]
	v_cmp_eq_f64_e64 s0, 0, v[2:3]
	s_delay_alu instid0(VALU_DEP_1)
	s_and_b32 s4, vcc_lo, s0
	s_mov_b32 s0, -1
	s_and_saveexec_b32 s1, s4
	s_cbranch_execz .LBB132_6
; %bb.5:
	s_waitcnt vmcnt(0) lgkmcnt(0)
	v_cmp_neq_f64_e32 vcc_lo, 1.0, v[4:5]
	v_cmp_neq_f64_e64 s0, 0, v[6:7]
	s_delay_alu instid0(VALU_DEP_1) | instskip(NEXT) | instid1(SALU_CYCLE_1)
	s_or_b32 s0, vcc_lo, s0
	s_or_not1_b32 s0, s0, exec_lo
.LBB132_6:
	s_or_b32 exec_lo, exec_lo, s1
	s_and_saveexec_b32 s1, s0
	s_cbranch_execz .LBB132_29
; %bb.7:
	s_load_b64 s[0:1], s[2:3], 0x0
	v_lshrrev_b32_e32 v8, 3, v10
	s_delay_alu instid0(VALU_DEP_1) | instskip(SKIP_1) | instid1(VALU_DEP_1)
	v_lshl_or_b32 v8, s15, 4, v8
	s_waitcnt lgkmcnt(0)
	v_cmp_gt_i32_e32 vcc_lo, s0, v8
	s_and_b32 exec_lo, exec_lo, vcc_lo
	s_cbranch_execz .LBB132_29
; %bb.8:
	s_load_b256 s[4:11], s[2:3], 0x18
	v_ashrrev_i32_e32 v9, 31, v8
	v_and_b32_e32 v41, 7, v10
	s_cmp_lg_u32 s1, 0
	s_delay_alu instid0(VALU_DEP_2) | instskip(SKIP_1) | instid1(VALU_DEP_1)
	v_lshlrev_b64 v[11:12], 2, v[8:9]
	s_waitcnt lgkmcnt(0)
	v_add_co_u32 v11, vcc_lo, s4, v11
	s_delay_alu instid0(VALU_DEP_2) | instskip(SKIP_4) | instid1(VALU_DEP_2)
	v_add_co_ci_u32_e32 v12, vcc_lo, s5, v12, vcc_lo
	global_load_b64 v[11:12], v[11:12], off
	s_waitcnt vmcnt(0)
	v_subrev_nc_u32_e32 v9, s12, v11
	v_subrev_nc_u32_e32 v32, s12, v12
	v_add_nc_u32_e32 v17, v9, v41
	s_delay_alu instid0(VALU_DEP_1)
	v_cmp_lt_i32_e64 s0, v17, v32
	s_cbranch_scc0 .LBB132_16
; %bb.9:
	v_mov_b32_e32 v9, 0
	v_mov_b32_e32 v10, 0
	s_delay_alu instid0(VALU_DEP_1)
	v_dual_mov_b32 v16, v10 :: v_dual_mov_b32 v15, v9
	v_dual_mov_b32 v12, v10 :: v_dual_mov_b32 v11, v9
	;; [unrolled: 1-line block ×7, first 2 shown]
	s_and_saveexec_b32 s1, s0
	s_cbranch_execz .LBB132_15
; %bb.10:
	v_dual_mov_b32 v9, 0 :: v_dual_mov_b32 v28, 0
	v_dual_mov_b32 v10, 0 :: v_dual_mov_b32 v29, v17
	v_mul_lo_u32 v18, v17, 24
	s_mov_b32 s4, 0
	s_delay_alu instid0(VALU_DEP_2)
	v_dual_mov_b32 v16, v10 :: v_dual_mov_b32 v15, v9
	v_dual_mov_b32 v12, v10 :: v_dual_mov_b32 v11, v9
	;; [unrolled: 1-line block ×7, first 2 shown]
.LBB132_11:                             ; =>This Loop Header: Depth=1
                                        ;     Child Loop BB132_12 Depth 2
	v_ashrrev_i32_e32 v30, 31, v29
	s_mov_b32 s5, 0
	s_delay_alu instid0(VALU_DEP_1) | instskip(NEXT) | instid1(VALU_DEP_1)
	v_lshlrev_b64 v[30:31], 2, v[29:30]
	v_add_co_u32 v30, vcc_lo, s6, v30
	s_delay_alu instid0(VALU_DEP_2) | instskip(SKIP_3) | instid1(VALU_DEP_1)
	v_add_co_ci_u32_e32 v31, vcc_lo, s7, v31, vcc_lo
	global_load_b32 v27, v[30:31], off
	s_waitcnt vmcnt(0)
	v_subrev_nc_u32_e32 v27, s12, v27
	v_mul_lo_u32 v30, v27, 6
	v_mov_b32_e32 v27, v18
.LBB132_12:                             ;   Parent Loop BB132_11 Depth=1
                                        ; =>  This Inner Loop Header: Depth=2
	s_delay_alu instid0(VALU_DEP_2) | instskip(NEXT) | instid1(VALU_DEP_2)
	v_dual_mov_b32 v34, v28 :: v_dual_add_nc_u32 v33, s5, v30
	v_lshlrev_b64 v[35:36], 4, v[27:28]
	v_dual_mov_b32 v59, v28 :: v_dual_add_nc_u32 v58, 4, v27
	v_add_nc_u32_e32 v27, 8, v27
	s_delay_alu instid0(VALU_DEP_4) | instskip(SKIP_1) | instid1(VALU_DEP_4)
	v_lshlrev_b64 v[33:34], 4, v[33:34]
	s_add_i32 s5, s5, 2
	v_add_co_u32 v46, vcc_lo, s8, v35
	v_add_co_ci_u32_e32 v47, vcc_lo, s9, v36, vcc_lo
	s_delay_alu instid0(VALU_DEP_3) | instskip(NEXT) | instid1(VALU_DEP_4)
	v_add_co_u32 v54, vcc_lo, s10, v33
	v_add_co_ci_u32_e32 v55, vcc_lo, s11, v34, vcc_lo
	s_clause 0x3
	global_load_b128 v[33:36], v[46:47], off offset:48
	global_load_b128 v[37:40], v[46:47], off offset:32
	;; [unrolled: 1-line block ×3, first 2 shown]
	global_load_b128 v[46:49], v[46:47], off
	s_clause 0x1
	global_load_b128 v[50:53], v[54:55], off
	global_load_b128 v[54:57], v[54:55], off offset:16
	v_lshlrev_b64 v[58:59], 4, v[58:59]
	s_cmp_eq_u32 s5, 6
	s_delay_alu instid0(VALU_DEP_1) | instskip(NEXT) | instid1(VALU_DEP_2)
	v_add_co_u32 v70, vcc_lo, s8, v58
	v_add_co_ci_u32_e32 v71, vcc_lo, s9, v59, vcc_lo
	s_clause 0x3
	global_load_b128 v[58:61], v[70:71], off
	global_load_b128 v[62:65], v[70:71], off offset:16
	global_load_b128 v[66:69], v[70:71], off offset:32
	;; [unrolled: 1-line block ×3, first 2 shown]
	s_waitcnt vmcnt(5)
	v_fma_f64 v[15:16], v[46:47], v[50:51], v[15:16]
	v_fma_f64 v[9:10], v[48:49], v[50:51], v[9:10]
	;; [unrolled: 1-line block ×8, first 2 shown]
	v_fma_f64 v[15:16], -v[48:49], v[52:53], v[15:16]
	v_fma_f64 v[9:10], v[46:47], v[52:53], v[9:10]
	v_fma_f64 v[23:24], -v[44:45], v[52:53], v[23:24]
	v_fma_f64 v[25:26], v[42:43], v[52:53], v[25:26]
	;; [unrolled: 2-line block ×4, first 2 shown]
	s_waitcnt vmcnt(3)
	v_fma_f64 v[15:16], v[58:59], v[54:55], v[15:16]
	v_fma_f64 v[9:10], v[60:61], v[54:55], v[9:10]
	s_waitcnt vmcnt(2)
	v_fma_f64 v[23:24], v[62:63], v[54:55], v[23:24]
	v_fma_f64 v[25:26], v[64:65], v[54:55], v[25:26]
	;; [unrolled: 3-line block ×4, first 2 shown]
	v_fma_f64 v[15:16], -v[60:61], v[56:57], v[15:16]
	v_fma_f64 v[9:10], v[58:59], v[56:57], v[9:10]
	v_fma_f64 v[23:24], -v[64:65], v[56:57], v[23:24]
	v_fma_f64 v[25:26], v[62:63], v[56:57], v[25:26]
	;; [unrolled: 2-line block ×4, first 2 shown]
	s_cbranch_scc0 .LBB132_12
; %bb.13:                               ;   in Loop: Header=BB132_11 Depth=1
	v_add_nc_u32_e32 v29, 8, v29
	v_add_nc_u32_e32 v18, 0xc0, v18
	s_delay_alu instid0(VALU_DEP_2) | instskip(SKIP_1) | instid1(SALU_CYCLE_1)
	v_cmp_ge_i32_e32 vcc_lo, v29, v32
	s_or_b32 s4, vcc_lo, s4
	s_and_not1_b32 exec_lo, exec_lo, s4
	s_cbranch_execnz .LBB132_11
; %bb.14:
	s_or_b32 exec_lo, exec_lo, s4
.LBB132_15:
	s_delay_alu instid0(SALU_CYCLE_1)
	s_or_b32 exec_lo, exec_lo, s1
	s_cbranch_execz .LBB132_17
	s_branch .LBB132_24
.LBB132_16:
                                        ; implicit-def: $vgpr9_vgpr10
                                        ; implicit-def: $vgpr15_vgpr16
                                        ; implicit-def: $vgpr11_vgpr12
                                        ; implicit-def: $vgpr13_vgpr14
                                        ; implicit-def: $vgpr19_vgpr20
                                        ; implicit-def: $vgpr21_vgpr22
                                        ; implicit-def: $vgpr23_vgpr24
                                        ; implicit-def: $vgpr25_vgpr26
.LBB132_17:
	v_mov_b32_e32 v9, 0
	v_mov_b32_e32 v10, 0
	s_delay_alu instid0(VALU_DEP_1)
	v_dual_mov_b32 v16, v10 :: v_dual_mov_b32 v15, v9
	v_dual_mov_b32 v12, v10 :: v_dual_mov_b32 v11, v9
	;; [unrolled: 1-line block ×7, first 2 shown]
	s_and_saveexec_b32 s1, s0
	s_cbranch_execz .LBB132_23
; %bb.18:
	v_mov_b32_e32 v9, 0
	v_dual_mov_b32 v10, 0 :: v_dual_mov_b32 v29, 0
	v_mul_lo_u32 v27, v17, 24
	s_add_u32 s0, s8, 16
	s_addc_u32 s5, s9, 0
	s_delay_alu instid0(VALU_DEP_2)
	v_dual_mov_b32 v16, v10 :: v_dual_mov_b32 v15, v9
	v_dual_mov_b32 v12, v10 :: v_dual_mov_b32 v11, v9
	;; [unrolled: 1-line block ×7, first 2 shown]
	s_mov_b32 s4, 0
.LBB132_19:                             ; =>This Loop Header: Depth=1
                                        ;     Child Loop BB132_20 Depth 2
	v_ashrrev_i32_e32 v18, 31, v17
	v_mov_b32_e32 v28, v29
	s_mov_b32 s13, 0
	s_delay_alu instid0(VALU_DEP_2) | instskip(NEXT) | instid1(VALU_DEP_1)
	v_lshlrev_b64 v[30:31], 2, v[17:18]
	v_add_co_u32 v30, vcc_lo, s6, v30
	s_delay_alu instid0(VALU_DEP_2) | instskip(SKIP_2) | instid1(VALU_DEP_1)
	v_add_co_ci_u32_e32 v31, vcc_lo, s7, v31, vcc_lo
	global_load_b32 v18, v[30:31], off
	v_lshlrev_b64 v[30:31], 4, v[27:28]
	v_add_co_u32 v30, vcc_lo, s0, v30
	s_delay_alu instid0(VALU_DEP_2) | instskip(SKIP_2) | instid1(VALU_DEP_1)
	v_add_co_ci_u32_e32 v31, vcc_lo, s5, v31, vcc_lo
	s_waitcnt vmcnt(0)
	v_subrev_nc_u32_e32 v18, s12, v18
	v_mul_lo_u32 v18, v18, 6
.LBB132_20:                             ;   Parent Loop BB132_19 Depth=1
                                        ; =>  This Inner Loop Header: Depth=2
	s_delay_alu instid0(VALU_DEP_1)
	v_add_nc_u32_e32 v28, s13, v18
	v_add_nc_u32_e32 v48, s13, v27
	s_clause 0x1
	global_load_b128 v[33:36], v[30:31], off
	global_load_b128 v[37:40], v[30:31], off offset:-16
	s_add_i32 s13, s13, 2
	s_delay_alu instid0(SALU_CYCLE_1) | instskip(SKIP_2) | instid1(VALU_DEP_1)
	s_cmp_eq_u32 s13, 6
	v_lshlrev_b64 v[42:43], 4, v[28:29]
	v_add_nc_u32_e32 v28, 6, v48
	v_lshlrev_b64 v[44:45], 4, v[28:29]
	v_add_nc_u32_e32 v28, 12, v48
	s_delay_alu instid0(VALU_DEP_4) | instskip(SKIP_1) | instid1(VALU_DEP_3)
	v_add_co_u32 v46, vcc_lo, s10, v42
	v_add_co_ci_u32_e32 v47, vcc_lo, s11, v43, vcc_lo
	v_lshlrev_b64 v[54:55], 4, v[28:29]
	v_add_nc_u32_e32 v28, 18, v48
	v_add_co_u32 v56, vcc_lo, s8, v44
	v_add_co_ci_u32_e32 v57, vcc_lo, s9, v45, vcc_lo
	s_delay_alu instid0(VALU_DEP_3)
	v_lshlrev_b64 v[58:59], 4, v[28:29]
	v_add_co_u32 v62, vcc_lo, s8, v54
	v_add_co_ci_u32_e32 v63, vcc_lo, s9, v55, vcc_lo
	s_clause 0x1
	global_load_b128 v[42:45], v[46:47], off offset:16
	global_load_b128 v[46:49], v[46:47], off
	v_add_co_u32 v70, vcc_lo, s8, v58
	v_add_co_ci_u32_e32 v71, vcc_lo, s9, v59, vcc_lo
	s_clause 0x5
	global_load_b128 v[50:53], v[56:57], off
	global_load_b128 v[54:57], v[56:57], off offset:16
	global_load_b128 v[58:61], v[62:63], off
	global_load_b128 v[62:65], v[62:63], off offset:16
	;; [unrolled: 2-line block ×3, first 2 shown]
	v_add_co_u32 v30, vcc_lo, v30, 32
	v_add_co_ci_u32_e32 v31, vcc_lo, 0, v31, vcc_lo
	s_waitcnt vmcnt(6)
	v_fma_f64 v[15:16], v[37:38], v[46:47], v[15:16]
	v_fma_f64 v[9:10], v[39:40], v[46:47], v[9:10]
	s_waitcnt vmcnt(3)
	v_fma_f64 v[19:20], v[58:59], v[46:47], v[19:20]
	v_fma_f64 v[21:22], v[60:61], v[46:47], v[21:22]
	;; [unrolled: 1-line block ×4, first 2 shown]
	s_waitcnt vmcnt(1)
	v_fma_f64 v[11:12], v[66:67], v[46:47], v[11:12]
	v_fma_f64 v[13:14], v[68:69], v[46:47], v[13:14]
	v_fma_f64 v[15:16], -v[39:40], v[48:49], v[15:16]
	v_fma_f64 v[9:10], v[37:38], v[48:49], v[9:10]
	v_fma_f64 v[19:20], -v[60:61], v[48:49], v[19:20]
	;; [unrolled: 2-line block ×4, first 2 shown]
	v_fma_f64 v[13:14], v[66:67], v[48:49], v[13:14]
	v_fma_f64 v[15:16], v[33:34], v[42:43], v[15:16]
	;; [unrolled: 1-line block ×7, first 2 shown]
	s_waitcnt vmcnt(0)
	v_fma_f64 v[11:12], v[70:71], v[42:43], v[11:12]
	v_fma_f64 v[13:14], v[72:73], v[42:43], v[13:14]
	v_fma_f64 v[15:16], -v[35:36], v[44:45], v[15:16]
	v_fma_f64 v[9:10], v[33:34], v[44:45], v[9:10]
	v_fma_f64 v[19:20], -v[64:65], v[44:45], v[19:20]
	v_fma_f64 v[21:22], v[62:63], v[44:45], v[21:22]
	v_fma_f64 v[23:24], -v[56:57], v[44:45], v[23:24]
	v_fma_f64 v[25:26], v[54:55], v[44:45], v[25:26]
	v_fma_f64 v[11:12], -v[72:73], v[44:45], v[11:12]
	v_fma_f64 v[13:14], v[70:71], v[44:45], v[13:14]
	s_cbranch_scc0 .LBB132_20
; %bb.21:                               ;   in Loop: Header=BB132_19 Depth=1
	v_add_nc_u32_e32 v17, 8, v17
	v_add_nc_u32_e32 v27, 0xc0, v27
	s_delay_alu instid0(VALU_DEP_2) | instskip(SKIP_1) | instid1(SALU_CYCLE_1)
	v_cmp_ge_i32_e32 vcc_lo, v17, v32
	s_or_b32 s4, vcc_lo, s4
	s_and_not1_b32 exec_lo, exec_lo, s4
	s_cbranch_execnz .LBB132_19
; %bb.22:
	s_or_b32 exec_lo, exec_lo, s4
.LBB132_23:
	s_delay_alu instid0(SALU_CYCLE_1)
	s_or_b32 exec_lo, exec_lo, s1
.LBB132_24:
	v_mbcnt_lo_u32_b32 v44, -1, 0
	s_delay_alu instid0(VALU_DEP_1) | instskip(NEXT) | instid1(VALU_DEP_1)
	v_xor_b32_e32 v17, 4, v44
	v_cmp_gt_i32_e32 vcc_lo, 32, v17
	v_cndmask_b32_e32 v17, v44, v17, vcc_lo
	s_delay_alu instid0(VALU_DEP_1)
	v_lshlrev_b32_e32 v40, 2, v17
	ds_bpermute_b32 v17, v40, v15
	ds_bpermute_b32 v18, v40, v16
	ds_bpermute_b32 v27, v40, v9
	ds_bpermute_b32 v28, v40, v10
	ds_bpermute_b32 v29, v40, v23
	ds_bpermute_b32 v30, v40, v24
	ds_bpermute_b32 v31, v40, v25
	ds_bpermute_b32 v32, v40, v26
	ds_bpermute_b32 v33, v40, v19
	ds_bpermute_b32 v34, v40, v20
	ds_bpermute_b32 v35, v40, v21
	ds_bpermute_b32 v36, v40, v22
	ds_bpermute_b32 v37, v40, v11
	ds_bpermute_b32 v38, v40, v12
	ds_bpermute_b32 v39, v40, v13
	ds_bpermute_b32 v40, v40, v14
	s_waitcnt lgkmcnt(14)
	v_add_f64 v[15:16], v[15:16], v[17:18]
	s_waitcnt lgkmcnt(12)
	v_add_f64 v[17:18], v[9:10], v[27:28]
	v_xor_b32_e32 v9, 2, v44
	s_waitcnt lgkmcnt(10)
	v_add_f64 v[27:28], v[23:24], v[29:30]
	s_waitcnt lgkmcnt(8)
	v_add_f64 v[25:26], v[25:26], v[31:32]
	s_waitcnt lgkmcnt(6)
	v_add_f64 v[19:20], v[19:20], v[33:34]
	v_cmp_gt_i32_e32 vcc_lo, 32, v9
	s_waitcnt lgkmcnt(4)
	v_add_f64 v[29:30], v[21:22], v[35:36]
	s_waitcnt lgkmcnt(2)
	v_add_f64 v[31:32], v[11:12], v[37:38]
	s_waitcnt lgkmcnt(0)
	v_add_f64 v[33:34], v[13:14], v[39:40]
	v_cndmask_b32_e32 v9, v44, v9, vcc_lo
	s_delay_alu instid0(VALU_DEP_1)
	v_lshlrev_b32_e32 v23, 2, v9
	ds_bpermute_b32 v9, v23, v15
	ds_bpermute_b32 v10, v23, v16
	;; [unrolled: 1-line block ×16, first 2 shown]
	s_waitcnt lgkmcnt(14)
	v_add_f64 v[9:10], v[15:16], v[9:10]
	s_waitcnt lgkmcnt(12)
	v_add_f64 v[23:24], v[17:18], v[11:12]
	;; [unrolled: 2-line block ×4, first 2 shown]
	v_xor_b32_e32 v25, 1, v44
	s_waitcnt lgkmcnt(6)
	v_add_f64 v[13:14], v[19:20], v[35:36]
	s_waitcnt lgkmcnt(4)
	v_add_f64 v[19:20], v[29:30], v[37:38]
	;; [unrolled: 2-line block ×3, first 2 shown]
	v_cmp_gt_i32_e32 vcc_lo, 32, v25
	s_waitcnt lgkmcnt(0)
	v_add_f64 v[17:18], v[33:34], v[42:43]
	v_cndmask_b32_e32 v25, v44, v25, vcc_lo
	v_cmp_eq_u32_e32 vcc_lo, 7, v41
	s_delay_alu instid0(VALU_DEP_2)
	v_lshlrev_b32_e32 v28, 2, v25
	ds_bpermute_b32 v39, v28, v9
	ds_bpermute_b32 v40, v28, v10
	;; [unrolled: 1-line block ×16, first 2 shown]
	s_and_b32 exec_lo, exec_lo, vcc_lo
	s_cbranch_execz .LBB132_29
; %bb.25:
	v_cmp_eq_f64_e32 vcc_lo, 0, v[4:5]
	v_cmp_eq_f64_e64 s0, 0, v[6:7]
	s_waitcnt lgkmcnt(14)
	v_add_f64 v[9:10], v[9:10], v[39:40]
	s_waitcnt lgkmcnt(12)
	v_add_f64 v[23:24], v[23:24], v[37:38]
	;; [unrolled: 2-line block ×8, first 2 shown]
	s_load_b64 s[2:3], s[2:3], 0x48
	s_and_b32 s0, vcc_lo, s0
	s_delay_alu instid0(SALU_CYCLE_1) | instskip(NEXT) | instid1(SALU_CYCLE_1)
	s_and_saveexec_b32 s1, s0
	s_xor_b32 s0, exec_lo, s1
	s_cbranch_execz .LBB132_27
; %bb.26:
	v_mul_f64 v[4:5], v[23:24], -v[2:3]
	v_mul_f64 v[6:7], v[0:1], v[23:24]
	v_mul_f64 v[23:24], v[21:22], -v[2:3]
	v_mul_f64 v[21:22], v[0:1], v[21:22]
	;; [unrolled: 2-line block ×4, first 2 shown]
	v_fma_f64 v[4:5], v[0:1], v[9:10], v[4:5]
	v_fma_f64 v[6:7], v[2:3], v[9:10], v[6:7]
	;; [unrolled: 1-line block ×8, first 2 shown]
	v_lshlrev_b32_e32 v13, 2, v8
                                        ; implicit-def: $vgpr8
                                        ; implicit-def: $vgpr23_vgpr24
                                        ; implicit-def: $vgpr21_vgpr22
                                        ; implicit-def: $vgpr15_vgpr16
	s_delay_alu instid0(VALU_DEP_1) | instskip(NEXT) | instid1(VALU_DEP_1)
	v_ashrrev_i32_e32 v14, 31, v13
	v_lshlrev_b64 v[13:14], 4, v[13:14]
	s_waitcnt lgkmcnt(0)
	s_delay_alu instid0(VALU_DEP_1) | instskip(NEXT) | instid1(VALU_DEP_2)
	v_add_co_u32 v13, vcc_lo, s2, v13
	v_add_co_ci_u32_e32 v14, vcc_lo, s3, v14, vcc_lo
	s_clause 0x3
	global_store_b128 v[13:14], v[4:7], off
	global_store_b128 v[13:14], v[9:12], off offset:16
	global_store_b128 v[13:14], v[17:20], off offset:32
	;; [unrolled: 1-line block ×3, first 2 shown]
                                        ; implicit-def: $vgpr0_vgpr1
                                        ; implicit-def: $vgpr2_vgpr3
                                        ; implicit-def: $vgpr4_vgpr5
                                        ; implicit-def: $vgpr6_vgpr7
                                        ; implicit-def: $vgpr9_vgpr10
                                        ; implicit-def: $vgpr11_vgpr12
                                        ; implicit-def: $vgpr13_vgpr14
                                        ; implicit-def: $vgpr19_vgpr20
                                        ; implicit-def: $vgpr17_vgpr18
.LBB132_27:
	s_and_not1_saveexec_b32 s0, s0
	s_cbranch_execz .LBB132_29
; %bb.28:
	v_lshlrev_b32_e32 v25, 2, v8
	v_mul_f64 v[43:44], v[23:24], -v[2:3]
	v_mul_f64 v[23:24], v[0:1], v[23:24]
	v_mul_f64 v[45:46], v[21:22], -v[2:3]
	v_mul_f64 v[21:22], v[0:1], v[21:22]
	v_ashrrev_i32_e32 v26, 31, v25
	v_mul_f64 v[47:48], v[19:20], -v[2:3]
	v_mul_f64 v[19:20], v[0:1], v[19:20]
	v_mul_f64 v[49:50], v[17:18], -v[2:3]
	v_mul_f64 v[17:18], v[0:1], v[17:18]
	v_lshlrev_b64 v[25:26], 4, v[25:26]
	s_waitcnt lgkmcnt(0)
	s_delay_alu instid0(VALU_DEP_1) | instskip(NEXT) | instid1(VALU_DEP_2)
	v_add_co_u32 v41, vcc_lo, s2, v25
	v_add_co_ci_u32_e32 v42, vcc_lo, s3, v26, vcc_lo
	s_clause 0x3
	global_load_b128 v[25:28], v[41:42], off
	global_load_b128 v[29:32], v[41:42], off offset:16
	global_load_b128 v[33:36], v[41:42], off offset:32
	;; [unrolled: 1-line block ×3, first 2 shown]
	v_fma_f64 v[43:44], v[0:1], v[9:10], v[43:44]
	v_fma_f64 v[8:9], v[2:3], v[9:10], v[23:24]
	v_fma_f64 v[23:24], v[0:1], v[11:12], v[45:46]
	v_fma_f64 v[10:11], v[2:3], v[11:12], v[21:22]
	v_fma_f64 v[21:22], v[0:1], v[13:14], v[47:48]
	v_fma_f64 v[12:13], v[2:3], v[13:14], v[19:20]
	v_fma_f64 v[0:1], v[0:1], v[15:16], v[49:50]
	v_fma_f64 v[2:3], v[2:3], v[15:16], v[17:18]
	s_waitcnt vmcnt(3)
	v_fma_f64 v[14:15], v[4:5], v[25:26], v[43:44]
	v_fma_f64 v[8:9], v[6:7], v[25:26], v[8:9]
	s_waitcnt vmcnt(2)
	v_fma_f64 v[16:17], v[4:5], v[29:30], v[23:24]
	v_fma_f64 v[10:11], v[6:7], v[29:30], v[10:11]
	;; [unrolled: 3-line block ×4, first 2 shown]
	v_fma_f64 v[0:1], -v[6:7], v[27:28], v[14:15]
	v_fma_f64 v[2:3], v[4:5], v[27:28], v[8:9]
	v_fma_f64 v[8:9], -v[6:7], v[31:32], v[16:17]
	v_fma_f64 v[10:11], v[4:5], v[31:32], v[10:11]
	;; [unrolled: 2-line block ×4, first 2 shown]
	s_clause 0x3
	global_store_b128 v[41:42], v[0:3], off
	global_store_b128 v[41:42], v[8:11], off offset:16
	global_store_b128 v[41:42], v[12:15], off offset:32
	;; [unrolled: 1-line block ×3, first 2 shown]
.LBB132_29:
	s_nop 0
	s_sendmsg sendmsg(MSG_DEALLOC_VGPRS)
	s_endpgm
	.section	.rodata,"a",@progbits
	.p2align	6, 0x0
	.amdhsa_kernel _ZN9rocsparseL19gebsrmvn_4xn_kernelILj128ELj6ELj8E21rocsparse_complex_numIdEEEvi20rocsparse_direction_NS_24const_host_device_scalarIT2_EEPKiS8_PKS5_SA_S6_PS5_21rocsparse_index_base_b
		.amdhsa_group_segment_fixed_size 2048
		.amdhsa_private_segment_fixed_size 0
		.amdhsa_kernarg_size 88
		.amdhsa_user_sgpr_count 15
		.amdhsa_user_sgpr_dispatch_ptr 1
		.amdhsa_user_sgpr_queue_ptr 0
		.amdhsa_user_sgpr_kernarg_segment_ptr 1
		.amdhsa_user_sgpr_dispatch_id 0
		.amdhsa_user_sgpr_private_segment_size 0
		.amdhsa_wavefront_size32 1
		.amdhsa_uses_dynamic_stack 0
		.amdhsa_enable_private_segment 0
		.amdhsa_system_sgpr_workgroup_id_x 1
		.amdhsa_system_sgpr_workgroup_id_y 0
		.amdhsa_system_sgpr_workgroup_id_z 0
		.amdhsa_system_sgpr_workgroup_info 0
		.amdhsa_system_vgpr_workitem_id 2
		.amdhsa_next_free_vgpr 74
		.amdhsa_next_free_sgpr 18
		.amdhsa_reserve_vcc 1
		.amdhsa_float_round_mode_32 0
		.amdhsa_float_round_mode_16_64 0
		.amdhsa_float_denorm_mode_32 3
		.amdhsa_float_denorm_mode_16_64 3
		.amdhsa_dx10_clamp 1
		.amdhsa_ieee_mode 1
		.amdhsa_fp16_overflow 0
		.amdhsa_workgroup_processor_mode 1
		.amdhsa_memory_ordered 1
		.amdhsa_forward_progress 0
		.amdhsa_shared_vgpr_count 0
		.amdhsa_exception_fp_ieee_invalid_op 0
		.amdhsa_exception_fp_denorm_src 0
		.amdhsa_exception_fp_ieee_div_zero 0
		.amdhsa_exception_fp_ieee_overflow 0
		.amdhsa_exception_fp_ieee_underflow 0
		.amdhsa_exception_fp_ieee_inexact 0
		.amdhsa_exception_int_div_zero 0
	.end_amdhsa_kernel
	.section	.text._ZN9rocsparseL19gebsrmvn_4xn_kernelILj128ELj6ELj8E21rocsparse_complex_numIdEEEvi20rocsparse_direction_NS_24const_host_device_scalarIT2_EEPKiS8_PKS5_SA_S6_PS5_21rocsparse_index_base_b,"axG",@progbits,_ZN9rocsparseL19gebsrmvn_4xn_kernelILj128ELj6ELj8E21rocsparse_complex_numIdEEEvi20rocsparse_direction_NS_24const_host_device_scalarIT2_EEPKiS8_PKS5_SA_S6_PS5_21rocsparse_index_base_b,comdat
.Lfunc_end132:
	.size	_ZN9rocsparseL19gebsrmvn_4xn_kernelILj128ELj6ELj8E21rocsparse_complex_numIdEEEvi20rocsparse_direction_NS_24const_host_device_scalarIT2_EEPKiS8_PKS5_SA_S6_PS5_21rocsparse_index_base_b, .Lfunc_end132-_ZN9rocsparseL19gebsrmvn_4xn_kernelILj128ELj6ELj8E21rocsparse_complex_numIdEEEvi20rocsparse_direction_NS_24const_host_device_scalarIT2_EEPKiS8_PKS5_SA_S6_PS5_21rocsparse_index_base_b
                                        ; -- End function
	.section	.AMDGPU.csdata,"",@progbits
; Kernel info:
; codeLenInByte = 3428
; NumSgprs: 20
; NumVgprs: 74
; ScratchSize: 0
; MemoryBound: 0
; FloatMode: 240
; IeeeMode: 1
; LDSByteSize: 2048 bytes/workgroup (compile time only)
; SGPRBlocks: 2
; VGPRBlocks: 9
; NumSGPRsForWavesPerEU: 20
; NumVGPRsForWavesPerEU: 74
; Occupancy: 16
; WaveLimiterHint : 1
; COMPUTE_PGM_RSRC2:SCRATCH_EN: 0
; COMPUTE_PGM_RSRC2:USER_SGPR: 15
; COMPUTE_PGM_RSRC2:TRAP_HANDLER: 0
; COMPUTE_PGM_RSRC2:TGID_X_EN: 1
; COMPUTE_PGM_RSRC2:TGID_Y_EN: 0
; COMPUTE_PGM_RSRC2:TGID_Z_EN: 0
; COMPUTE_PGM_RSRC2:TIDIG_COMP_CNT: 2
	.section	.text._ZN9rocsparseL19gebsrmvn_4xn_kernelILj128ELj6ELj16E21rocsparse_complex_numIdEEEvi20rocsparse_direction_NS_24const_host_device_scalarIT2_EEPKiS8_PKS5_SA_S6_PS5_21rocsparse_index_base_b,"axG",@progbits,_ZN9rocsparseL19gebsrmvn_4xn_kernelILj128ELj6ELj16E21rocsparse_complex_numIdEEEvi20rocsparse_direction_NS_24const_host_device_scalarIT2_EEPKiS8_PKS5_SA_S6_PS5_21rocsparse_index_base_b,comdat
	.globl	_ZN9rocsparseL19gebsrmvn_4xn_kernelILj128ELj6ELj16E21rocsparse_complex_numIdEEEvi20rocsparse_direction_NS_24const_host_device_scalarIT2_EEPKiS8_PKS5_SA_S6_PS5_21rocsparse_index_base_b ; -- Begin function _ZN9rocsparseL19gebsrmvn_4xn_kernelILj128ELj6ELj16E21rocsparse_complex_numIdEEEvi20rocsparse_direction_NS_24const_host_device_scalarIT2_EEPKiS8_PKS5_SA_S6_PS5_21rocsparse_index_base_b
	.p2align	8
	.type	_ZN9rocsparseL19gebsrmvn_4xn_kernelILj128ELj6ELj16E21rocsparse_complex_numIdEEEvi20rocsparse_direction_NS_24const_host_device_scalarIT2_EEPKiS8_PKS5_SA_S6_PS5_21rocsparse_index_base_b,@function
_ZN9rocsparseL19gebsrmvn_4xn_kernelILj128ELj6ELj16E21rocsparse_complex_numIdEEEvi20rocsparse_direction_NS_24const_host_device_scalarIT2_EEPKiS8_PKS5_SA_S6_PS5_21rocsparse_index_base_b: ; @_ZN9rocsparseL19gebsrmvn_4xn_kernelILj128ELj6ELj16E21rocsparse_complex_numIdEEEvi20rocsparse_direction_NS_24const_host_device_scalarIT2_EEPKiS8_PKS5_SA_S6_PS5_21rocsparse_index_base_b
; %bb.0:
	s_load_b64 s[12:13], s[2:3], 0x50
	s_load_b64 s[16:17], s[0:1], 0x4
	s_load_b128 s[8:11], s[2:3], 0x8
	v_bfe_u32 v1, v0, 10, 10
	s_mov_b64 s[0:1], src_shared_base
	s_load_b128 s[4:7], s[2:3], 0x38
	v_and_b32_e32 v10, 0x3ff, v0
	v_bfe_u32 v0, v0, 20, 10
	s_waitcnt lgkmcnt(0)
	s_bitcmp1_b32 s13, 0
	v_mul_u32_u24_e32 v1, s17, v1
	s_cselect_b32 s0, -1, 0
	s_delay_alu instid0(SALU_CYCLE_1)
	s_and_b32 vcc_lo, s0, exec_lo
	s_cselect_b32 s13, s1, s9
	s_lshr_b32 s14, s16, 16
	v_dual_mov_b32 v2, s4 :: v_dual_mov_b32 v3, s5
	s_mul_i32 s14, s14, s17
	v_mov_b32_e32 v6, s13
	v_mad_u32_u24 v1, s14, v10, v1
	s_delay_alu instid0(VALU_DEP_1) | instskip(SKIP_1) | instid1(VALU_DEP_2)
	v_add_lshl_u32 v4, v1, v0, 3
	v_dual_mov_b32 v0, s8 :: v_dual_mov_b32 v1, s9
	v_add_nc_u32_e32 v5, 0x400, v4
	ds_store_2addr_stride64_b64 v4, v[2:3], v[0:1] offset1:2
	v_dual_mov_b32 v2, s10 :: v_dual_mov_b32 v3, s11
	v_cndmask_b32_e64 v5, s8, v5, s0
	s_xor_b32 s10, s0, -1
	flat_load_b64 v[0:1], v[5:6]
	s_cbranch_vccnz .LBB133_2
; %bb.1:
	v_dual_mov_b32 v2, s8 :: v_dual_mov_b32 v3, s9
	flat_load_b64 v[2:3], v[2:3] offset:8
.LBB133_2:
	s_and_b32 s8, s0, exec_lo
	s_cselect_b32 s1, s1, s5
	v_cndmask_b32_e64 v4, s4, v4, s0
	v_dual_mov_b32 v5, s1 :: v_dual_mov_b32 v6, s6
	v_mov_b32_e32 v7, s7
	s_and_not1_b32 vcc_lo, exec_lo, s10
	flat_load_b64 v[4:5], v[4:5]
	s_cbranch_vccnz .LBB133_4
; %bb.3:
	v_dual_mov_b32 v7, s5 :: v_dual_mov_b32 v6, s4
	flat_load_b64 v[6:7], v[6:7] offset:8
.LBB133_4:
	s_waitcnt vmcnt(1) lgkmcnt(1)
	v_cmp_eq_f64_e32 vcc_lo, 0, v[0:1]
	v_cmp_eq_f64_e64 s0, 0, v[2:3]
	s_delay_alu instid0(VALU_DEP_1)
	s_and_b32 s4, vcc_lo, s0
	s_mov_b32 s0, -1
	s_and_saveexec_b32 s1, s4
	s_cbranch_execz .LBB133_6
; %bb.5:
	s_waitcnt vmcnt(0) lgkmcnt(0)
	v_cmp_neq_f64_e32 vcc_lo, 1.0, v[4:5]
	v_cmp_neq_f64_e64 s0, 0, v[6:7]
	s_delay_alu instid0(VALU_DEP_1) | instskip(NEXT) | instid1(SALU_CYCLE_1)
	s_or_b32 s0, vcc_lo, s0
	s_or_not1_b32 s0, s0, exec_lo
.LBB133_6:
	s_or_b32 exec_lo, exec_lo, s1
	s_and_saveexec_b32 s1, s0
	s_cbranch_execz .LBB133_29
; %bb.7:
	s_load_b64 s[0:1], s[2:3], 0x0
	v_lshrrev_b32_e32 v8, 4, v10
	s_delay_alu instid0(VALU_DEP_1) | instskip(SKIP_1) | instid1(VALU_DEP_1)
	v_lshl_or_b32 v8, s15, 3, v8
	s_waitcnt lgkmcnt(0)
	v_cmp_gt_i32_e32 vcc_lo, s0, v8
	s_and_b32 exec_lo, exec_lo, vcc_lo
	s_cbranch_execz .LBB133_29
; %bb.8:
	s_load_b256 s[4:11], s[2:3], 0x18
	v_ashrrev_i32_e32 v9, 31, v8
	v_and_b32_e32 v41, 15, v10
	s_cmp_lg_u32 s1, 0
	s_delay_alu instid0(VALU_DEP_2) | instskip(SKIP_1) | instid1(VALU_DEP_1)
	v_lshlrev_b64 v[11:12], 2, v[8:9]
	s_waitcnt lgkmcnt(0)
	v_add_co_u32 v11, vcc_lo, s4, v11
	s_delay_alu instid0(VALU_DEP_2) | instskip(SKIP_4) | instid1(VALU_DEP_2)
	v_add_co_ci_u32_e32 v12, vcc_lo, s5, v12, vcc_lo
	global_load_b64 v[11:12], v[11:12], off
	s_waitcnt vmcnt(0)
	v_subrev_nc_u32_e32 v9, s12, v11
	v_subrev_nc_u32_e32 v32, s12, v12
	v_add_nc_u32_e32 v25, v9, v41
	s_delay_alu instid0(VALU_DEP_1)
	v_cmp_lt_i32_e64 s0, v25, v32
	s_cbranch_scc0 .LBB133_16
; %bb.9:
	v_mov_b32_e32 v9, 0
	v_mov_b32_e32 v10, 0
	s_delay_alu instid0(VALU_DEP_1)
	v_dual_mov_b32 v16, v10 :: v_dual_mov_b32 v15, v9
	v_dual_mov_b32 v12, v10 :: v_dual_mov_b32 v11, v9
	;; [unrolled: 1-line block ×7, first 2 shown]
	s_and_saveexec_b32 s1, s0
	s_cbranch_execz .LBB133_15
; %bb.10:
	v_dual_mov_b32 v9, 0 :: v_dual_mov_b32 v28, v25
	v_dual_mov_b32 v10, 0 :: v_dual_mov_b32 v27, 0
	v_mul_lo_u32 v30, v25, 24
	s_mov_b32 s4, 0
	s_delay_alu instid0(VALU_DEP_2)
	v_dual_mov_b32 v16, v10 :: v_dual_mov_b32 v15, v9
	v_dual_mov_b32 v12, v10 :: v_dual_mov_b32 v11, v9
	;; [unrolled: 1-line block ×7, first 2 shown]
.LBB133_11:                             ; =>This Loop Header: Depth=1
                                        ;     Child Loop BB133_12 Depth 2
	v_ashrrev_i32_e32 v29, 31, v28
	s_mov_b32 s5, 0
	s_delay_alu instid0(VALU_DEP_1) | instskip(NEXT) | instid1(VALU_DEP_1)
	v_lshlrev_b64 v[33:34], 2, v[28:29]
	v_add_co_u32 v33, vcc_lo, s6, v33
	s_delay_alu instid0(VALU_DEP_2) | instskip(SKIP_3) | instid1(VALU_DEP_1)
	v_add_co_ci_u32_e32 v34, vcc_lo, s7, v34, vcc_lo
	global_load_b32 v26, v[33:34], off
	s_waitcnt vmcnt(0)
	v_subrev_nc_u32_e32 v26, s12, v26
	v_mul_lo_u32 v29, v26, 6
	v_mov_b32_e32 v26, v30
.LBB133_12:                             ;   Parent Loop BB133_11 Depth=1
                                        ; =>  This Inner Loop Header: Depth=2
	s_delay_alu instid0(VALU_DEP_2) | instskip(NEXT) | instid1(VALU_DEP_2)
	v_dual_mov_b32 v34, v27 :: v_dual_add_nc_u32 v33, s5, v29
	v_lshlrev_b64 v[35:36], 4, v[26:27]
	v_dual_mov_b32 v59, v27 :: v_dual_add_nc_u32 v58, 4, v26
	v_add_nc_u32_e32 v26, 8, v26
	s_delay_alu instid0(VALU_DEP_4) | instskip(SKIP_1) | instid1(VALU_DEP_4)
	v_lshlrev_b64 v[33:34], 4, v[33:34]
	s_add_i32 s5, s5, 2
	v_add_co_u32 v46, vcc_lo, s8, v35
	v_add_co_ci_u32_e32 v47, vcc_lo, s9, v36, vcc_lo
	s_delay_alu instid0(VALU_DEP_3) | instskip(NEXT) | instid1(VALU_DEP_4)
	v_add_co_u32 v54, vcc_lo, s10, v33
	v_add_co_ci_u32_e32 v55, vcc_lo, s11, v34, vcc_lo
	s_clause 0x3
	global_load_b128 v[33:36], v[46:47], off offset:48
	global_load_b128 v[37:40], v[46:47], off offset:32
	;; [unrolled: 1-line block ×3, first 2 shown]
	global_load_b128 v[46:49], v[46:47], off
	s_clause 0x1
	global_load_b128 v[50:53], v[54:55], off
	global_load_b128 v[54:57], v[54:55], off offset:16
	v_lshlrev_b64 v[58:59], 4, v[58:59]
	s_cmp_eq_u32 s5, 6
	s_delay_alu instid0(VALU_DEP_1) | instskip(NEXT) | instid1(VALU_DEP_2)
	v_add_co_u32 v70, vcc_lo, s8, v58
	v_add_co_ci_u32_e32 v71, vcc_lo, s9, v59, vcc_lo
	s_clause 0x3
	global_load_b128 v[58:61], v[70:71], off
	global_load_b128 v[62:65], v[70:71], off offset:16
	global_load_b128 v[66:69], v[70:71], off offset:32
	;; [unrolled: 1-line block ×3, first 2 shown]
	s_waitcnt vmcnt(5)
	v_fma_f64 v[15:16], v[46:47], v[50:51], v[15:16]
	v_fma_f64 v[9:10], v[48:49], v[50:51], v[9:10]
	;; [unrolled: 1-line block ×8, first 2 shown]
	v_fma_f64 v[15:16], -v[48:49], v[52:53], v[15:16]
	v_fma_f64 v[9:10], v[46:47], v[52:53], v[9:10]
	v_fma_f64 v[21:22], -v[44:45], v[52:53], v[21:22]
	v_fma_f64 v[23:24], v[42:43], v[52:53], v[23:24]
	;; [unrolled: 2-line block ×4, first 2 shown]
	s_waitcnt vmcnt(3)
	v_fma_f64 v[15:16], v[58:59], v[54:55], v[15:16]
	v_fma_f64 v[9:10], v[60:61], v[54:55], v[9:10]
	s_waitcnt vmcnt(2)
	v_fma_f64 v[21:22], v[62:63], v[54:55], v[21:22]
	v_fma_f64 v[23:24], v[64:65], v[54:55], v[23:24]
	;; [unrolled: 3-line block ×4, first 2 shown]
	v_fma_f64 v[15:16], -v[60:61], v[56:57], v[15:16]
	v_fma_f64 v[9:10], v[58:59], v[56:57], v[9:10]
	v_fma_f64 v[21:22], -v[64:65], v[56:57], v[21:22]
	v_fma_f64 v[23:24], v[62:63], v[56:57], v[23:24]
	;; [unrolled: 2-line block ×4, first 2 shown]
	s_cbranch_scc0 .LBB133_12
; %bb.13:                               ;   in Loop: Header=BB133_11 Depth=1
	v_add_nc_u32_e32 v28, 16, v28
	v_add_nc_u32_e32 v30, 0x180, v30
	s_delay_alu instid0(VALU_DEP_2) | instskip(SKIP_1) | instid1(SALU_CYCLE_1)
	v_cmp_ge_i32_e32 vcc_lo, v28, v32
	s_or_b32 s4, vcc_lo, s4
	s_and_not1_b32 exec_lo, exec_lo, s4
	s_cbranch_execnz .LBB133_11
; %bb.14:
	s_or_b32 exec_lo, exec_lo, s4
.LBB133_15:
	s_delay_alu instid0(SALU_CYCLE_1)
	s_or_b32 exec_lo, exec_lo, s1
	s_cbranch_execz .LBB133_17
	s_branch .LBB133_24
.LBB133_16:
                                        ; implicit-def: $vgpr9_vgpr10
                                        ; implicit-def: $vgpr15_vgpr16
                                        ; implicit-def: $vgpr11_vgpr12
                                        ; implicit-def: $vgpr13_vgpr14
                                        ; implicit-def: $vgpr17_vgpr18
                                        ; implicit-def: $vgpr19_vgpr20
                                        ; implicit-def: $vgpr21_vgpr22
                                        ; implicit-def: $vgpr23_vgpr24
.LBB133_17:
	v_mov_b32_e32 v9, 0
	v_mov_b32_e32 v10, 0
	s_delay_alu instid0(VALU_DEP_1)
	v_dual_mov_b32 v16, v10 :: v_dual_mov_b32 v15, v9
	v_dual_mov_b32 v12, v10 :: v_dual_mov_b32 v11, v9
	;; [unrolled: 1-line block ×7, first 2 shown]
	s_and_saveexec_b32 s1, s0
	s_cbranch_execz .LBB133_23
; %bb.18:
	v_mov_b32_e32 v9, 0
	v_dual_mov_b32 v10, 0 :: v_dual_mov_b32 v29, 0
	v_mul_lo_u32 v27, v25, 24
	s_add_u32 s0, s8, 16
	s_addc_u32 s5, s9, 0
	s_delay_alu instid0(VALU_DEP_2)
	v_dual_mov_b32 v16, v10 :: v_dual_mov_b32 v15, v9
	v_dual_mov_b32 v12, v10 :: v_dual_mov_b32 v11, v9
	;; [unrolled: 1-line block ×7, first 2 shown]
	s_mov_b32 s4, 0
.LBB133_19:                             ; =>This Loop Header: Depth=1
                                        ;     Child Loop BB133_20 Depth 2
	v_ashrrev_i32_e32 v26, 31, v25
	v_mov_b32_e32 v28, v29
	s_mov_b32 s13, 0
	s_delay_alu instid0(VALU_DEP_2) | instskip(NEXT) | instid1(VALU_DEP_1)
	v_lshlrev_b64 v[30:31], 2, v[25:26]
	v_add_co_u32 v30, vcc_lo, s6, v30
	s_delay_alu instid0(VALU_DEP_2) | instskip(SKIP_2) | instid1(VALU_DEP_1)
	v_add_co_ci_u32_e32 v31, vcc_lo, s7, v31, vcc_lo
	global_load_b32 v26, v[30:31], off
	v_lshlrev_b64 v[30:31], 4, v[27:28]
	v_add_co_u32 v30, vcc_lo, s0, v30
	s_delay_alu instid0(VALU_DEP_2) | instskip(SKIP_2) | instid1(VALU_DEP_1)
	v_add_co_ci_u32_e32 v31, vcc_lo, s5, v31, vcc_lo
	s_waitcnt vmcnt(0)
	v_subrev_nc_u32_e32 v26, s12, v26
	v_mul_lo_u32 v26, v26, 6
.LBB133_20:                             ;   Parent Loop BB133_19 Depth=1
                                        ; =>  This Inner Loop Header: Depth=2
	s_delay_alu instid0(VALU_DEP_1)
	v_add_nc_u32_e32 v28, s13, v26
	v_add_nc_u32_e32 v48, s13, v27
	s_clause 0x1
	global_load_b128 v[33:36], v[30:31], off
	global_load_b128 v[37:40], v[30:31], off offset:-16
	s_add_i32 s13, s13, 2
	s_delay_alu instid0(SALU_CYCLE_1) | instskip(SKIP_2) | instid1(VALU_DEP_1)
	s_cmp_eq_u32 s13, 6
	v_lshlrev_b64 v[42:43], 4, v[28:29]
	v_add_nc_u32_e32 v28, 6, v48
	v_lshlrev_b64 v[44:45], 4, v[28:29]
	v_add_nc_u32_e32 v28, 12, v48
	s_delay_alu instid0(VALU_DEP_4) | instskip(SKIP_1) | instid1(VALU_DEP_3)
	v_add_co_u32 v46, vcc_lo, s10, v42
	v_add_co_ci_u32_e32 v47, vcc_lo, s11, v43, vcc_lo
	v_lshlrev_b64 v[54:55], 4, v[28:29]
	v_add_nc_u32_e32 v28, 18, v48
	v_add_co_u32 v56, vcc_lo, s8, v44
	v_add_co_ci_u32_e32 v57, vcc_lo, s9, v45, vcc_lo
	s_delay_alu instid0(VALU_DEP_3)
	v_lshlrev_b64 v[58:59], 4, v[28:29]
	v_add_co_u32 v62, vcc_lo, s8, v54
	v_add_co_ci_u32_e32 v63, vcc_lo, s9, v55, vcc_lo
	s_clause 0x1
	global_load_b128 v[42:45], v[46:47], off offset:16
	global_load_b128 v[46:49], v[46:47], off
	v_add_co_u32 v70, vcc_lo, s8, v58
	v_add_co_ci_u32_e32 v71, vcc_lo, s9, v59, vcc_lo
	s_clause 0x5
	global_load_b128 v[50:53], v[56:57], off
	global_load_b128 v[54:57], v[56:57], off offset:16
	global_load_b128 v[58:61], v[62:63], off
	global_load_b128 v[62:65], v[62:63], off offset:16
	;; [unrolled: 2-line block ×3, first 2 shown]
	v_add_co_u32 v30, vcc_lo, v30, 32
	v_add_co_ci_u32_e32 v31, vcc_lo, 0, v31, vcc_lo
	s_waitcnt vmcnt(6)
	v_fma_f64 v[15:16], v[37:38], v[46:47], v[15:16]
	v_fma_f64 v[9:10], v[39:40], v[46:47], v[9:10]
	s_waitcnt vmcnt(3)
	v_fma_f64 v[17:18], v[58:59], v[46:47], v[17:18]
	v_fma_f64 v[19:20], v[60:61], v[46:47], v[19:20]
	v_fma_f64 v[21:22], v[50:51], v[46:47], v[21:22]
	v_fma_f64 v[23:24], v[52:53], v[46:47], v[23:24]
	s_waitcnt vmcnt(1)
	v_fma_f64 v[11:12], v[66:67], v[46:47], v[11:12]
	v_fma_f64 v[13:14], v[68:69], v[46:47], v[13:14]
	v_fma_f64 v[15:16], -v[39:40], v[48:49], v[15:16]
	v_fma_f64 v[9:10], v[37:38], v[48:49], v[9:10]
	v_fma_f64 v[17:18], -v[60:61], v[48:49], v[17:18]
	;; [unrolled: 2-line block ×4, first 2 shown]
	v_fma_f64 v[13:14], v[66:67], v[48:49], v[13:14]
	v_fma_f64 v[15:16], v[33:34], v[42:43], v[15:16]
	;; [unrolled: 1-line block ×7, first 2 shown]
	s_waitcnt vmcnt(0)
	v_fma_f64 v[11:12], v[70:71], v[42:43], v[11:12]
	v_fma_f64 v[13:14], v[72:73], v[42:43], v[13:14]
	v_fma_f64 v[15:16], -v[35:36], v[44:45], v[15:16]
	v_fma_f64 v[9:10], v[33:34], v[44:45], v[9:10]
	v_fma_f64 v[17:18], -v[64:65], v[44:45], v[17:18]
	;; [unrolled: 2-line block ×4, first 2 shown]
	v_fma_f64 v[13:14], v[70:71], v[44:45], v[13:14]
	s_cbranch_scc0 .LBB133_20
; %bb.21:                               ;   in Loop: Header=BB133_19 Depth=1
	v_add_nc_u32_e32 v25, 16, v25
	v_add_nc_u32_e32 v27, 0x180, v27
	s_delay_alu instid0(VALU_DEP_2) | instskip(SKIP_1) | instid1(SALU_CYCLE_1)
	v_cmp_ge_i32_e32 vcc_lo, v25, v32
	s_or_b32 s4, vcc_lo, s4
	s_and_not1_b32 exec_lo, exec_lo, s4
	s_cbranch_execnz .LBB133_19
; %bb.22:
	s_or_b32 exec_lo, exec_lo, s4
.LBB133_23:
	s_delay_alu instid0(SALU_CYCLE_1)
	s_or_b32 exec_lo, exec_lo, s1
.LBB133_24:
	v_mbcnt_lo_u32_b32 v44, -1, 0
	s_delay_alu instid0(VALU_DEP_1) | instskip(NEXT) | instid1(VALU_DEP_1)
	v_xor_b32_e32 v25, 8, v44
	v_cmp_gt_i32_e32 vcc_lo, 32, v25
	v_cndmask_b32_e32 v25, v44, v25, vcc_lo
	s_delay_alu instid0(VALU_DEP_1)
	v_lshlrev_b32_e32 v40, 2, v25
	ds_bpermute_b32 v25, v40, v15
	ds_bpermute_b32 v26, v40, v16
	;; [unrolled: 1-line block ×16, first 2 shown]
	s_waitcnt lgkmcnt(14)
	v_add_f64 v[15:16], v[15:16], v[25:26]
	v_xor_b32_e32 v25, 4, v44
	s_waitcnt lgkmcnt(12)
	v_add_f64 v[9:10], v[9:10], v[27:28]
	s_waitcnt lgkmcnt(10)
	v_add_f64 v[21:22], v[21:22], v[29:30]
	;; [unrolled: 2-line block ×3, first 2 shown]
	v_cmp_gt_i32_e32 vcc_lo, 32, v25
	s_waitcnt lgkmcnt(6)
	v_add_f64 v[17:18], v[17:18], v[33:34]
	s_waitcnt lgkmcnt(4)
	v_add_f64 v[19:20], v[19:20], v[35:36]
	;; [unrolled: 2-line block ×3, first 2 shown]
	v_cndmask_b32_e32 v25, v44, v25, vcc_lo
	s_waitcnt lgkmcnt(0)
	v_add_f64 v[13:14], v[13:14], v[39:40]
	s_delay_alu instid0(VALU_DEP_2)
	v_lshlrev_b32_e32 v40, 2, v25
	ds_bpermute_b32 v25, v40, v15
	ds_bpermute_b32 v26, v40, v16
	;; [unrolled: 1-line block ×16, first 2 shown]
	s_waitcnt lgkmcnt(14)
	v_add_f64 v[15:16], v[15:16], v[25:26]
	s_waitcnt lgkmcnt(12)
	v_add_f64 v[25:26], v[9:10], v[27:28]
	v_xor_b32_e32 v9, 2, v44
	s_waitcnt lgkmcnt(10)
	v_add_f64 v[21:22], v[21:22], v[29:30]
	s_waitcnt lgkmcnt(8)
	v_add_f64 v[27:28], v[23:24], v[31:32]
	;; [unrolled: 2-line block ×3, first 2 shown]
	v_cmp_gt_i32_e32 vcc_lo, 32, v9
	s_waitcnt lgkmcnt(4)
	v_add_f64 v[19:20], v[19:20], v[35:36]
	s_waitcnt lgkmcnt(2)
	v_add_f64 v[29:30], v[11:12], v[37:38]
	;; [unrolled: 2-line block ×3, first 2 shown]
	v_cndmask_b32_e32 v9, v44, v9, vcc_lo
	s_delay_alu instid0(VALU_DEP_1)
	v_lshlrev_b32_e32 v23, 2, v9
	ds_bpermute_b32 v9, v23, v15
	ds_bpermute_b32 v10, v23, v16
	;; [unrolled: 1-line block ×16, first 2 shown]
	s_waitcnt lgkmcnt(14)
	v_add_f64 v[9:10], v[15:16], v[9:10]
	s_waitcnt lgkmcnt(12)
	v_add_f64 v[23:24], v[25:26], v[11:12]
	v_xor_b32_e32 v25, 1, v44
	s_waitcnt lgkmcnt(10)
	v_add_f64 v[11:12], v[21:22], v[13:14]
	s_waitcnt lgkmcnt(8)
	v_add_f64 v[21:22], v[27:28], v[33:34]
	;; [unrolled: 2-line block ×3, first 2 shown]
	v_cmp_gt_i32_e32 vcc_lo, 32, v25
	s_waitcnt lgkmcnt(4)
	v_add_f64 v[19:20], v[19:20], v[37:38]
	s_waitcnt lgkmcnt(2)
	v_add_f64 v[15:16], v[29:30], v[39:40]
	;; [unrolled: 2-line block ×3, first 2 shown]
	v_cndmask_b32_e32 v25, v44, v25, vcc_lo
	v_cmp_eq_u32_e32 vcc_lo, 15, v41
	s_delay_alu instid0(VALU_DEP_2)
	v_lshlrev_b32_e32 v28, 2, v25
	ds_bpermute_b32 v39, v28, v9
	ds_bpermute_b32 v40, v28, v10
	;; [unrolled: 1-line block ×16, first 2 shown]
	s_and_b32 exec_lo, exec_lo, vcc_lo
	s_cbranch_execz .LBB133_29
; %bb.25:
	v_cmp_eq_f64_e32 vcc_lo, 0, v[4:5]
	v_cmp_eq_f64_e64 s0, 0, v[6:7]
	s_waitcnt lgkmcnt(14)
	v_add_f64 v[9:10], v[9:10], v[39:40]
	s_waitcnt lgkmcnt(12)
	v_add_f64 v[23:24], v[23:24], v[37:38]
	;; [unrolled: 2-line block ×8, first 2 shown]
	s_load_b64 s[2:3], s[2:3], 0x48
	s_and_b32 s0, vcc_lo, s0
	s_delay_alu instid0(SALU_CYCLE_1) | instskip(NEXT) | instid1(SALU_CYCLE_1)
	s_and_saveexec_b32 s1, s0
	s_xor_b32 s0, exec_lo, s1
	s_cbranch_execz .LBB133_27
; %bb.26:
	v_mul_f64 v[4:5], v[23:24], -v[2:3]
	v_mul_f64 v[6:7], v[0:1], v[23:24]
	v_mul_f64 v[23:24], v[21:22], -v[2:3]
	v_mul_f64 v[21:22], v[0:1], v[21:22]
	;; [unrolled: 2-line block ×4, first 2 shown]
	v_fma_f64 v[4:5], v[0:1], v[9:10], v[4:5]
	v_fma_f64 v[6:7], v[2:3], v[9:10], v[6:7]
	;; [unrolled: 1-line block ×8, first 2 shown]
	v_lshlrev_b32_e32 v13, 2, v8
                                        ; implicit-def: $vgpr8
                                        ; implicit-def: $vgpr23_vgpr24
                                        ; implicit-def: $vgpr21_vgpr22
                                        ; implicit-def: $vgpr15_vgpr16
	s_delay_alu instid0(VALU_DEP_1) | instskip(NEXT) | instid1(VALU_DEP_1)
	v_ashrrev_i32_e32 v14, 31, v13
	v_lshlrev_b64 v[13:14], 4, v[13:14]
	s_waitcnt lgkmcnt(0)
	s_delay_alu instid0(VALU_DEP_1) | instskip(NEXT) | instid1(VALU_DEP_2)
	v_add_co_u32 v13, vcc_lo, s2, v13
	v_add_co_ci_u32_e32 v14, vcc_lo, s3, v14, vcc_lo
	s_clause 0x3
	global_store_b128 v[13:14], v[4:7], off
	global_store_b128 v[13:14], v[9:12], off offset:16
	global_store_b128 v[13:14], v[17:20], off offset:32
	;; [unrolled: 1-line block ×3, first 2 shown]
                                        ; implicit-def: $vgpr0_vgpr1
                                        ; implicit-def: $vgpr2_vgpr3
                                        ; implicit-def: $vgpr4_vgpr5
                                        ; implicit-def: $vgpr6_vgpr7
                                        ; implicit-def: $vgpr9_vgpr10
                                        ; implicit-def: $vgpr11_vgpr12
                                        ; implicit-def: $vgpr13_vgpr14
                                        ; implicit-def: $vgpr19_vgpr20
                                        ; implicit-def: $vgpr17_vgpr18
.LBB133_27:
	s_and_not1_saveexec_b32 s0, s0
	s_cbranch_execz .LBB133_29
; %bb.28:
	v_lshlrev_b32_e32 v25, 2, v8
	v_mul_f64 v[43:44], v[23:24], -v[2:3]
	v_mul_f64 v[23:24], v[0:1], v[23:24]
	v_mul_f64 v[45:46], v[21:22], -v[2:3]
	v_mul_f64 v[21:22], v[0:1], v[21:22]
	v_ashrrev_i32_e32 v26, 31, v25
	v_mul_f64 v[47:48], v[19:20], -v[2:3]
	v_mul_f64 v[19:20], v[0:1], v[19:20]
	v_mul_f64 v[49:50], v[17:18], -v[2:3]
	v_mul_f64 v[17:18], v[0:1], v[17:18]
	v_lshlrev_b64 v[25:26], 4, v[25:26]
	s_waitcnt lgkmcnt(0)
	s_delay_alu instid0(VALU_DEP_1) | instskip(NEXT) | instid1(VALU_DEP_2)
	v_add_co_u32 v41, vcc_lo, s2, v25
	v_add_co_ci_u32_e32 v42, vcc_lo, s3, v26, vcc_lo
	s_clause 0x3
	global_load_b128 v[25:28], v[41:42], off
	global_load_b128 v[29:32], v[41:42], off offset:16
	global_load_b128 v[33:36], v[41:42], off offset:32
	;; [unrolled: 1-line block ×3, first 2 shown]
	v_fma_f64 v[43:44], v[0:1], v[9:10], v[43:44]
	v_fma_f64 v[8:9], v[2:3], v[9:10], v[23:24]
	;; [unrolled: 1-line block ×8, first 2 shown]
	s_waitcnt vmcnt(3)
	v_fma_f64 v[14:15], v[4:5], v[25:26], v[43:44]
	v_fma_f64 v[8:9], v[6:7], v[25:26], v[8:9]
	s_waitcnt vmcnt(2)
	v_fma_f64 v[16:17], v[4:5], v[29:30], v[23:24]
	v_fma_f64 v[10:11], v[6:7], v[29:30], v[10:11]
	;; [unrolled: 3-line block ×4, first 2 shown]
	v_fma_f64 v[0:1], -v[6:7], v[27:28], v[14:15]
	v_fma_f64 v[2:3], v[4:5], v[27:28], v[8:9]
	v_fma_f64 v[8:9], -v[6:7], v[31:32], v[16:17]
	v_fma_f64 v[10:11], v[4:5], v[31:32], v[10:11]
	;; [unrolled: 2-line block ×4, first 2 shown]
	s_clause 0x3
	global_store_b128 v[41:42], v[0:3], off
	global_store_b128 v[41:42], v[8:11], off offset:16
	global_store_b128 v[41:42], v[12:15], off offset:32
	;; [unrolled: 1-line block ×3, first 2 shown]
.LBB133_29:
	s_nop 0
	s_sendmsg sendmsg(MSG_DEALLOC_VGPRS)
	s_endpgm
	.section	.rodata,"a",@progbits
	.p2align	6, 0x0
	.amdhsa_kernel _ZN9rocsparseL19gebsrmvn_4xn_kernelILj128ELj6ELj16E21rocsparse_complex_numIdEEEvi20rocsparse_direction_NS_24const_host_device_scalarIT2_EEPKiS8_PKS5_SA_S6_PS5_21rocsparse_index_base_b
		.amdhsa_group_segment_fixed_size 2048
		.amdhsa_private_segment_fixed_size 0
		.amdhsa_kernarg_size 88
		.amdhsa_user_sgpr_count 15
		.amdhsa_user_sgpr_dispatch_ptr 1
		.amdhsa_user_sgpr_queue_ptr 0
		.amdhsa_user_sgpr_kernarg_segment_ptr 1
		.amdhsa_user_sgpr_dispatch_id 0
		.amdhsa_user_sgpr_private_segment_size 0
		.amdhsa_wavefront_size32 1
		.amdhsa_uses_dynamic_stack 0
		.amdhsa_enable_private_segment 0
		.amdhsa_system_sgpr_workgroup_id_x 1
		.amdhsa_system_sgpr_workgroup_id_y 0
		.amdhsa_system_sgpr_workgroup_id_z 0
		.amdhsa_system_sgpr_workgroup_info 0
		.amdhsa_system_vgpr_workitem_id 2
		.amdhsa_next_free_vgpr 74
		.amdhsa_next_free_sgpr 18
		.amdhsa_reserve_vcc 1
		.amdhsa_float_round_mode_32 0
		.amdhsa_float_round_mode_16_64 0
		.amdhsa_float_denorm_mode_32 3
		.amdhsa_float_denorm_mode_16_64 3
		.amdhsa_dx10_clamp 1
		.amdhsa_ieee_mode 1
		.amdhsa_fp16_overflow 0
		.amdhsa_workgroup_processor_mode 1
		.amdhsa_memory_ordered 1
		.amdhsa_forward_progress 0
		.amdhsa_shared_vgpr_count 0
		.amdhsa_exception_fp_ieee_invalid_op 0
		.amdhsa_exception_fp_denorm_src 0
		.amdhsa_exception_fp_ieee_div_zero 0
		.amdhsa_exception_fp_ieee_overflow 0
		.amdhsa_exception_fp_ieee_underflow 0
		.amdhsa_exception_fp_ieee_inexact 0
		.amdhsa_exception_int_div_zero 0
	.end_amdhsa_kernel
	.section	.text._ZN9rocsparseL19gebsrmvn_4xn_kernelILj128ELj6ELj16E21rocsparse_complex_numIdEEEvi20rocsparse_direction_NS_24const_host_device_scalarIT2_EEPKiS8_PKS5_SA_S6_PS5_21rocsparse_index_base_b,"axG",@progbits,_ZN9rocsparseL19gebsrmvn_4xn_kernelILj128ELj6ELj16E21rocsparse_complex_numIdEEEvi20rocsparse_direction_NS_24const_host_device_scalarIT2_EEPKiS8_PKS5_SA_S6_PS5_21rocsparse_index_base_b,comdat
.Lfunc_end133:
	.size	_ZN9rocsparseL19gebsrmvn_4xn_kernelILj128ELj6ELj16E21rocsparse_complex_numIdEEEvi20rocsparse_direction_NS_24const_host_device_scalarIT2_EEPKiS8_PKS5_SA_S6_PS5_21rocsparse_index_base_b, .Lfunc_end133-_ZN9rocsparseL19gebsrmvn_4xn_kernelILj128ELj6ELj16E21rocsparse_complex_numIdEEEvi20rocsparse_direction_NS_24const_host_device_scalarIT2_EEPKiS8_PKS5_SA_S6_PS5_21rocsparse_index_base_b
                                        ; -- End function
	.section	.AMDGPU.csdata,"",@progbits
; Kernel info:
; codeLenInByte = 3672
; NumSgprs: 20
; NumVgprs: 74
; ScratchSize: 0
; MemoryBound: 0
; FloatMode: 240
; IeeeMode: 1
; LDSByteSize: 2048 bytes/workgroup (compile time only)
; SGPRBlocks: 2
; VGPRBlocks: 9
; NumSGPRsForWavesPerEU: 20
; NumVGPRsForWavesPerEU: 74
; Occupancy: 16
; WaveLimiterHint : 1
; COMPUTE_PGM_RSRC2:SCRATCH_EN: 0
; COMPUTE_PGM_RSRC2:USER_SGPR: 15
; COMPUTE_PGM_RSRC2:TRAP_HANDLER: 0
; COMPUTE_PGM_RSRC2:TGID_X_EN: 1
; COMPUTE_PGM_RSRC2:TGID_Y_EN: 0
; COMPUTE_PGM_RSRC2:TGID_Z_EN: 0
; COMPUTE_PGM_RSRC2:TIDIG_COMP_CNT: 2
	.section	.text._ZN9rocsparseL19gebsrmvn_4xn_kernelILj128ELj6ELj32E21rocsparse_complex_numIdEEEvi20rocsparse_direction_NS_24const_host_device_scalarIT2_EEPKiS8_PKS5_SA_S6_PS5_21rocsparse_index_base_b,"axG",@progbits,_ZN9rocsparseL19gebsrmvn_4xn_kernelILj128ELj6ELj32E21rocsparse_complex_numIdEEEvi20rocsparse_direction_NS_24const_host_device_scalarIT2_EEPKiS8_PKS5_SA_S6_PS5_21rocsparse_index_base_b,comdat
	.globl	_ZN9rocsparseL19gebsrmvn_4xn_kernelILj128ELj6ELj32E21rocsparse_complex_numIdEEEvi20rocsparse_direction_NS_24const_host_device_scalarIT2_EEPKiS8_PKS5_SA_S6_PS5_21rocsparse_index_base_b ; -- Begin function _ZN9rocsparseL19gebsrmvn_4xn_kernelILj128ELj6ELj32E21rocsparse_complex_numIdEEEvi20rocsparse_direction_NS_24const_host_device_scalarIT2_EEPKiS8_PKS5_SA_S6_PS5_21rocsparse_index_base_b
	.p2align	8
	.type	_ZN9rocsparseL19gebsrmvn_4xn_kernelILj128ELj6ELj32E21rocsparse_complex_numIdEEEvi20rocsparse_direction_NS_24const_host_device_scalarIT2_EEPKiS8_PKS5_SA_S6_PS5_21rocsparse_index_base_b,@function
_ZN9rocsparseL19gebsrmvn_4xn_kernelILj128ELj6ELj32E21rocsparse_complex_numIdEEEvi20rocsparse_direction_NS_24const_host_device_scalarIT2_EEPKiS8_PKS5_SA_S6_PS5_21rocsparse_index_base_b: ; @_ZN9rocsparseL19gebsrmvn_4xn_kernelILj128ELj6ELj32E21rocsparse_complex_numIdEEEvi20rocsparse_direction_NS_24const_host_device_scalarIT2_EEPKiS8_PKS5_SA_S6_PS5_21rocsparse_index_base_b
; %bb.0:
	s_load_b64 s[12:13], s[2:3], 0x50
	s_load_b64 s[16:17], s[0:1], 0x4
	s_load_b128 s[8:11], s[2:3], 0x8
	v_bfe_u32 v1, v0, 10, 10
	s_mov_b64 s[0:1], src_shared_base
	s_load_b128 s[4:7], s[2:3], 0x38
	v_and_b32_e32 v10, 0x3ff, v0
	v_bfe_u32 v0, v0, 20, 10
	s_waitcnt lgkmcnt(0)
	s_bitcmp1_b32 s13, 0
	v_mul_u32_u24_e32 v1, s17, v1
	s_cselect_b32 s0, -1, 0
	s_delay_alu instid0(SALU_CYCLE_1)
	s_and_b32 vcc_lo, s0, exec_lo
	s_cselect_b32 s13, s1, s9
	s_lshr_b32 s14, s16, 16
	v_dual_mov_b32 v2, s4 :: v_dual_mov_b32 v3, s5
	s_mul_i32 s14, s14, s17
	v_mov_b32_e32 v6, s13
	v_mad_u32_u24 v1, s14, v10, v1
	s_delay_alu instid0(VALU_DEP_1) | instskip(SKIP_1) | instid1(VALU_DEP_2)
	v_add_lshl_u32 v4, v1, v0, 3
	v_dual_mov_b32 v0, s8 :: v_dual_mov_b32 v1, s9
	v_add_nc_u32_e32 v5, 0x400, v4
	ds_store_2addr_stride64_b64 v4, v[2:3], v[0:1] offset1:2
	v_dual_mov_b32 v2, s10 :: v_dual_mov_b32 v3, s11
	v_cndmask_b32_e64 v5, s8, v5, s0
	s_xor_b32 s10, s0, -1
	flat_load_b64 v[0:1], v[5:6]
	s_cbranch_vccnz .LBB134_2
; %bb.1:
	v_dual_mov_b32 v2, s8 :: v_dual_mov_b32 v3, s9
	flat_load_b64 v[2:3], v[2:3] offset:8
.LBB134_2:
	s_and_b32 s8, s0, exec_lo
	s_cselect_b32 s1, s1, s5
	v_cndmask_b32_e64 v4, s4, v4, s0
	v_dual_mov_b32 v5, s1 :: v_dual_mov_b32 v6, s6
	v_mov_b32_e32 v7, s7
	s_and_not1_b32 vcc_lo, exec_lo, s10
	flat_load_b64 v[4:5], v[4:5]
	s_cbranch_vccnz .LBB134_4
; %bb.3:
	v_dual_mov_b32 v7, s5 :: v_dual_mov_b32 v6, s4
	flat_load_b64 v[6:7], v[6:7] offset:8
.LBB134_4:
	s_waitcnt vmcnt(1) lgkmcnt(1)
	v_cmp_eq_f64_e32 vcc_lo, 0, v[0:1]
	v_cmp_eq_f64_e64 s0, 0, v[2:3]
	s_delay_alu instid0(VALU_DEP_1)
	s_and_b32 s4, vcc_lo, s0
	s_mov_b32 s0, -1
	s_and_saveexec_b32 s1, s4
	s_cbranch_execz .LBB134_6
; %bb.5:
	s_waitcnt vmcnt(0) lgkmcnt(0)
	v_cmp_neq_f64_e32 vcc_lo, 1.0, v[4:5]
	v_cmp_neq_f64_e64 s0, 0, v[6:7]
	s_delay_alu instid0(VALU_DEP_1) | instskip(NEXT) | instid1(SALU_CYCLE_1)
	s_or_b32 s0, vcc_lo, s0
	s_or_not1_b32 s0, s0, exec_lo
.LBB134_6:
	s_or_b32 exec_lo, exec_lo, s1
	s_and_saveexec_b32 s1, s0
	s_cbranch_execz .LBB134_29
; %bb.7:
	s_load_b64 s[0:1], s[2:3], 0x0
	v_lshrrev_b32_e32 v8, 5, v10
	s_delay_alu instid0(VALU_DEP_1) | instskip(SKIP_1) | instid1(VALU_DEP_1)
	v_lshl_or_b32 v8, s15, 2, v8
	s_waitcnt lgkmcnt(0)
	v_cmp_gt_i32_e32 vcc_lo, s0, v8
	s_and_b32 exec_lo, exec_lo, vcc_lo
	s_cbranch_execz .LBB134_29
; %bb.8:
	s_load_b256 s[4:11], s[2:3], 0x18
	v_ashrrev_i32_e32 v9, 31, v8
	v_and_b32_e32 v41, 31, v10
	s_cmp_lg_u32 s1, 0
	s_delay_alu instid0(VALU_DEP_2) | instskip(SKIP_1) | instid1(VALU_DEP_1)
	v_lshlrev_b64 v[11:12], 2, v[8:9]
	s_waitcnt lgkmcnt(0)
	v_add_co_u32 v11, vcc_lo, s4, v11
	s_delay_alu instid0(VALU_DEP_2) | instskip(SKIP_4) | instid1(VALU_DEP_2)
	v_add_co_ci_u32_e32 v12, vcc_lo, s5, v12, vcc_lo
	global_load_b64 v[11:12], v[11:12], off
	s_waitcnt vmcnt(0)
	v_subrev_nc_u32_e32 v9, s12, v11
	v_subrev_nc_u32_e32 v32, s12, v12
	v_add_nc_u32_e32 v25, v9, v41
	s_delay_alu instid0(VALU_DEP_1)
	v_cmp_lt_i32_e64 s0, v25, v32
	s_cbranch_scc0 .LBB134_16
; %bb.9:
	v_mov_b32_e32 v9, 0
	v_mov_b32_e32 v10, 0
	s_delay_alu instid0(VALU_DEP_1)
	v_dual_mov_b32 v16, v10 :: v_dual_mov_b32 v15, v9
	v_dual_mov_b32 v12, v10 :: v_dual_mov_b32 v11, v9
	;; [unrolled: 1-line block ×7, first 2 shown]
	s_and_saveexec_b32 s1, s0
	s_cbranch_execz .LBB134_15
; %bb.10:
	v_dual_mov_b32 v9, 0 :: v_dual_mov_b32 v28, v25
	v_dual_mov_b32 v10, 0 :: v_dual_mov_b32 v27, 0
	v_mul_lo_u32 v30, v25, 24
	s_mov_b32 s4, 0
	s_delay_alu instid0(VALU_DEP_2)
	v_dual_mov_b32 v16, v10 :: v_dual_mov_b32 v15, v9
	v_dual_mov_b32 v12, v10 :: v_dual_mov_b32 v11, v9
	;; [unrolled: 1-line block ×7, first 2 shown]
.LBB134_11:                             ; =>This Loop Header: Depth=1
                                        ;     Child Loop BB134_12 Depth 2
	v_ashrrev_i32_e32 v29, 31, v28
	s_mov_b32 s5, 0
	s_delay_alu instid0(VALU_DEP_1) | instskip(NEXT) | instid1(VALU_DEP_1)
	v_lshlrev_b64 v[33:34], 2, v[28:29]
	v_add_co_u32 v33, vcc_lo, s6, v33
	s_delay_alu instid0(VALU_DEP_2) | instskip(SKIP_3) | instid1(VALU_DEP_1)
	v_add_co_ci_u32_e32 v34, vcc_lo, s7, v34, vcc_lo
	global_load_b32 v26, v[33:34], off
	s_waitcnt vmcnt(0)
	v_subrev_nc_u32_e32 v26, s12, v26
	v_mul_lo_u32 v29, v26, 6
	v_mov_b32_e32 v26, v30
.LBB134_12:                             ;   Parent Loop BB134_11 Depth=1
                                        ; =>  This Inner Loop Header: Depth=2
	s_delay_alu instid0(VALU_DEP_2) | instskip(NEXT) | instid1(VALU_DEP_2)
	v_dual_mov_b32 v34, v27 :: v_dual_add_nc_u32 v33, s5, v29
	v_lshlrev_b64 v[35:36], 4, v[26:27]
	v_dual_mov_b32 v59, v27 :: v_dual_add_nc_u32 v58, 4, v26
	v_add_nc_u32_e32 v26, 8, v26
	s_delay_alu instid0(VALU_DEP_4) | instskip(SKIP_1) | instid1(VALU_DEP_4)
	v_lshlrev_b64 v[33:34], 4, v[33:34]
	s_add_i32 s5, s5, 2
	v_add_co_u32 v46, vcc_lo, s8, v35
	v_add_co_ci_u32_e32 v47, vcc_lo, s9, v36, vcc_lo
	s_delay_alu instid0(VALU_DEP_3) | instskip(NEXT) | instid1(VALU_DEP_4)
	v_add_co_u32 v54, vcc_lo, s10, v33
	v_add_co_ci_u32_e32 v55, vcc_lo, s11, v34, vcc_lo
	s_clause 0x3
	global_load_b128 v[33:36], v[46:47], off offset:48
	global_load_b128 v[37:40], v[46:47], off offset:32
	global_load_b128 v[42:45], v[46:47], off offset:16
	global_load_b128 v[46:49], v[46:47], off
	s_clause 0x1
	global_load_b128 v[50:53], v[54:55], off
	global_load_b128 v[54:57], v[54:55], off offset:16
	v_lshlrev_b64 v[58:59], 4, v[58:59]
	s_cmp_eq_u32 s5, 6
	s_delay_alu instid0(VALU_DEP_1) | instskip(NEXT) | instid1(VALU_DEP_2)
	v_add_co_u32 v70, vcc_lo, s8, v58
	v_add_co_ci_u32_e32 v71, vcc_lo, s9, v59, vcc_lo
	s_clause 0x3
	global_load_b128 v[58:61], v[70:71], off
	global_load_b128 v[62:65], v[70:71], off offset:16
	global_load_b128 v[66:69], v[70:71], off offset:32
	;; [unrolled: 1-line block ×3, first 2 shown]
	s_waitcnt vmcnt(5)
	v_fma_f64 v[15:16], v[46:47], v[50:51], v[15:16]
	v_fma_f64 v[9:10], v[48:49], v[50:51], v[9:10]
	;; [unrolled: 1-line block ×8, first 2 shown]
	v_fma_f64 v[15:16], -v[48:49], v[52:53], v[15:16]
	v_fma_f64 v[9:10], v[46:47], v[52:53], v[9:10]
	v_fma_f64 v[21:22], -v[44:45], v[52:53], v[21:22]
	v_fma_f64 v[23:24], v[42:43], v[52:53], v[23:24]
	;; [unrolled: 2-line block ×4, first 2 shown]
	s_waitcnt vmcnt(3)
	v_fma_f64 v[15:16], v[58:59], v[54:55], v[15:16]
	v_fma_f64 v[9:10], v[60:61], v[54:55], v[9:10]
	s_waitcnt vmcnt(2)
	v_fma_f64 v[21:22], v[62:63], v[54:55], v[21:22]
	v_fma_f64 v[23:24], v[64:65], v[54:55], v[23:24]
	;; [unrolled: 3-line block ×4, first 2 shown]
	v_fma_f64 v[15:16], -v[60:61], v[56:57], v[15:16]
	v_fma_f64 v[9:10], v[58:59], v[56:57], v[9:10]
	v_fma_f64 v[21:22], -v[64:65], v[56:57], v[21:22]
	v_fma_f64 v[23:24], v[62:63], v[56:57], v[23:24]
	;; [unrolled: 2-line block ×4, first 2 shown]
	s_cbranch_scc0 .LBB134_12
; %bb.13:                               ;   in Loop: Header=BB134_11 Depth=1
	v_add_nc_u32_e32 v28, 32, v28
	v_add_nc_u32_e32 v30, 0x300, v30
	s_delay_alu instid0(VALU_DEP_2) | instskip(SKIP_1) | instid1(SALU_CYCLE_1)
	v_cmp_ge_i32_e32 vcc_lo, v28, v32
	s_or_b32 s4, vcc_lo, s4
	s_and_not1_b32 exec_lo, exec_lo, s4
	s_cbranch_execnz .LBB134_11
; %bb.14:
	s_or_b32 exec_lo, exec_lo, s4
.LBB134_15:
	s_delay_alu instid0(SALU_CYCLE_1)
	s_or_b32 exec_lo, exec_lo, s1
	s_cbranch_execz .LBB134_17
	s_branch .LBB134_24
.LBB134_16:
                                        ; implicit-def: $vgpr9_vgpr10
                                        ; implicit-def: $vgpr15_vgpr16
                                        ; implicit-def: $vgpr11_vgpr12
                                        ; implicit-def: $vgpr13_vgpr14
                                        ; implicit-def: $vgpr17_vgpr18
                                        ; implicit-def: $vgpr19_vgpr20
                                        ; implicit-def: $vgpr21_vgpr22
                                        ; implicit-def: $vgpr23_vgpr24
.LBB134_17:
	v_mov_b32_e32 v9, 0
	v_mov_b32_e32 v10, 0
	s_delay_alu instid0(VALU_DEP_1)
	v_dual_mov_b32 v16, v10 :: v_dual_mov_b32 v15, v9
	v_dual_mov_b32 v12, v10 :: v_dual_mov_b32 v11, v9
	v_dual_mov_b32 v14, v10 :: v_dual_mov_b32 v13, v9
	v_dual_mov_b32 v18, v10 :: v_dual_mov_b32 v17, v9
	v_dual_mov_b32 v20, v10 :: v_dual_mov_b32 v19, v9
	v_dual_mov_b32 v22, v10 :: v_dual_mov_b32 v21, v9
	v_dual_mov_b32 v24, v10 :: v_dual_mov_b32 v23, v9
	s_and_saveexec_b32 s1, s0
	s_cbranch_execz .LBB134_23
; %bb.18:
	v_mov_b32_e32 v9, 0
	v_dual_mov_b32 v10, 0 :: v_dual_mov_b32 v29, 0
	v_mul_lo_u32 v27, v25, 24
	s_add_u32 s0, s8, 16
	s_addc_u32 s5, s9, 0
	s_delay_alu instid0(VALU_DEP_2)
	v_dual_mov_b32 v16, v10 :: v_dual_mov_b32 v15, v9
	v_dual_mov_b32 v12, v10 :: v_dual_mov_b32 v11, v9
	;; [unrolled: 1-line block ×7, first 2 shown]
	s_mov_b32 s4, 0
.LBB134_19:                             ; =>This Loop Header: Depth=1
                                        ;     Child Loop BB134_20 Depth 2
	v_ashrrev_i32_e32 v26, 31, v25
	v_mov_b32_e32 v28, v29
	s_mov_b32 s13, 0
	s_delay_alu instid0(VALU_DEP_2) | instskip(NEXT) | instid1(VALU_DEP_1)
	v_lshlrev_b64 v[30:31], 2, v[25:26]
	v_add_co_u32 v30, vcc_lo, s6, v30
	s_delay_alu instid0(VALU_DEP_2) | instskip(SKIP_2) | instid1(VALU_DEP_1)
	v_add_co_ci_u32_e32 v31, vcc_lo, s7, v31, vcc_lo
	global_load_b32 v26, v[30:31], off
	v_lshlrev_b64 v[30:31], 4, v[27:28]
	v_add_co_u32 v30, vcc_lo, s0, v30
	s_delay_alu instid0(VALU_DEP_2) | instskip(SKIP_2) | instid1(VALU_DEP_1)
	v_add_co_ci_u32_e32 v31, vcc_lo, s5, v31, vcc_lo
	s_waitcnt vmcnt(0)
	v_subrev_nc_u32_e32 v26, s12, v26
	v_mul_lo_u32 v26, v26, 6
.LBB134_20:                             ;   Parent Loop BB134_19 Depth=1
                                        ; =>  This Inner Loop Header: Depth=2
	s_delay_alu instid0(VALU_DEP_1)
	v_add_nc_u32_e32 v28, s13, v26
	v_add_nc_u32_e32 v48, s13, v27
	s_clause 0x1
	global_load_b128 v[33:36], v[30:31], off
	global_load_b128 v[37:40], v[30:31], off offset:-16
	s_add_i32 s13, s13, 2
	s_delay_alu instid0(SALU_CYCLE_1) | instskip(SKIP_2) | instid1(VALU_DEP_1)
	s_cmp_eq_u32 s13, 6
	v_lshlrev_b64 v[42:43], 4, v[28:29]
	v_add_nc_u32_e32 v28, 6, v48
	v_lshlrev_b64 v[44:45], 4, v[28:29]
	v_add_nc_u32_e32 v28, 12, v48
	s_delay_alu instid0(VALU_DEP_4) | instskip(SKIP_1) | instid1(VALU_DEP_3)
	v_add_co_u32 v46, vcc_lo, s10, v42
	v_add_co_ci_u32_e32 v47, vcc_lo, s11, v43, vcc_lo
	v_lshlrev_b64 v[54:55], 4, v[28:29]
	v_add_nc_u32_e32 v28, 18, v48
	v_add_co_u32 v56, vcc_lo, s8, v44
	v_add_co_ci_u32_e32 v57, vcc_lo, s9, v45, vcc_lo
	s_delay_alu instid0(VALU_DEP_3)
	v_lshlrev_b64 v[58:59], 4, v[28:29]
	v_add_co_u32 v62, vcc_lo, s8, v54
	v_add_co_ci_u32_e32 v63, vcc_lo, s9, v55, vcc_lo
	s_clause 0x1
	global_load_b128 v[42:45], v[46:47], off offset:16
	global_load_b128 v[46:49], v[46:47], off
	v_add_co_u32 v70, vcc_lo, s8, v58
	v_add_co_ci_u32_e32 v71, vcc_lo, s9, v59, vcc_lo
	s_clause 0x5
	global_load_b128 v[50:53], v[56:57], off
	global_load_b128 v[54:57], v[56:57], off offset:16
	global_load_b128 v[58:61], v[62:63], off
	global_load_b128 v[62:65], v[62:63], off offset:16
	;; [unrolled: 2-line block ×3, first 2 shown]
	v_add_co_u32 v30, vcc_lo, v30, 32
	v_add_co_ci_u32_e32 v31, vcc_lo, 0, v31, vcc_lo
	s_waitcnt vmcnt(6)
	v_fma_f64 v[15:16], v[37:38], v[46:47], v[15:16]
	v_fma_f64 v[9:10], v[39:40], v[46:47], v[9:10]
	s_waitcnt vmcnt(3)
	v_fma_f64 v[17:18], v[58:59], v[46:47], v[17:18]
	v_fma_f64 v[19:20], v[60:61], v[46:47], v[19:20]
	;; [unrolled: 1-line block ×4, first 2 shown]
	s_waitcnt vmcnt(1)
	v_fma_f64 v[11:12], v[66:67], v[46:47], v[11:12]
	v_fma_f64 v[13:14], v[68:69], v[46:47], v[13:14]
	v_fma_f64 v[15:16], -v[39:40], v[48:49], v[15:16]
	v_fma_f64 v[9:10], v[37:38], v[48:49], v[9:10]
	v_fma_f64 v[17:18], -v[60:61], v[48:49], v[17:18]
	;; [unrolled: 2-line block ×4, first 2 shown]
	v_fma_f64 v[13:14], v[66:67], v[48:49], v[13:14]
	v_fma_f64 v[15:16], v[33:34], v[42:43], v[15:16]
	;; [unrolled: 1-line block ×7, first 2 shown]
	s_waitcnt vmcnt(0)
	v_fma_f64 v[11:12], v[70:71], v[42:43], v[11:12]
	v_fma_f64 v[13:14], v[72:73], v[42:43], v[13:14]
	v_fma_f64 v[15:16], -v[35:36], v[44:45], v[15:16]
	v_fma_f64 v[9:10], v[33:34], v[44:45], v[9:10]
	v_fma_f64 v[17:18], -v[64:65], v[44:45], v[17:18]
	;; [unrolled: 2-line block ×4, first 2 shown]
	v_fma_f64 v[13:14], v[70:71], v[44:45], v[13:14]
	s_cbranch_scc0 .LBB134_20
; %bb.21:                               ;   in Loop: Header=BB134_19 Depth=1
	v_add_nc_u32_e32 v25, 32, v25
	v_add_nc_u32_e32 v27, 0x300, v27
	s_delay_alu instid0(VALU_DEP_2) | instskip(SKIP_1) | instid1(SALU_CYCLE_1)
	v_cmp_ge_i32_e32 vcc_lo, v25, v32
	s_or_b32 s4, vcc_lo, s4
	s_and_not1_b32 exec_lo, exec_lo, s4
	s_cbranch_execnz .LBB134_19
; %bb.22:
	s_or_b32 exec_lo, exec_lo, s4
.LBB134_23:
	s_delay_alu instid0(SALU_CYCLE_1)
	s_or_b32 exec_lo, exec_lo, s1
.LBB134_24:
	v_mbcnt_lo_u32_b32 v44, -1, 0
	s_delay_alu instid0(VALU_DEP_1) | instskip(NEXT) | instid1(VALU_DEP_1)
	v_xor_b32_e32 v25, 16, v44
	v_cmp_gt_i32_e32 vcc_lo, 32, v25
	v_cndmask_b32_e32 v25, v44, v25, vcc_lo
	s_delay_alu instid0(VALU_DEP_1)
	v_lshlrev_b32_e32 v40, 2, v25
	ds_bpermute_b32 v25, v40, v15
	ds_bpermute_b32 v26, v40, v16
	;; [unrolled: 1-line block ×16, first 2 shown]
	s_waitcnt lgkmcnt(14)
	v_add_f64 v[15:16], v[15:16], v[25:26]
	v_xor_b32_e32 v25, 8, v44
	s_waitcnt lgkmcnt(12)
	v_add_f64 v[9:10], v[9:10], v[27:28]
	s_waitcnt lgkmcnt(10)
	v_add_f64 v[21:22], v[21:22], v[29:30]
	;; [unrolled: 2-line block ×3, first 2 shown]
	v_cmp_gt_i32_e32 vcc_lo, 32, v25
	s_waitcnt lgkmcnt(6)
	v_add_f64 v[17:18], v[17:18], v[33:34]
	s_waitcnt lgkmcnt(4)
	v_add_f64 v[19:20], v[19:20], v[35:36]
	;; [unrolled: 2-line block ×3, first 2 shown]
	v_cndmask_b32_e32 v25, v44, v25, vcc_lo
	s_waitcnt lgkmcnt(0)
	v_add_f64 v[13:14], v[13:14], v[39:40]
	s_delay_alu instid0(VALU_DEP_2)
	v_lshlrev_b32_e32 v40, 2, v25
	ds_bpermute_b32 v25, v40, v15
	ds_bpermute_b32 v26, v40, v16
	;; [unrolled: 1-line block ×16, first 2 shown]
	s_waitcnt lgkmcnt(14)
	v_add_f64 v[15:16], v[15:16], v[25:26]
	v_xor_b32_e32 v25, 4, v44
	s_waitcnt lgkmcnt(12)
	v_add_f64 v[9:10], v[9:10], v[27:28]
	s_waitcnt lgkmcnt(10)
	v_add_f64 v[21:22], v[21:22], v[29:30]
	;; [unrolled: 2-line block ×3, first 2 shown]
	v_cmp_gt_i32_e32 vcc_lo, 32, v25
	s_waitcnt lgkmcnt(6)
	v_add_f64 v[17:18], v[17:18], v[33:34]
	s_waitcnt lgkmcnt(4)
	v_add_f64 v[19:20], v[19:20], v[35:36]
	;; [unrolled: 2-line block ×3, first 2 shown]
	v_cndmask_b32_e32 v25, v44, v25, vcc_lo
	s_waitcnt lgkmcnt(0)
	v_add_f64 v[13:14], v[13:14], v[39:40]
	s_delay_alu instid0(VALU_DEP_2)
	v_lshlrev_b32_e32 v40, 2, v25
	ds_bpermute_b32 v25, v40, v15
	ds_bpermute_b32 v26, v40, v16
	;; [unrolled: 1-line block ×16, first 2 shown]
	s_waitcnt lgkmcnt(14)
	v_add_f64 v[15:16], v[15:16], v[25:26]
	s_waitcnt lgkmcnt(12)
	v_add_f64 v[25:26], v[9:10], v[27:28]
	v_xor_b32_e32 v9, 2, v44
	s_waitcnt lgkmcnt(10)
	v_add_f64 v[21:22], v[21:22], v[29:30]
	s_waitcnt lgkmcnt(8)
	v_add_f64 v[27:28], v[23:24], v[31:32]
	;; [unrolled: 2-line block ×3, first 2 shown]
	v_cmp_gt_i32_e32 vcc_lo, 32, v9
	s_waitcnt lgkmcnt(4)
	v_add_f64 v[19:20], v[19:20], v[35:36]
	s_waitcnt lgkmcnt(2)
	v_add_f64 v[29:30], v[11:12], v[37:38]
	;; [unrolled: 2-line block ×3, first 2 shown]
	v_cndmask_b32_e32 v9, v44, v9, vcc_lo
	s_delay_alu instid0(VALU_DEP_1)
	v_lshlrev_b32_e32 v23, 2, v9
	ds_bpermute_b32 v9, v23, v15
	ds_bpermute_b32 v10, v23, v16
	;; [unrolled: 1-line block ×16, first 2 shown]
	s_waitcnt lgkmcnt(14)
	v_add_f64 v[9:10], v[15:16], v[9:10]
	s_waitcnt lgkmcnt(12)
	v_add_f64 v[23:24], v[25:26], v[11:12]
	v_xor_b32_e32 v25, 1, v44
	s_waitcnt lgkmcnt(10)
	v_add_f64 v[11:12], v[21:22], v[13:14]
	s_waitcnt lgkmcnt(8)
	v_add_f64 v[21:22], v[27:28], v[33:34]
	;; [unrolled: 2-line block ×3, first 2 shown]
	v_cmp_gt_i32_e32 vcc_lo, 32, v25
	s_waitcnt lgkmcnt(4)
	v_add_f64 v[19:20], v[19:20], v[37:38]
	s_waitcnt lgkmcnt(2)
	v_add_f64 v[15:16], v[29:30], v[39:40]
	;; [unrolled: 2-line block ×3, first 2 shown]
	v_cndmask_b32_e32 v25, v44, v25, vcc_lo
	v_cmp_eq_u32_e32 vcc_lo, 31, v41
	s_delay_alu instid0(VALU_DEP_2)
	v_lshlrev_b32_e32 v28, 2, v25
	ds_bpermute_b32 v39, v28, v9
	ds_bpermute_b32 v40, v28, v10
	;; [unrolled: 1-line block ×16, first 2 shown]
	s_and_b32 exec_lo, exec_lo, vcc_lo
	s_cbranch_execz .LBB134_29
; %bb.25:
	v_cmp_eq_f64_e32 vcc_lo, 0, v[4:5]
	v_cmp_eq_f64_e64 s0, 0, v[6:7]
	s_waitcnt lgkmcnt(14)
	v_add_f64 v[9:10], v[9:10], v[39:40]
	s_waitcnt lgkmcnt(12)
	v_add_f64 v[23:24], v[23:24], v[37:38]
	;; [unrolled: 2-line block ×8, first 2 shown]
	s_load_b64 s[2:3], s[2:3], 0x48
	s_and_b32 s0, vcc_lo, s0
	s_delay_alu instid0(SALU_CYCLE_1) | instskip(NEXT) | instid1(SALU_CYCLE_1)
	s_and_saveexec_b32 s1, s0
	s_xor_b32 s0, exec_lo, s1
	s_cbranch_execz .LBB134_27
; %bb.26:
	v_mul_f64 v[4:5], v[23:24], -v[2:3]
	v_mul_f64 v[6:7], v[0:1], v[23:24]
	v_mul_f64 v[23:24], v[21:22], -v[2:3]
	v_mul_f64 v[21:22], v[0:1], v[21:22]
	;; [unrolled: 2-line block ×4, first 2 shown]
	v_fma_f64 v[4:5], v[0:1], v[9:10], v[4:5]
	v_fma_f64 v[6:7], v[2:3], v[9:10], v[6:7]
	;; [unrolled: 1-line block ×8, first 2 shown]
	v_lshlrev_b32_e32 v13, 2, v8
                                        ; implicit-def: $vgpr8
                                        ; implicit-def: $vgpr23_vgpr24
                                        ; implicit-def: $vgpr21_vgpr22
                                        ; implicit-def: $vgpr15_vgpr16
	s_delay_alu instid0(VALU_DEP_1) | instskip(NEXT) | instid1(VALU_DEP_1)
	v_ashrrev_i32_e32 v14, 31, v13
	v_lshlrev_b64 v[13:14], 4, v[13:14]
	s_waitcnt lgkmcnt(0)
	s_delay_alu instid0(VALU_DEP_1) | instskip(NEXT) | instid1(VALU_DEP_2)
	v_add_co_u32 v13, vcc_lo, s2, v13
	v_add_co_ci_u32_e32 v14, vcc_lo, s3, v14, vcc_lo
	s_clause 0x3
	global_store_b128 v[13:14], v[4:7], off
	global_store_b128 v[13:14], v[9:12], off offset:16
	global_store_b128 v[13:14], v[17:20], off offset:32
	global_store_b128 v[13:14], v[0:3], off offset:48
                                        ; implicit-def: $vgpr0_vgpr1
                                        ; implicit-def: $vgpr2_vgpr3
                                        ; implicit-def: $vgpr4_vgpr5
                                        ; implicit-def: $vgpr6_vgpr7
                                        ; implicit-def: $vgpr9_vgpr10
                                        ; implicit-def: $vgpr11_vgpr12
                                        ; implicit-def: $vgpr13_vgpr14
                                        ; implicit-def: $vgpr19_vgpr20
                                        ; implicit-def: $vgpr17_vgpr18
.LBB134_27:
	s_and_not1_saveexec_b32 s0, s0
	s_cbranch_execz .LBB134_29
; %bb.28:
	v_lshlrev_b32_e32 v25, 2, v8
	v_mul_f64 v[43:44], v[23:24], -v[2:3]
	v_mul_f64 v[23:24], v[0:1], v[23:24]
	v_mul_f64 v[45:46], v[21:22], -v[2:3]
	v_mul_f64 v[21:22], v[0:1], v[21:22]
	v_ashrrev_i32_e32 v26, 31, v25
	v_mul_f64 v[47:48], v[19:20], -v[2:3]
	v_mul_f64 v[19:20], v[0:1], v[19:20]
	v_mul_f64 v[49:50], v[17:18], -v[2:3]
	v_mul_f64 v[17:18], v[0:1], v[17:18]
	v_lshlrev_b64 v[25:26], 4, v[25:26]
	s_waitcnt lgkmcnt(0)
	s_delay_alu instid0(VALU_DEP_1) | instskip(NEXT) | instid1(VALU_DEP_2)
	v_add_co_u32 v41, vcc_lo, s2, v25
	v_add_co_ci_u32_e32 v42, vcc_lo, s3, v26, vcc_lo
	s_clause 0x3
	global_load_b128 v[25:28], v[41:42], off
	global_load_b128 v[29:32], v[41:42], off offset:16
	global_load_b128 v[33:36], v[41:42], off offset:32
	;; [unrolled: 1-line block ×3, first 2 shown]
	v_fma_f64 v[43:44], v[0:1], v[9:10], v[43:44]
	v_fma_f64 v[8:9], v[2:3], v[9:10], v[23:24]
	;; [unrolled: 1-line block ×8, first 2 shown]
	s_waitcnt vmcnt(3)
	v_fma_f64 v[14:15], v[4:5], v[25:26], v[43:44]
	v_fma_f64 v[8:9], v[6:7], v[25:26], v[8:9]
	s_waitcnt vmcnt(2)
	v_fma_f64 v[16:17], v[4:5], v[29:30], v[23:24]
	v_fma_f64 v[10:11], v[6:7], v[29:30], v[10:11]
	;; [unrolled: 3-line block ×4, first 2 shown]
	v_fma_f64 v[0:1], -v[6:7], v[27:28], v[14:15]
	v_fma_f64 v[2:3], v[4:5], v[27:28], v[8:9]
	v_fma_f64 v[8:9], -v[6:7], v[31:32], v[16:17]
	v_fma_f64 v[10:11], v[4:5], v[31:32], v[10:11]
	;; [unrolled: 2-line block ×4, first 2 shown]
	s_clause 0x3
	global_store_b128 v[41:42], v[0:3], off
	global_store_b128 v[41:42], v[8:11], off offset:16
	global_store_b128 v[41:42], v[12:15], off offset:32
	;; [unrolled: 1-line block ×3, first 2 shown]
.LBB134_29:
	s_nop 0
	s_sendmsg sendmsg(MSG_DEALLOC_VGPRS)
	s_endpgm
	.section	.rodata,"a",@progbits
	.p2align	6, 0x0
	.amdhsa_kernel _ZN9rocsparseL19gebsrmvn_4xn_kernelILj128ELj6ELj32E21rocsparse_complex_numIdEEEvi20rocsparse_direction_NS_24const_host_device_scalarIT2_EEPKiS8_PKS5_SA_S6_PS5_21rocsparse_index_base_b
		.amdhsa_group_segment_fixed_size 2048
		.amdhsa_private_segment_fixed_size 0
		.amdhsa_kernarg_size 88
		.amdhsa_user_sgpr_count 15
		.amdhsa_user_sgpr_dispatch_ptr 1
		.amdhsa_user_sgpr_queue_ptr 0
		.amdhsa_user_sgpr_kernarg_segment_ptr 1
		.amdhsa_user_sgpr_dispatch_id 0
		.amdhsa_user_sgpr_private_segment_size 0
		.amdhsa_wavefront_size32 1
		.amdhsa_uses_dynamic_stack 0
		.amdhsa_enable_private_segment 0
		.amdhsa_system_sgpr_workgroup_id_x 1
		.amdhsa_system_sgpr_workgroup_id_y 0
		.amdhsa_system_sgpr_workgroup_id_z 0
		.amdhsa_system_sgpr_workgroup_info 0
		.amdhsa_system_vgpr_workitem_id 2
		.amdhsa_next_free_vgpr 74
		.amdhsa_next_free_sgpr 18
		.amdhsa_reserve_vcc 1
		.amdhsa_float_round_mode_32 0
		.amdhsa_float_round_mode_16_64 0
		.amdhsa_float_denorm_mode_32 3
		.amdhsa_float_denorm_mode_16_64 3
		.amdhsa_dx10_clamp 1
		.amdhsa_ieee_mode 1
		.amdhsa_fp16_overflow 0
		.amdhsa_workgroup_processor_mode 1
		.amdhsa_memory_ordered 1
		.amdhsa_forward_progress 0
		.amdhsa_shared_vgpr_count 0
		.amdhsa_exception_fp_ieee_invalid_op 0
		.amdhsa_exception_fp_denorm_src 0
		.amdhsa_exception_fp_ieee_div_zero 0
		.amdhsa_exception_fp_ieee_overflow 0
		.amdhsa_exception_fp_ieee_underflow 0
		.amdhsa_exception_fp_ieee_inexact 0
		.amdhsa_exception_int_div_zero 0
	.end_amdhsa_kernel
	.section	.text._ZN9rocsparseL19gebsrmvn_4xn_kernelILj128ELj6ELj32E21rocsparse_complex_numIdEEEvi20rocsparse_direction_NS_24const_host_device_scalarIT2_EEPKiS8_PKS5_SA_S6_PS5_21rocsparse_index_base_b,"axG",@progbits,_ZN9rocsparseL19gebsrmvn_4xn_kernelILj128ELj6ELj32E21rocsparse_complex_numIdEEEvi20rocsparse_direction_NS_24const_host_device_scalarIT2_EEPKiS8_PKS5_SA_S6_PS5_21rocsparse_index_base_b,comdat
.Lfunc_end134:
	.size	_ZN9rocsparseL19gebsrmvn_4xn_kernelILj128ELj6ELj32E21rocsparse_complex_numIdEEEvi20rocsparse_direction_NS_24const_host_device_scalarIT2_EEPKiS8_PKS5_SA_S6_PS5_21rocsparse_index_base_b, .Lfunc_end134-_ZN9rocsparseL19gebsrmvn_4xn_kernelILj128ELj6ELj32E21rocsparse_complex_numIdEEEvi20rocsparse_direction_NS_24const_host_device_scalarIT2_EEPKiS8_PKS5_SA_S6_PS5_21rocsparse_index_base_b
                                        ; -- End function
	.section	.AMDGPU.csdata,"",@progbits
; Kernel info:
; codeLenInByte = 3916
; NumSgprs: 20
; NumVgprs: 74
; ScratchSize: 0
; MemoryBound: 0
; FloatMode: 240
; IeeeMode: 1
; LDSByteSize: 2048 bytes/workgroup (compile time only)
; SGPRBlocks: 2
; VGPRBlocks: 9
; NumSGPRsForWavesPerEU: 20
; NumVGPRsForWavesPerEU: 74
; Occupancy: 16
; WaveLimiterHint : 1
; COMPUTE_PGM_RSRC2:SCRATCH_EN: 0
; COMPUTE_PGM_RSRC2:USER_SGPR: 15
; COMPUTE_PGM_RSRC2:TRAP_HANDLER: 0
; COMPUTE_PGM_RSRC2:TGID_X_EN: 1
; COMPUTE_PGM_RSRC2:TGID_Y_EN: 0
; COMPUTE_PGM_RSRC2:TGID_Z_EN: 0
; COMPUTE_PGM_RSRC2:TIDIG_COMP_CNT: 2
	.section	.text._ZN9rocsparseL19gebsrmvn_4xn_kernelILj128ELj6ELj64E21rocsparse_complex_numIdEEEvi20rocsparse_direction_NS_24const_host_device_scalarIT2_EEPKiS8_PKS5_SA_S6_PS5_21rocsparse_index_base_b,"axG",@progbits,_ZN9rocsparseL19gebsrmvn_4xn_kernelILj128ELj6ELj64E21rocsparse_complex_numIdEEEvi20rocsparse_direction_NS_24const_host_device_scalarIT2_EEPKiS8_PKS5_SA_S6_PS5_21rocsparse_index_base_b,comdat
	.globl	_ZN9rocsparseL19gebsrmvn_4xn_kernelILj128ELj6ELj64E21rocsparse_complex_numIdEEEvi20rocsparse_direction_NS_24const_host_device_scalarIT2_EEPKiS8_PKS5_SA_S6_PS5_21rocsparse_index_base_b ; -- Begin function _ZN9rocsparseL19gebsrmvn_4xn_kernelILj128ELj6ELj64E21rocsparse_complex_numIdEEEvi20rocsparse_direction_NS_24const_host_device_scalarIT2_EEPKiS8_PKS5_SA_S6_PS5_21rocsparse_index_base_b
	.p2align	8
	.type	_ZN9rocsparseL19gebsrmvn_4xn_kernelILj128ELj6ELj64E21rocsparse_complex_numIdEEEvi20rocsparse_direction_NS_24const_host_device_scalarIT2_EEPKiS8_PKS5_SA_S6_PS5_21rocsparse_index_base_b,@function
_ZN9rocsparseL19gebsrmvn_4xn_kernelILj128ELj6ELj64E21rocsparse_complex_numIdEEEvi20rocsparse_direction_NS_24const_host_device_scalarIT2_EEPKiS8_PKS5_SA_S6_PS5_21rocsparse_index_base_b: ; @_ZN9rocsparseL19gebsrmvn_4xn_kernelILj128ELj6ELj64E21rocsparse_complex_numIdEEEvi20rocsparse_direction_NS_24const_host_device_scalarIT2_EEPKiS8_PKS5_SA_S6_PS5_21rocsparse_index_base_b
; %bb.0:
	s_load_b64 s[12:13], s[2:3], 0x50
	s_load_b64 s[16:17], s[0:1], 0x4
	s_load_b128 s[8:11], s[2:3], 0x8
	v_bfe_u32 v1, v0, 10, 10
	s_mov_b64 s[0:1], src_shared_base
	s_load_b128 s[4:7], s[2:3], 0x38
	v_and_b32_e32 v10, 0x3ff, v0
	v_bfe_u32 v0, v0, 20, 10
	s_waitcnt lgkmcnt(0)
	s_bitcmp1_b32 s13, 0
	v_mul_u32_u24_e32 v1, s17, v1
	s_cselect_b32 s0, -1, 0
	s_delay_alu instid0(SALU_CYCLE_1)
	s_and_b32 vcc_lo, s0, exec_lo
	s_cselect_b32 s13, s1, s9
	s_lshr_b32 s14, s16, 16
	v_dual_mov_b32 v2, s4 :: v_dual_mov_b32 v3, s5
	s_mul_i32 s14, s14, s17
	v_mov_b32_e32 v6, s13
	v_mad_u32_u24 v1, s14, v10, v1
	s_delay_alu instid0(VALU_DEP_1) | instskip(SKIP_1) | instid1(VALU_DEP_2)
	v_add_lshl_u32 v4, v1, v0, 3
	v_dual_mov_b32 v0, s8 :: v_dual_mov_b32 v1, s9
	v_add_nc_u32_e32 v5, 0x400, v4
	ds_store_2addr_stride64_b64 v4, v[2:3], v[0:1] offset1:2
	v_dual_mov_b32 v2, s10 :: v_dual_mov_b32 v3, s11
	v_cndmask_b32_e64 v5, s8, v5, s0
	s_xor_b32 s10, s0, -1
	flat_load_b64 v[0:1], v[5:6]
	s_cbranch_vccnz .LBB135_2
; %bb.1:
	v_dual_mov_b32 v2, s8 :: v_dual_mov_b32 v3, s9
	flat_load_b64 v[2:3], v[2:3] offset:8
.LBB135_2:
	s_and_b32 s8, s0, exec_lo
	s_cselect_b32 s1, s1, s5
	v_cndmask_b32_e64 v4, s4, v4, s0
	v_dual_mov_b32 v5, s1 :: v_dual_mov_b32 v6, s6
	v_mov_b32_e32 v7, s7
	s_and_not1_b32 vcc_lo, exec_lo, s10
	flat_load_b64 v[4:5], v[4:5]
	s_cbranch_vccnz .LBB135_4
; %bb.3:
	v_dual_mov_b32 v7, s5 :: v_dual_mov_b32 v6, s4
	flat_load_b64 v[6:7], v[6:7] offset:8
.LBB135_4:
	s_waitcnt vmcnt(1) lgkmcnt(1)
	v_cmp_eq_f64_e32 vcc_lo, 0, v[0:1]
	v_cmp_eq_f64_e64 s0, 0, v[2:3]
	s_delay_alu instid0(VALU_DEP_1)
	s_and_b32 s4, vcc_lo, s0
	s_mov_b32 s0, -1
	s_and_saveexec_b32 s1, s4
	s_cbranch_execz .LBB135_6
; %bb.5:
	s_waitcnt vmcnt(0) lgkmcnt(0)
	v_cmp_neq_f64_e32 vcc_lo, 1.0, v[4:5]
	v_cmp_neq_f64_e64 s0, 0, v[6:7]
	s_delay_alu instid0(VALU_DEP_1) | instskip(NEXT) | instid1(SALU_CYCLE_1)
	s_or_b32 s0, vcc_lo, s0
	s_or_not1_b32 s0, s0, exec_lo
.LBB135_6:
	s_or_b32 exec_lo, exec_lo, s1
	s_and_saveexec_b32 s1, s0
	s_cbranch_execz .LBB135_29
; %bb.7:
	s_load_b64 s[0:1], s[2:3], 0x0
	v_lshrrev_b32_e32 v8, 6, v10
	s_delay_alu instid0(VALU_DEP_1) | instskip(SKIP_1) | instid1(VALU_DEP_1)
	v_lshl_or_b32 v8, s15, 1, v8
	s_waitcnt lgkmcnt(0)
	v_cmp_gt_i32_e32 vcc_lo, s0, v8
	s_and_b32 exec_lo, exec_lo, vcc_lo
	s_cbranch_execz .LBB135_29
; %bb.8:
	s_load_b256 s[4:11], s[2:3], 0x18
	v_ashrrev_i32_e32 v9, 31, v8
	v_and_b32_e32 v41, 63, v10
	s_cmp_lg_u32 s1, 0
	s_delay_alu instid0(VALU_DEP_2) | instskip(SKIP_1) | instid1(VALU_DEP_1)
	v_lshlrev_b64 v[11:12], 2, v[8:9]
	s_waitcnt lgkmcnt(0)
	v_add_co_u32 v11, vcc_lo, s4, v11
	s_delay_alu instid0(VALU_DEP_2) | instskip(SKIP_4) | instid1(VALU_DEP_2)
	v_add_co_ci_u32_e32 v12, vcc_lo, s5, v12, vcc_lo
	global_load_b64 v[11:12], v[11:12], off
	s_waitcnt vmcnt(0)
	v_subrev_nc_u32_e32 v9, s12, v11
	v_subrev_nc_u32_e32 v32, s12, v12
	v_add_nc_u32_e32 v25, v9, v41
	s_delay_alu instid0(VALU_DEP_1)
	v_cmp_lt_i32_e64 s0, v25, v32
	s_cbranch_scc0 .LBB135_16
; %bb.9:
	v_mov_b32_e32 v9, 0
	v_mov_b32_e32 v10, 0
	s_delay_alu instid0(VALU_DEP_1)
	v_dual_mov_b32 v16, v10 :: v_dual_mov_b32 v15, v9
	v_dual_mov_b32 v12, v10 :: v_dual_mov_b32 v11, v9
	;; [unrolled: 1-line block ×7, first 2 shown]
	s_and_saveexec_b32 s1, s0
	s_cbranch_execz .LBB135_15
; %bb.10:
	v_dual_mov_b32 v9, 0 :: v_dual_mov_b32 v28, v25
	v_dual_mov_b32 v10, 0 :: v_dual_mov_b32 v27, 0
	v_mul_lo_u32 v30, v25, 24
	s_mov_b32 s4, 0
	s_delay_alu instid0(VALU_DEP_2)
	v_dual_mov_b32 v16, v10 :: v_dual_mov_b32 v15, v9
	v_dual_mov_b32 v12, v10 :: v_dual_mov_b32 v11, v9
	;; [unrolled: 1-line block ×7, first 2 shown]
.LBB135_11:                             ; =>This Loop Header: Depth=1
                                        ;     Child Loop BB135_12 Depth 2
	v_ashrrev_i32_e32 v29, 31, v28
	s_mov_b32 s5, 0
	s_delay_alu instid0(VALU_DEP_1) | instskip(NEXT) | instid1(VALU_DEP_1)
	v_lshlrev_b64 v[33:34], 2, v[28:29]
	v_add_co_u32 v33, vcc_lo, s6, v33
	s_delay_alu instid0(VALU_DEP_2) | instskip(SKIP_3) | instid1(VALU_DEP_1)
	v_add_co_ci_u32_e32 v34, vcc_lo, s7, v34, vcc_lo
	global_load_b32 v26, v[33:34], off
	s_waitcnt vmcnt(0)
	v_subrev_nc_u32_e32 v26, s12, v26
	v_mul_lo_u32 v29, v26, 6
	v_mov_b32_e32 v26, v30
.LBB135_12:                             ;   Parent Loop BB135_11 Depth=1
                                        ; =>  This Inner Loop Header: Depth=2
	s_delay_alu instid0(VALU_DEP_2) | instskip(NEXT) | instid1(VALU_DEP_2)
	v_dual_mov_b32 v34, v27 :: v_dual_add_nc_u32 v33, s5, v29
	v_lshlrev_b64 v[35:36], 4, v[26:27]
	v_dual_mov_b32 v59, v27 :: v_dual_add_nc_u32 v58, 4, v26
	v_add_nc_u32_e32 v26, 8, v26
	s_delay_alu instid0(VALU_DEP_4) | instskip(SKIP_1) | instid1(VALU_DEP_4)
	v_lshlrev_b64 v[33:34], 4, v[33:34]
	s_add_i32 s5, s5, 2
	v_add_co_u32 v46, vcc_lo, s8, v35
	v_add_co_ci_u32_e32 v47, vcc_lo, s9, v36, vcc_lo
	s_delay_alu instid0(VALU_DEP_3) | instskip(NEXT) | instid1(VALU_DEP_4)
	v_add_co_u32 v54, vcc_lo, s10, v33
	v_add_co_ci_u32_e32 v55, vcc_lo, s11, v34, vcc_lo
	s_clause 0x3
	global_load_b128 v[33:36], v[46:47], off offset:48
	global_load_b128 v[37:40], v[46:47], off offset:32
	;; [unrolled: 1-line block ×3, first 2 shown]
	global_load_b128 v[46:49], v[46:47], off
	s_clause 0x1
	global_load_b128 v[50:53], v[54:55], off
	global_load_b128 v[54:57], v[54:55], off offset:16
	v_lshlrev_b64 v[58:59], 4, v[58:59]
	s_cmp_eq_u32 s5, 6
	s_delay_alu instid0(VALU_DEP_1) | instskip(NEXT) | instid1(VALU_DEP_2)
	v_add_co_u32 v70, vcc_lo, s8, v58
	v_add_co_ci_u32_e32 v71, vcc_lo, s9, v59, vcc_lo
	s_clause 0x3
	global_load_b128 v[58:61], v[70:71], off
	global_load_b128 v[62:65], v[70:71], off offset:16
	global_load_b128 v[66:69], v[70:71], off offset:32
	;; [unrolled: 1-line block ×3, first 2 shown]
	s_waitcnt vmcnt(5)
	v_fma_f64 v[15:16], v[46:47], v[50:51], v[15:16]
	v_fma_f64 v[9:10], v[48:49], v[50:51], v[9:10]
	;; [unrolled: 1-line block ×8, first 2 shown]
	v_fma_f64 v[15:16], -v[48:49], v[52:53], v[15:16]
	v_fma_f64 v[9:10], v[46:47], v[52:53], v[9:10]
	v_fma_f64 v[21:22], -v[44:45], v[52:53], v[21:22]
	v_fma_f64 v[23:24], v[42:43], v[52:53], v[23:24]
	;; [unrolled: 2-line block ×4, first 2 shown]
	s_waitcnt vmcnt(3)
	v_fma_f64 v[15:16], v[58:59], v[54:55], v[15:16]
	v_fma_f64 v[9:10], v[60:61], v[54:55], v[9:10]
	s_waitcnt vmcnt(2)
	v_fma_f64 v[21:22], v[62:63], v[54:55], v[21:22]
	v_fma_f64 v[23:24], v[64:65], v[54:55], v[23:24]
	s_waitcnt vmcnt(1)
	v_fma_f64 v[17:18], v[66:67], v[54:55], v[17:18]
	v_fma_f64 v[19:20], v[68:69], v[54:55], v[19:20]
	s_waitcnt vmcnt(0)
	v_fma_f64 v[11:12], v[70:71], v[54:55], v[11:12]
	v_fma_f64 v[13:14], v[72:73], v[54:55], v[13:14]
	v_fma_f64 v[15:16], -v[60:61], v[56:57], v[15:16]
	v_fma_f64 v[9:10], v[58:59], v[56:57], v[9:10]
	v_fma_f64 v[21:22], -v[64:65], v[56:57], v[21:22]
	v_fma_f64 v[23:24], v[62:63], v[56:57], v[23:24]
	v_fma_f64 v[17:18], -v[68:69], v[56:57], v[17:18]
	v_fma_f64 v[19:20], v[66:67], v[56:57], v[19:20]
	v_fma_f64 v[11:12], -v[72:73], v[56:57], v[11:12]
	v_fma_f64 v[13:14], v[70:71], v[56:57], v[13:14]
	s_cbranch_scc0 .LBB135_12
; %bb.13:                               ;   in Loop: Header=BB135_11 Depth=1
	v_add_nc_u32_e32 v28, 64, v28
	v_add_nc_u32_e32 v30, 0x600, v30
	s_delay_alu instid0(VALU_DEP_2) | instskip(SKIP_1) | instid1(SALU_CYCLE_1)
	v_cmp_ge_i32_e32 vcc_lo, v28, v32
	s_or_b32 s4, vcc_lo, s4
	s_and_not1_b32 exec_lo, exec_lo, s4
	s_cbranch_execnz .LBB135_11
; %bb.14:
	s_or_b32 exec_lo, exec_lo, s4
.LBB135_15:
	s_delay_alu instid0(SALU_CYCLE_1)
	s_or_b32 exec_lo, exec_lo, s1
	s_cbranch_execz .LBB135_17
	s_branch .LBB135_24
.LBB135_16:
                                        ; implicit-def: $vgpr9_vgpr10
                                        ; implicit-def: $vgpr15_vgpr16
                                        ; implicit-def: $vgpr11_vgpr12
                                        ; implicit-def: $vgpr13_vgpr14
                                        ; implicit-def: $vgpr17_vgpr18
                                        ; implicit-def: $vgpr19_vgpr20
                                        ; implicit-def: $vgpr21_vgpr22
                                        ; implicit-def: $vgpr23_vgpr24
.LBB135_17:
	v_mov_b32_e32 v9, 0
	v_mov_b32_e32 v10, 0
	s_delay_alu instid0(VALU_DEP_1)
	v_dual_mov_b32 v16, v10 :: v_dual_mov_b32 v15, v9
	v_dual_mov_b32 v12, v10 :: v_dual_mov_b32 v11, v9
	;; [unrolled: 1-line block ×7, first 2 shown]
	s_and_saveexec_b32 s1, s0
	s_cbranch_execz .LBB135_23
; %bb.18:
	v_mov_b32_e32 v9, 0
	v_dual_mov_b32 v10, 0 :: v_dual_mov_b32 v29, 0
	v_mul_lo_u32 v27, v25, 24
	s_add_u32 s0, s8, 16
	s_addc_u32 s5, s9, 0
	s_delay_alu instid0(VALU_DEP_2)
	v_dual_mov_b32 v16, v10 :: v_dual_mov_b32 v15, v9
	v_dual_mov_b32 v12, v10 :: v_dual_mov_b32 v11, v9
	;; [unrolled: 1-line block ×7, first 2 shown]
	s_mov_b32 s4, 0
.LBB135_19:                             ; =>This Loop Header: Depth=1
                                        ;     Child Loop BB135_20 Depth 2
	v_ashrrev_i32_e32 v26, 31, v25
	v_mov_b32_e32 v28, v29
	s_mov_b32 s13, 0
	s_delay_alu instid0(VALU_DEP_2) | instskip(NEXT) | instid1(VALU_DEP_1)
	v_lshlrev_b64 v[30:31], 2, v[25:26]
	v_add_co_u32 v30, vcc_lo, s6, v30
	s_delay_alu instid0(VALU_DEP_2) | instskip(SKIP_2) | instid1(VALU_DEP_1)
	v_add_co_ci_u32_e32 v31, vcc_lo, s7, v31, vcc_lo
	global_load_b32 v26, v[30:31], off
	v_lshlrev_b64 v[30:31], 4, v[27:28]
	v_add_co_u32 v30, vcc_lo, s0, v30
	s_delay_alu instid0(VALU_DEP_2) | instskip(SKIP_2) | instid1(VALU_DEP_1)
	v_add_co_ci_u32_e32 v31, vcc_lo, s5, v31, vcc_lo
	s_waitcnt vmcnt(0)
	v_subrev_nc_u32_e32 v26, s12, v26
	v_mul_lo_u32 v26, v26, 6
.LBB135_20:                             ;   Parent Loop BB135_19 Depth=1
                                        ; =>  This Inner Loop Header: Depth=2
	s_delay_alu instid0(VALU_DEP_1)
	v_add_nc_u32_e32 v28, s13, v26
	v_add_nc_u32_e32 v48, s13, v27
	s_clause 0x1
	global_load_b128 v[33:36], v[30:31], off
	global_load_b128 v[37:40], v[30:31], off offset:-16
	s_add_i32 s13, s13, 2
	s_delay_alu instid0(SALU_CYCLE_1) | instskip(SKIP_2) | instid1(VALU_DEP_1)
	s_cmp_eq_u32 s13, 6
	v_lshlrev_b64 v[42:43], 4, v[28:29]
	v_add_nc_u32_e32 v28, 6, v48
	v_lshlrev_b64 v[44:45], 4, v[28:29]
	v_add_nc_u32_e32 v28, 12, v48
	s_delay_alu instid0(VALU_DEP_4) | instskip(SKIP_1) | instid1(VALU_DEP_3)
	v_add_co_u32 v46, vcc_lo, s10, v42
	v_add_co_ci_u32_e32 v47, vcc_lo, s11, v43, vcc_lo
	v_lshlrev_b64 v[54:55], 4, v[28:29]
	v_add_nc_u32_e32 v28, 18, v48
	v_add_co_u32 v56, vcc_lo, s8, v44
	v_add_co_ci_u32_e32 v57, vcc_lo, s9, v45, vcc_lo
	s_delay_alu instid0(VALU_DEP_3)
	v_lshlrev_b64 v[58:59], 4, v[28:29]
	v_add_co_u32 v62, vcc_lo, s8, v54
	v_add_co_ci_u32_e32 v63, vcc_lo, s9, v55, vcc_lo
	s_clause 0x1
	global_load_b128 v[42:45], v[46:47], off offset:16
	global_load_b128 v[46:49], v[46:47], off
	v_add_co_u32 v70, vcc_lo, s8, v58
	v_add_co_ci_u32_e32 v71, vcc_lo, s9, v59, vcc_lo
	s_clause 0x5
	global_load_b128 v[50:53], v[56:57], off
	global_load_b128 v[54:57], v[56:57], off offset:16
	global_load_b128 v[58:61], v[62:63], off
	global_load_b128 v[62:65], v[62:63], off offset:16
	;; [unrolled: 2-line block ×3, first 2 shown]
	v_add_co_u32 v30, vcc_lo, v30, 32
	v_add_co_ci_u32_e32 v31, vcc_lo, 0, v31, vcc_lo
	s_waitcnt vmcnt(6)
	v_fma_f64 v[15:16], v[37:38], v[46:47], v[15:16]
	v_fma_f64 v[9:10], v[39:40], v[46:47], v[9:10]
	s_waitcnt vmcnt(3)
	v_fma_f64 v[17:18], v[58:59], v[46:47], v[17:18]
	v_fma_f64 v[19:20], v[60:61], v[46:47], v[19:20]
	;; [unrolled: 1-line block ×4, first 2 shown]
	s_waitcnt vmcnt(1)
	v_fma_f64 v[11:12], v[66:67], v[46:47], v[11:12]
	v_fma_f64 v[13:14], v[68:69], v[46:47], v[13:14]
	v_fma_f64 v[15:16], -v[39:40], v[48:49], v[15:16]
	v_fma_f64 v[9:10], v[37:38], v[48:49], v[9:10]
	v_fma_f64 v[17:18], -v[60:61], v[48:49], v[17:18]
	;; [unrolled: 2-line block ×4, first 2 shown]
	v_fma_f64 v[13:14], v[66:67], v[48:49], v[13:14]
	v_fma_f64 v[15:16], v[33:34], v[42:43], v[15:16]
	;; [unrolled: 1-line block ×7, first 2 shown]
	s_waitcnt vmcnt(0)
	v_fma_f64 v[11:12], v[70:71], v[42:43], v[11:12]
	v_fma_f64 v[13:14], v[72:73], v[42:43], v[13:14]
	v_fma_f64 v[15:16], -v[35:36], v[44:45], v[15:16]
	v_fma_f64 v[9:10], v[33:34], v[44:45], v[9:10]
	v_fma_f64 v[17:18], -v[64:65], v[44:45], v[17:18]
	;; [unrolled: 2-line block ×4, first 2 shown]
	v_fma_f64 v[13:14], v[70:71], v[44:45], v[13:14]
	s_cbranch_scc0 .LBB135_20
; %bb.21:                               ;   in Loop: Header=BB135_19 Depth=1
	v_add_nc_u32_e32 v25, 64, v25
	v_add_nc_u32_e32 v27, 0x600, v27
	s_delay_alu instid0(VALU_DEP_2) | instskip(SKIP_1) | instid1(SALU_CYCLE_1)
	v_cmp_ge_i32_e32 vcc_lo, v25, v32
	s_or_b32 s4, vcc_lo, s4
	s_and_not1_b32 exec_lo, exec_lo, s4
	s_cbranch_execnz .LBB135_19
; %bb.22:
	s_or_b32 exec_lo, exec_lo, s4
.LBB135_23:
	s_delay_alu instid0(SALU_CYCLE_1)
	s_or_b32 exec_lo, exec_lo, s1
.LBB135_24:
	v_mbcnt_lo_u32_b32 v44, -1, 0
	s_delay_alu instid0(VALU_DEP_1) | instskip(NEXT) | instid1(VALU_DEP_1)
	v_or_b32_e32 v25, 32, v44
	v_cmp_gt_i32_e32 vcc_lo, 32, v25
	v_cndmask_b32_e32 v25, v44, v25, vcc_lo
	s_delay_alu instid0(VALU_DEP_1)
	v_lshlrev_b32_e32 v40, 2, v25
	ds_bpermute_b32 v25, v40, v15
	ds_bpermute_b32 v26, v40, v16
	ds_bpermute_b32 v27, v40, v9
	ds_bpermute_b32 v28, v40, v10
	ds_bpermute_b32 v29, v40, v21
	ds_bpermute_b32 v30, v40, v22
	ds_bpermute_b32 v31, v40, v23
	ds_bpermute_b32 v32, v40, v24
	ds_bpermute_b32 v33, v40, v17
	ds_bpermute_b32 v34, v40, v18
	ds_bpermute_b32 v35, v40, v19
	ds_bpermute_b32 v36, v40, v20
	ds_bpermute_b32 v37, v40, v11
	ds_bpermute_b32 v38, v40, v12
	ds_bpermute_b32 v39, v40, v13
	ds_bpermute_b32 v40, v40, v14
	s_waitcnt lgkmcnt(14)
	v_add_f64 v[15:16], v[15:16], v[25:26]
	v_xor_b32_e32 v25, 16, v44
	s_waitcnt lgkmcnt(12)
	v_add_f64 v[9:10], v[9:10], v[27:28]
	s_waitcnt lgkmcnt(10)
	v_add_f64 v[21:22], v[21:22], v[29:30]
	s_waitcnt lgkmcnt(8)
	v_add_f64 v[23:24], v[23:24], v[31:32]
	v_cmp_gt_i32_e32 vcc_lo, 32, v25
	s_waitcnt lgkmcnt(6)
	v_add_f64 v[17:18], v[17:18], v[33:34]
	s_waitcnt lgkmcnt(4)
	v_add_f64 v[19:20], v[19:20], v[35:36]
	s_waitcnt lgkmcnt(2)
	v_add_f64 v[11:12], v[11:12], v[37:38]
	v_cndmask_b32_e32 v25, v44, v25, vcc_lo
	s_waitcnt lgkmcnt(0)
	v_add_f64 v[13:14], v[13:14], v[39:40]
	s_delay_alu instid0(VALU_DEP_2)
	v_lshlrev_b32_e32 v40, 2, v25
	ds_bpermute_b32 v25, v40, v15
	ds_bpermute_b32 v26, v40, v16
	ds_bpermute_b32 v27, v40, v9
	ds_bpermute_b32 v28, v40, v10
	ds_bpermute_b32 v29, v40, v21
	ds_bpermute_b32 v30, v40, v22
	ds_bpermute_b32 v31, v40, v23
	ds_bpermute_b32 v32, v40, v24
	ds_bpermute_b32 v33, v40, v17
	ds_bpermute_b32 v34, v40, v18
	ds_bpermute_b32 v35, v40, v19
	ds_bpermute_b32 v36, v40, v20
	ds_bpermute_b32 v37, v40, v11
	ds_bpermute_b32 v38, v40, v12
	ds_bpermute_b32 v39, v40, v13
	ds_bpermute_b32 v40, v40, v14
	s_waitcnt lgkmcnt(14)
	v_add_f64 v[15:16], v[15:16], v[25:26]
	v_xor_b32_e32 v25, 8, v44
	s_waitcnt lgkmcnt(12)
	v_add_f64 v[9:10], v[9:10], v[27:28]
	s_waitcnt lgkmcnt(10)
	v_add_f64 v[21:22], v[21:22], v[29:30]
	s_waitcnt lgkmcnt(8)
	v_add_f64 v[23:24], v[23:24], v[31:32]
	v_cmp_gt_i32_e32 vcc_lo, 32, v25
	s_waitcnt lgkmcnt(6)
	v_add_f64 v[17:18], v[17:18], v[33:34]
	s_waitcnt lgkmcnt(4)
	v_add_f64 v[19:20], v[19:20], v[35:36]
	s_waitcnt lgkmcnt(2)
	v_add_f64 v[11:12], v[11:12], v[37:38]
	v_cndmask_b32_e32 v25, v44, v25, vcc_lo
	s_waitcnt lgkmcnt(0)
	v_add_f64 v[13:14], v[13:14], v[39:40]
	s_delay_alu instid0(VALU_DEP_2)
	;; [unrolled: 37-line block ×3, first 2 shown]
	v_lshlrev_b32_e32 v40, 2, v25
	ds_bpermute_b32 v25, v40, v15
	ds_bpermute_b32 v26, v40, v16
	;; [unrolled: 1-line block ×16, first 2 shown]
	s_waitcnt lgkmcnt(14)
	v_add_f64 v[15:16], v[15:16], v[25:26]
	s_waitcnt lgkmcnt(12)
	v_add_f64 v[25:26], v[9:10], v[27:28]
	v_xor_b32_e32 v9, 2, v44
	s_waitcnt lgkmcnt(10)
	v_add_f64 v[21:22], v[21:22], v[29:30]
	s_waitcnt lgkmcnt(8)
	v_add_f64 v[27:28], v[23:24], v[31:32]
	;; [unrolled: 2-line block ×3, first 2 shown]
	v_cmp_gt_i32_e32 vcc_lo, 32, v9
	s_waitcnt lgkmcnt(4)
	v_add_f64 v[19:20], v[19:20], v[35:36]
	s_waitcnt lgkmcnt(2)
	v_add_f64 v[29:30], v[11:12], v[37:38]
	s_waitcnt lgkmcnt(0)
	v_add_f64 v[31:32], v[13:14], v[39:40]
	v_cndmask_b32_e32 v9, v44, v9, vcc_lo
	s_delay_alu instid0(VALU_DEP_1)
	v_lshlrev_b32_e32 v23, 2, v9
	ds_bpermute_b32 v9, v23, v15
	ds_bpermute_b32 v10, v23, v16
	;; [unrolled: 1-line block ×16, first 2 shown]
	s_waitcnt lgkmcnt(14)
	v_add_f64 v[9:10], v[15:16], v[9:10]
	s_waitcnt lgkmcnt(12)
	v_add_f64 v[23:24], v[25:26], v[11:12]
	v_xor_b32_e32 v25, 1, v44
	s_waitcnt lgkmcnt(10)
	v_add_f64 v[11:12], v[21:22], v[13:14]
	s_waitcnt lgkmcnt(8)
	v_add_f64 v[21:22], v[27:28], v[33:34]
	s_waitcnt lgkmcnt(6)
	v_add_f64 v[13:14], v[17:18], v[35:36]
	v_cmp_gt_i32_e32 vcc_lo, 32, v25
	s_waitcnt lgkmcnt(4)
	v_add_f64 v[19:20], v[19:20], v[37:38]
	s_waitcnt lgkmcnt(2)
	v_add_f64 v[15:16], v[29:30], v[39:40]
	;; [unrolled: 2-line block ×3, first 2 shown]
	v_cndmask_b32_e32 v25, v44, v25, vcc_lo
	v_cmp_eq_u32_e32 vcc_lo, 63, v41
	s_delay_alu instid0(VALU_DEP_2)
	v_lshlrev_b32_e32 v28, 2, v25
	ds_bpermute_b32 v39, v28, v9
	ds_bpermute_b32 v40, v28, v10
	;; [unrolled: 1-line block ×16, first 2 shown]
	s_and_b32 exec_lo, exec_lo, vcc_lo
	s_cbranch_execz .LBB135_29
; %bb.25:
	v_cmp_eq_f64_e32 vcc_lo, 0, v[4:5]
	v_cmp_eq_f64_e64 s0, 0, v[6:7]
	s_waitcnt lgkmcnt(14)
	v_add_f64 v[9:10], v[9:10], v[39:40]
	s_waitcnt lgkmcnt(12)
	v_add_f64 v[23:24], v[23:24], v[37:38]
	;; [unrolled: 2-line block ×8, first 2 shown]
	s_load_b64 s[2:3], s[2:3], 0x48
	s_and_b32 s0, vcc_lo, s0
	s_delay_alu instid0(SALU_CYCLE_1) | instskip(NEXT) | instid1(SALU_CYCLE_1)
	s_and_saveexec_b32 s1, s0
	s_xor_b32 s0, exec_lo, s1
	s_cbranch_execz .LBB135_27
; %bb.26:
	v_mul_f64 v[4:5], v[23:24], -v[2:3]
	v_mul_f64 v[6:7], v[0:1], v[23:24]
	v_mul_f64 v[23:24], v[21:22], -v[2:3]
	v_mul_f64 v[21:22], v[0:1], v[21:22]
	;; [unrolled: 2-line block ×4, first 2 shown]
	v_fma_f64 v[4:5], v[0:1], v[9:10], v[4:5]
	v_fma_f64 v[6:7], v[2:3], v[9:10], v[6:7]
	;; [unrolled: 1-line block ×8, first 2 shown]
	v_lshlrev_b32_e32 v13, 2, v8
                                        ; implicit-def: $vgpr8
                                        ; implicit-def: $vgpr23_vgpr24
                                        ; implicit-def: $vgpr21_vgpr22
                                        ; implicit-def: $vgpr15_vgpr16
	s_delay_alu instid0(VALU_DEP_1) | instskip(NEXT) | instid1(VALU_DEP_1)
	v_ashrrev_i32_e32 v14, 31, v13
	v_lshlrev_b64 v[13:14], 4, v[13:14]
	s_waitcnt lgkmcnt(0)
	s_delay_alu instid0(VALU_DEP_1) | instskip(NEXT) | instid1(VALU_DEP_2)
	v_add_co_u32 v13, vcc_lo, s2, v13
	v_add_co_ci_u32_e32 v14, vcc_lo, s3, v14, vcc_lo
	s_clause 0x3
	global_store_b128 v[13:14], v[4:7], off
	global_store_b128 v[13:14], v[9:12], off offset:16
	global_store_b128 v[13:14], v[17:20], off offset:32
	;; [unrolled: 1-line block ×3, first 2 shown]
                                        ; implicit-def: $vgpr0_vgpr1
                                        ; implicit-def: $vgpr2_vgpr3
                                        ; implicit-def: $vgpr4_vgpr5
                                        ; implicit-def: $vgpr6_vgpr7
                                        ; implicit-def: $vgpr9_vgpr10
                                        ; implicit-def: $vgpr11_vgpr12
                                        ; implicit-def: $vgpr13_vgpr14
                                        ; implicit-def: $vgpr19_vgpr20
                                        ; implicit-def: $vgpr17_vgpr18
.LBB135_27:
	s_and_not1_saveexec_b32 s0, s0
	s_cbranch_execz .LBB135_29
; %bb.28:
	v_lshlrev_b32_e32 v25, 2, v8
	v_mul_f64 v[43:44], v[23:24], -v[2:3]
	v_mul_f64 v[23:24], v[0:1], v[23:24]
	v_mul_f64 v[45:46], v[21:22], -v[2:3]
	v_mul_f64 v[21:22], v[0:1], v[21:22]
	v_ashrrev_i32_e32 v26, 31, v25
	v_mul_f64 v[47:48], v[19:20], -v[2:3]
	v_mul_f64 v[19:20], v[0:1], v[19:20]
	v_mul_f64 v[49:50], v[17:18], -v[2:3]
	v_mul_f64 v[17:18], v[0:1], v[17:18]
	v_lshlrev_b64 v[25:26], 4, v[25:26]
	s_waitcnt lgkmcnt(0)
	s_delay_alu instid0(VALU_DEP_1) | instskip(NEXT) | instid1(VALU_DEP_2)
	v_add_co_u32 v41, vcc_lo, s2, v25
	v_add_co_ci_u32_e32 v42, vcc_lo, s3, v26, vcc_lo
	s_clause 0x3
	global_load_b128 v[25:28], v[41:42], off
	global_load_b128 v[29:32], v[41:42], off offset:16
	global_load_b128 v[33:36], v[41:42], off offset:32
	;; [unrolled: 1-line block ×3, first 2 shown]
	v_fma_f64 v[43:44], v[0:1], v[9:10], v[43:44]
	v_fma_f64 v[8:9], v[2:3], v[9:10], v[23:24]
	;; [unrolled: 1-line block ×8, first 2 shown]
	s_waitcnt vmcnt(3)
	v_fma_f64 v[14:15], v[4:5], v[25:26], v[43:44]
	v_fma_f64 v[8:9], v[6:7], v[25:26], v[8:9]
	s_waitcnt vmcnt(2)
	v_fma_f64 v[16:17], v[4:5], v[29:30], v[23:24]
	v_fma_f64 v[10:11], v[6:7], v[29:30], v[10:11]
	;; [unrolled: 3-line block ×4, first 2 shown]
	v_fma_f64 v[0:1], -v[6:7], v[27:28], v[14:15]
	v_fma_f64 v[2:3], v[4:5], v[27:28], v[8:9]
	v_fma_f64 v[8:9], -v[6:7], v[31:32], v[16:17]
	v_fma_f64 v[10:11], v[4:5], v[31:32], v[10:11]
	;; [unrolled: 2-line block ×4, first 2 shown]
	s_clause 0x3
	global_store_b128 v[41:42], v[0:3], off
	global_store_b128 v[41:42], v[8:11], off offset:16
	global_store_b128 v[41:42], v[12:15], off offset:32
	;; [unrolled: 1-line block ×3, first 2 shown]
.LBB135_29:
	s_nop 0
	s_sendmsg sendmsg(MSG_DEALLOC_VGPRS)
	s_endpgm
	.section	.rodata,"a",@progbits
	.p2align	6, 0x0
	.amdhsa_kernel _ZN9rocsparseL19gebsrmvn_4xn_kernelILj128ELj6ELj64E21rocsparse_complex_numIdEEEvi20rocsparse_direction_NS_24const_host_device_scalarIT2_EEPKiS8_PKS5_SA_S6_PS5_21rocsparse_index_base_b
		.amdhsa_group_segment_fixed_size 2048
		.amdhsa_private_segment_fixed_size 0
		.amdhsa_kernarg_size 88
		.amdhsa_user_sgpr_count 15
		.amdhsa_user_sgpr_dispatch_ptr 1
		.amdhsa_user_sgpr_queue_ptr 0
		.amdhsa_user_sgpr_kernarg_segment_ptr 1
		.amdhsa_user_sgpr_dispatch_id 0
		.amdhsa_user_sgpr_private_segment_size 0
		.amdhsa_wavefront_size32 1
		.amdhsa_uses_dynamic_stack 0
		.amdhsa_enable_private_segment 0
		.amdhsa_system_sgpr_workgroup_id_x 1
		.amdhsa_system_sgpr_workgroup_id_y 0
		.amdhsa_system_sgpr_workgroup_id_z 0
		.amdhsa_system_sgpr_workgroup_info 0
		.amdhsa_system_vgpr_workitem_id 2
		.amdhsa_next_free_vgpr 74
		.amdhsa_next_free_sgpr 18
		.amdhsa_reserve_vcc 1
		.amdhsa_float_round_mode_32 0
		.amdhsa_float_round_mode_16_64 0
		.amdhsa_float_denorm_mode_32 3
		.amdhsa_float_denorm_mode_16_64 3
		.amdhsa_dx10_clamp 1
		.amdhsa_ieee_mode 1
		.amdhsa_fp16_overflow 0
		.amdhsa_workgroup_processor_mode 1
		.amdhsa_memory_ordered 1
		.amdhsa_forward_progress 0
		.amdhsa_shared_vgpr_count 0
		.amdhsa_exception_fp_ieee_invalid_op 0
		.amdhsa_exception_fp_denorm_src 0
		.amdhsa_exception_fp_ieee_div_zero 0
		.amdhsa_exception_fp_ieee_overflow 0
		.amdhsa_exception_fp_ieee_underflow 0
		.amdhsa_exception_fp_ieee_inexact 0
		.amdhsa_exception_int_div_zero 0
	.end_amdhsa_kernel
	.section	.text._ZN9rocsparseL19gebsrmvn_4xn_kernelILj128ELj6ELj64E21rocsparse_complex_numIdEEEvi20rocsparse_direction_NS_24const_host_device_scalarIT2_EEPKiS8_PKS5_SA_S6_PS5_21rocsparse_index_base_b,"axG",@progbits,_ZN9rocsparseL19gebsrmvn_4xn_kernelILj128ELj6ELj64E21rocsparse_complex_numIdEEEvi20rocsparse_direction_NS_24const_host_device_scalarIT2_EEPKiS8_PKS5_SA_S6_PS5_21rocsparse_index_base_b,comdat
.Lfunc_end135:
	.size	_ZN9rocsparseL19gebsrmvn_4xn_kernelILj128ELj6ELj64E21rocsparse_complex_numIdEEEvi20rocsparse_direction_NS_24const_host_device_scalarIT2_EEPKiS8_PKS5_SA_S6_PS5_21rocsparse_index_base_b, .Lfunc_end135-_ZN9rocsparseL19gebsrmvn_4xn_kernelILj128ELj6ELj64E21rocsparse_complex_numIdEEEvi20rocsparse_direction_NS_24const_host_device_scalarIT2_EEPKiS8_PKS5_SA_S6_PS5_21rocsparse_index_base_b
                                        ; -- End function
	.section	.AMDGPU.csdata,"",@progbits
; Kernel info:
; codeLenInByte = 4160
; NumSgprs: 20
; NumVgprs: 74
; ScratchSize: 0
; MemoryBound: 0
; FloatMode: 240
; IeeeMode: 1
; LDSByteSize: 2048 bytes/workgroup (compile time only)
; SGPRBlocks: 2
; VGPRBlocks: 9
; NumSGPRsForWavesPerEU: 20
; NumVGPRsForWavesPerEU: 74
; Occupancy: 16
; WaveLimiterHint : 1
; COMPUTE_PGM_RSRC2:SCRATCH_EN: 0
; COMPUTE_PGM_RSRC2:USER_SGPR: 15
; COMPUTE_PGM_RSRC2:TRAP_HANDLER: 0
; COMPUTE_PGM_RSRC2:TGID_X_EN: 1
; COMPUTE_PGM_RSRC2:TGID_Y_EN: 0
; COMPUTE_PGM_RSRC2:TGID_Z_EN: 0
; COMPUTE_PGM_RSRC2:TIDIG_COMP_CNT: 2
	.section	.text._ZN9rocsparseL19gebsrmvn_4xn_kernelILj128ELj7ELj4E21rocsparse_complex_numIdEEEvi20rocsparse_direction_NS_24const_host_device_scalarIT2_EEPKiS8_PKS5_SA_S6_PS5_21rocsparse_index_base_b,"axG",@progbits,_ZN9rocsparseL19gebsrmvn_4xn_kernelILj128ELj7ELj4E21rocsparse_complex_numIdEEEvi20rocsparse_direction_NS_24const_host_device_scalarIT2_EEPKiS8_PKS5_SA_S6_PS5_21rocsparse_index_base_b,comdat
	.globl	_ZN9rocsparseL19gebsrmvn_4xn_kernelILj128ELj7ELj4E21rocsparse_complex_numIdEEEvi20rocsparse_direction_NS_24const_host_device_scalarIT2_EEPKiS8_PKS5_SA_S6_PS5_21rocsparse_index_base_b ; -- Begin function _ZN9rocsparseL19gebsrmvn_4xn_kernelILj128ELj7ELj4E21rocsparse_complex_numIdEEEvi20rocsparse_direction_NS_24const_host_device_scalarIT2_EEPKiS8_PKS5_SA_S6_PS5_21rocsparse_index_base_b
	.p2align	8
	.type	_ZN9rocsparseL19gebsrmvn_4xn_kernelILj128ELj7ELj4E21rocsparse_complex_numIdEEEvi20rocsparse_direction_NS_24const_host_device_scalarIT2_EEPKiS8_PKS5_SA_S6_PS5_21rocsparse_index_base_b,@function
_ZN9rocsparseL19gebsrmvn_4xn_kernelILj128ELj7ELj4E21rocsparse_complex_numIdEEEvi20rocsparse_direction_NS_24const_host_device_scalarIT2_EEPKiS8_PKS5_SA_S6_PS5_21rocsparse_index_base_b: ; @_ZN9rocsparseL19gebsrmvn_4xn_kernelILj128ELj7ELj4E21rocsparse_complex_numIdEEEvi20rocsparse_direction_NS_24const_host_device_scalarIT2_EEPKiS8_PKS5_SA_S6_PS5_21rocsparse_index_base_b
; %bb.0:
	s_load_b64 s[12:13], s[2:3], 0x50
	s_load_b64 s[16:17], s[0:1], 0x4
	s_load_b128 s[8:11], s[2:3], 0x8
	v_bfe_u32 v1, v0, 10, 10
	s_mov_b64 s[0:1], src_shared_base
	s_load_b128 s[4:7], s[2:3], 0x38
	v_and_b32_e32 v12, 0x3ff, v0
	v_bfe_u32 v0, v0, 20, 10
	s_waitcnt lgkmcnt(0)
	s_bitcmp1_b32 s13, 0
	v_mul_u32_u24_e32 v1, s17, v1
	s_cselect_b32 s0, -1, 0
	s_delay_alu instid0(SALU_CYCLE_1)
	s_and_b32 vcc_lo, s0, exec_lo
	s_cselect_b32 s13, s1, s9
	s_lshr_b32 s14, s16, 16
	v_dual_mov_b32 v2, s4 :: v_dual_mov_b32 v3, s5
	s_mul_i32 s14, s14, s17
	v_mov_b32_e32 v6, s13
	v_mad_u32_u24 v1, s14, v12, v1
	s_delay_alu instid0(VALU_DEP_1) | instskip(SKIP_1) | instid1(VALU_DEP_2)
	v_add_lshl_u32 v4, v1, v0, 3
	v_dual_mov_b32 v0, s8 :: v_dual_mov_b32 v1, s9
	v_add_nc_u32_e32 v5, 0x400, v4
	ds_store_2addr_stride64_b64 v4, v[2:3], v[0:1] offset1:2
	v_dual_mov_b32 v2, s10 :: v_dual_mov_b32 v3, s11
	v_cndmask_b32_e64 v5, s8, v5, s0
	s_xor_b32 s10, s0, -1
	flat_load_b64 v[0:1], v[5:6]
	s_cbranch_vccnz .LBB136_2
; %bb.1:
	v_dual_mov_b32 v2, s8 :: v_dual_mov_b32 v3, s9
	flat_load_b64 v[2:3], v[2:3] offset:8
.LBB136_2:
	s_and_b32 s8, s0, exec_lo
	s_cselect_b32 s1, s1, s5
	v_cndmask_b32_e64 v4, s4, v4, s0
	v_dual_mov_b32 v5, s1 :: v_dual_mov_b32 v6, s6
	v_mov_b32_e32 v7, s7
	s_and_not1_b32 vcc_lo, exec_lo, s10
	flat_load_b64 v[4:5], v[4:5]
	s_cbranch_vccnz .LBB136_4
; %bb.3:
	v_dual_mov_b32 v7, s5 :: v_dual_mov_b32 v6, s4
	flat_load_b64 v[6:7], v[6:7] offset:8
.LBB136_4:
	s_waitcnt vmcnt(1) lgkmcnt(1)
	v_cmp_eq_f64_e32 vcc_lo, 0, v[0:1]
	v_cmp_eq_f64_e64 s0, 0, v[2:3]
	s_delay_alu instid0(VALU_DEP_1)
	s_and_b32 s4, vcc_lo, s0
	s_mov_b32 s0, -1
	s_and_saveexec_b32 s1, s4
	s_cbranch_execz .LBB136_6
; %bb.5:
	s_waitcnt vmcnt(0) lgkmcnt(0)
	v_cmp_neq_f64_e32 vcc_lo, 1.0, v[4:5]
	v_cmp_neq_f64_e64 s0, 0, v[6:7]
	s_delay_alu instid0(VALU_DEP_1) | instskip(NEXT) | instid1(SALU_CYCLE_1)
	s_or_b32 s0, vcc_lo, s0
	s_or_not1_b32 s0, s0, exec_lo
.LBB136_6:
	s_or_b32 exec_lo, exec_lo, s1
	s_and_saveexec_b32 s1, s0
	s_cbranch_execz .LBB136_33
; %bb.7:
	s_load_b64 s[0:1], s[2:3], 0x0
	v_lshrrev_b32_e32 v8, 2, v12
	s_delay_alu instid0(VALU_DEP_1) | instskip(SKIP_1) | instid1(VALU_DEP_1)
	v_lshl_or_b32 v8, s15, 5, v8
	s_waitcnt lgkmcnt(0)
	v_cmp_gt_i32_e32 vcc_lo, s0, v8
	s_and_b32 exec_lo, exec_lo, vcc_lo
	s_cbranch_execz .LBB136_33
; %bb.8:
	s_load_b256 s[4:11], s[2:3], 0x18
	v_ashrrev_i32_e32 v9, 31, v8
	v_and_b32_e32 v48, 3, v12
	s_cmp_lg_u32 s1, 0
	s_delay_alu instid0(VALU_DEP_2) | instskip(SKIP_1) | instid1(VALU_DEP_1)
	v_lshlrev_b64 v[9:10], 2, v[8:9]
	s_waitcnt lgkmcnt(0)
	v_add_co_u32 v9, vcc_lo, s4, v9
	s_delay_alu instid0(VALU_DEP_2) | instskip(SKIP_4) | instid1(VALU_DEP_2)
	v_add_co_ci_u32_e32 v10, vcc_lo, s5, v10, vcc_lo
	global_load_b64 v[10:11], v[9:10], off
	s_waitcnt vmcnt(0)
	v_subrev_nc_u32_e32 v9, s12, v10
	v_subrev_nc_u32_e32 v49, s12, v11
	v_add_nc_u32_e32 v9, v9, v48
	s_delay_alu instid0(VALU_DEP_1)
	v_cmp_lt_i32_e64 s0, v9, v49
	s_cbranch_scc0 .LBB136_16
; %bb.9:
	v_mov_b32_e32 v11, 0
	v_mov_b32_e32 v12, 0
	s_delay_alu instid0(VALU_DEP_1)
	v_dual_mov_b32 v14, v12 :: v_dual_mov_b32 v13, v11
	v_dual_mov_b32 v16, v12 :: v_dual_mov_b32 v15, v11
	;; [unrolled: 1-line block ×7, first 2 shown]
	s_and_saveexec_b32 s1, s0
	s_cbranch_execz .LBB136_18
; %bb.10:
	v_dual_mov_b32 v11, 0 :: v_dual_mov_b32 v28, 0
	v_dual_mov_b32 v12, 0 :: v_dual_mov_b32 v29, v9
	v_mul_lo_u32 v50, v9, 28
	s_mov_b32 s4, 0
	s_delay_alu instid0(VALU_DEP_2)
	v_dual_mov_b32 v14, v12 :: v_dual_mov_b32 v13, v11
	v_dual_mov_b32 v16, v12 :: v_dual_mov_b32 v15, v11
	;; [unrolled: 1-line block ×7, first 2 shown]
	s_branch .LBB136_12
.LBB136_11:                             ;   in Loop: Header=BB136_12 Depth=1
	v_add_nc_u32_e32 v29, 4, v29
	v_add_nc_u32_e32 v50, 0x70, v50
	s_delay_alu instid0(VALU_DEP_2) | instskip(SKIP_1) | instid1(SALU_CYCLE_1)
	v_cmp_ge_i32_e32 vcc_lo, v29, v49
	s_or_b32 s4, vcc_lo, s4
	s_and_not1_b32 exec_lo, exec_lo, s4
	s_cbranch_execz .LBB136_17
.LBB136_12:                             ; =>This Loop Header: Depth=1
                                        ;     Child Loop BB136_14 Depth 2
	v_ashrrev_i32_e32 v30, 31, v29
	v_mov_b32_e32 v41, v12
	v_mov_b32_e32 v45, v14
	;; [unrolled: 1-line block ×4, first 2 shown]
	v_lshlrev_b64 v[30:31], 2, v[29:30]
	v_mov_b32_e32 v43, v24
	v_dual_mov_b32 v39, v26 :: v_dual_mov_b32 v38, v25
	v_dual_mov_b32 v27, v50 :: v_dual_mov_b32 v40, v11
	s_delay_alu instid0(VALU_DEP_4)
	v_add_co_u32 v30, vcc_lo, s6, v30
	v_add_co_ci_u32_e32 v31, vcc_lo, s7, v31, vcc_lo
	v_mov_b32_e32 v44, v13
	v_mov_b32_e32 v32, v15
	s_mov_b32 s5, 0
	global_load_b32 v30, v[30:31], off
	v_mov_b32_e32 v36, v19
	v_mov_b32_e32 v42, v23
	s_waitcnt vmcnt(0)
	v_subrev_nc_u32_e32 v34, s12, v30
	v_dual_mov_b32 v31, v18 :: v_dual_mov_b32 v30, v17
	s_delay_alu instid0(VALU_DEP_2)
	v_mul_lo_u32 v51, v34, 7
	v_dual_mov_b32 v35, v22 :: v_dual_mov_b32 v34, v21
	s_branch .LBB136_14
.LBB136_13:                             ;   in Loop: Header=BB136_12 Depth=1
                                        ; implicit-def: $vgpr38_vgpr39
                                        ; implicit-def: $vgpr42_vgpr43
                                        ; implicit-def: $vgpr34_vgpr35
                                        ; implicit-def: $vgpr36_vgpr37
                                        ; implicit-def: $vgpr30_vgpr31
                                        ; implicit-def: $vgpr32_vgpr33
                                        ; implicit-def: $vgpr44_vgpr45
                                        ; implicit-def: $vgpr40_vgpr41
                                        ; implicit-def: $sgpr5
	s_branch .LBB136_11
.LBB136_14:                             ;   Parent Loop BB136_12 Depth=1
                                        ; =>  This Inner Loop Header: Depth=2
	s_delay_alu instid0(VALU_DEP_2) | instskip(SKIP_2) | instid1(VALU_DEP_2)
	v_dual_mov_b32 v47, v28 :: v_dual_add_nc_u32 v46, s5, v51
	v_lshlrev_b64 v[11:12], 4, v[27:28]
	s_cmp_eq_u32 s5, 6
	v_lshlrev_b64 v[13:14], 4, v[46:47]
	s_delay_alu instid0(VALU_DEP_2) | instskip(NEXT) | instid1(VALU_DEP_3)
	v_add_co_u32 v23, vcc_lo, s8, v11
	v_add_co_ci_u32_e32 v24, vcc_lo, s9, v12, vcc_lo
	s_delay_alu instid0(VALU_DEP_3) | instskip(NEXT) | instid1(VALU_DEP_4)
	v_add_co_u32 v15, vcc_lo, s10, v13
	v_add_co_ci_u32_e32 v16, vcc_lo, s11, v14, vcc_lo
	global_load_b128 v[11:14], v[23:24], off
	global_load_b128 v[15:18], v[15:16], off
	s_clause 0x2
	global_load_b128 v[19:22], v[23:24], off offset:16
	global_load_b128 v[52:55], v[23:24], off offset:32
	;; [unrolled: 1-line block ×3, first 2 shown]
	s_waitcnt vmcnt(3)
	v_fma_f64 v[23:24], v[11:12], v[15:16], v[44:45]
	v_fma_f64 v[25:26], v[13:14], v[15:16], v[40:41]
	s_waitcnt vmcnt(2)
	v_fma_f64 v[40:41], v[19:20], v[15:16], v[42:43]
	v_fma_f64 v[38:39], v[21:22], v[15:16], v[38:39]
	;; [unrolled: 3-line block ×4, first 2 shown]
	v_fma_f64 v[13:14], -v[13:14], v[17:18], v[23:24]
	v_fma_f64 v[11:12], v[11:12], v[17:18], v[25:26]
	v_fma_f64 v[23:24], -v[21:22], v[17:18], v[40:41]
	v_fma_f64 v[25:26], v[19:20], v[17:18], v[38:39]
	;; [unrolled: 2-line block ×4, first 2 shown]
	s_cbranch_scc1 .LBB136_13
; %bb.15:                               ;   in Loop: Header=BB136_14 Depth=2
	v_dual_mov_b32 v31, v28 :: v_dual_add_nc_u32 v30, 4, v27
	v_dual_mov_b32 v33, v28 :: v_dual_add_nc_u32 v32, 1, v46
	v_add_nc_u32_e32 v27, 8, v27
	s_delay_alu instid0(VALU_DEP_3) | instskip(SKIP_1) | instid1(VALU_DEP_3)
	v_lshlrev_b64 v[30:31], 4, v[30:31]
	s_add_i32 s5, s5, 2
	v_lshlrev_b64 v[32:33], 4, v[32:33]
	s_delay_alu instid0(VALU_DEP_2) | instskip(NEXT) | instid1(VALU_DEP_3)
	v_add_co_u32 v38, vcc_lo, s8, v30
	v_add_co_ci_u32_e32 v39, vcc_lo, s9, v31, vcc_lo
	s_delay_alu instid0(VALU_DEP_3) | instskip(NEXT) | instid1(VALU_DEP_4)
	v_add_co_u32 v34, vcc_lo, s10, v32
	v_add_co_ci_u32_e32 v35, vcc_lo, s11, v33, vcc_lo
	global_load_b128 v[30:33], v[38:39], off
	global_load_b128 v[44:47], v[34:35], off
	s_clause 0x2
	global_load_b128 v[34:37], v[38:39], off offset:16
	global_load_b128 v[52:55], v[38:39], off offset:32
	global_load_b128 v[56:59], v[38:39], off offset:48
	s_waitcnt vmcnt(3)
	v_fma_f64 v[38:39], v[30:31], v[44:45], v[13:14]
	v_fma_f64 v[40:41], v[32:33], v[44:45], v[11:12]
	s_waitcnt vmcnt(2)
	v_fma_f64 v[42:43], v[34:35], v[44:45], v[23:24]
	v_fma_f64 v[60:61], v[36:37], v[44:45], v[25:26]
	;; [unrolled: 3-line block ×4, first 2 shown]
	v_fma_f64 v[44:45], -v[32:33], v[46:47], v[38:39]
	v_fma_f64 v[40:41], v[30:31], v[46:47], v[40:41]
	v_fma_f64 v[42:43], -v[36:37], v[46:47], v[42:43]
	v_fma_f64 v[38:39], v[34:35], v[46:47], v[60:61]
	v_fma_f64 v[36:37], -v[54:55], v[46:47], v[62:63]
	v_fma_f64 v[34:35], v[52:53], v[46:47], v[64:65]
	v_fma_f64 v[32:33], -v[58:59], v[46:47], v[66:67]
	v_fma_f64 v[30:31], v[56:57], v[46:47], v[68:69]
	s_cbranch_execnz .LBB136_14
	s_branch .LBB136_11
.LBB136_16:
                                        ; implicit-def: $vgpr11_vgpr12
                                        ; implicit-def: $vgpr13_vgpr14
                                        ; implicit-def: $vgpr15_vgpr16
                                        ; implicit-def: $vgpr17_vgpr18
                                        ; implicit-def: $vgpr19_vgpr20
                                        ; implicit-def: $vgpr21_vgpr22
                                        ; implicit-def: $vgpr23_vgpr24
                                        ; implicit-def: $vgpr25_vgpr26
	s_branch .LBB136_19
.LBB136_17:
	s_or_b32 exec_lo, exec_lo, s4
.LBB136_18:
	s_delay_alu instid0(SALU_CYCLE_1)
	s_or_b32 exec_lo, exec_lo, s1
	s_cbranch_execnz .LBB136_28
.LBB136_19:
	v_mov_b32_e32 v11, 0
	v_mov_b32_e32 v12, 0
	s_delay_alu instid0(VALU_DEP_1)
	v_dual_mov_b32 v14, v12 :: v_dual_mov_b32 v13, v11
	v_dual_mov_b32 v16, v12 :: v_dual_mov_b32 v15, v11
	;; [unrolled: 1-line block ×7, first 2 shown]
	s_and_saveexec_b32 s1, s0
	s_cbranch_execz .LBB136_27
; %bb.20:
	v_mul_lo_u32 v10, v10, 28
	v_dual_mov_b32 v11, 0 :: v_dual_mov_b32 v28, 0
	v_mov_b32_e32 v12, 0
	v_mul_lo_u32 v45, v9, 28
	s_mul_i32 s0, s12, 28
	s_delay_alu instid0(VALU_DEP_2)
	v_dual_mov_b32 v14, v12 :: v_dual_mov_b32 v13, v11
	v_mad_u32_u24 v10, v48, 28, v10
	v_dual_mov_b32 v16, v12 :: v_dual_mov_b32 v15, v11
	v_dual_mov_b32 v18, v12 :: v_dual_mov_b32 v17, v11
	;; [unrolled: 1-line block ×5, first 2 shown]
	v_subrev_nc_u32_e32 v46, s0, v10
	v_dual_mov_b32 v26, v12 :: v_dual_mov_b32 v25, v11
	s_mov_b32 s0, 0
	s_branch .LBB136_22
.LBB136_21:                             ;   in Loop: Header=BB136_22 Depth=1
	v_add_nc_u32_e32 v9, 4, v9
	v_add_nc_u32_e32 v45, 0x70, v45
	v_add_nc_u32_e32 v46, 0x70, v46
	s_delay_alu instid0(VALU_DEP_3) | instskip(SKIP_1) | instid1(SALU_CYCLE_1)
	v_cmp_ge_i32_e32 vcc_lo, v9, v49
	s_or_b32 s0, vcc_lo, s0
	s_and_not1_b32 exec_lo, exec_lo, s0
	s_cbranch_execz .LBB136_26
.LBB136_22:                             ; =>This Loop Header: Depth=1
                                        ;     Child Loop BB136_24 Depth 2
	v_ashrrev_i32_e32 v10, 31, v9
	v_dual_mov_b32 v34, v12 :: v_dual_mov_b32 v33, v11
	v_dual_mov_b32 v36, v14 :: v_dual_mov_b32 v35, v13
	s_delay_alu instid0(VALU_DEP_3) | instskip(SKIP_3) | instid1(VALU_DEP_4)
	v_lshlrev_b64 v[29:30], 2, v[9:10]
	v_dual_mov_b32 v32, v16 :: v_dual_mov_b32 v31, v15
	v_dual_mov_b32 v38, v20 :: v_dual_mov_b32 v37, v19
	;; [unrolled: 1-line block ×3, first 2 shown]
	v_add_co_u32 v29, vcc_lo, s6, v29
	v_add_co_ci_u32_e32 v30, vcc_lo, s7, v30, vcc_lo
	v_dual_mov_b32 v42, v24 :: v_dual_mov_b32 v41, v23
	v_dual_mov_b32 v44, v26 :: v_dual_mov_b32 v43, v25
	global_load_b32 v10, v[29:30], off
	v_dual_mov_b32 v30, v18 :: v_dual_mov_b32 v29, v17
	s_mov_b32 s4, 0
	s_waitcnt vmcnt(0)
	v_subrev_nc_u32_e32 v10, s12, v10
	s_delay_alu instid0(VALU_DEP_1)
	v_mul_lo_u32 v10, v10, 7
	s_branch .LBB136_24
.LBB136_23:                             ;   in Loop: Header=BB136_22 Depth=1
                                        ; implicit-def: $vgpr43_vgpr44
                                        ; implicit-def: $vgpr41_vgpr42
                                        ; implicit-def: $vgpr39_vgpr40
                                        ; implicit-def: $vgpr37_vgpr38
                                        ; implicit-def: $vgpr29_vgpr30
                                        ; implicit-def: $vgpr31_vgpr32
                                        ; implicit-def: $vgpr35_vgpr36
                                        ; implicit-def: $vgpr33_vgpr34
                                        ; implicit-def: $sgpr4
	s_branch .LBB136_21
.LBB136_24:                             ;   Parent Loop BB136_22 Depth=1
                                        ; =>  This Inner Loop Header: Depth=2
	v_dual_mov_b32 v14, v28 :: v_dual_add_nc_u32 v27, s4, v46
	v_dual_mov_b32 v16, v28 :: v_dual_add_nc_u32 v47, s4, v45
	s_cmp_eq_u32 s4, 6
	s_delay_alu instid0(VALU_DEP_2) | instskip(NEXT) | instid1(VALU_DEP_4)
	v_lshlrev_b64 v[11:12], 4, v[27:28]
	v_dual_mov_b32 v20, v28 :: v_dual_add_nc_u32 v27, s4, v10
	s_delay_alu instid0(VALU_DEP_3) | instskip(SKIP_2) | instid1(VALU_DEP_4)
	v_add_nc_u32_e32 v13, 7, v47
	v_add_nc_u32_e32 v15, 14, v47
	;; [unrolled: 1-line block ×3, first 2 shown]
	v_lshlrev_b64 v[17:18], 4, v[27:28]
	v_add_co_u32 v11, vcc_lo, s8, v11
	v_lshlrev_b64 v[21:22], 4, v[13:14]
	v_add_co_ci_u32_e32 v12, vcc_lo, s9, v12, vcc_lo
	s_delay_alu instid0(VALU_DEP_4)
	v_add_co_u32 v17, vcc_lo, s10, v17
	v_lshlrev_b64 v[23:24], 4, v[15:16]
	v_add_co_ci_u32_e32 v18, vcc_lo, s11, v18, vcc_lo
	v_add_co_u32 v21, vcc_lo, s8, v21
	v_lshlrev_b64 v[19:20], 4, v[19:20]
	v_add_co_ci_u32_e32 v22, vcc_lo, s9, v22, vcc_lo
	v_add_co_u32 v23, vcc_lo, s8, v23
	v_add_co_ci_u32_e32 v24, vcc_lo, s9, v24, vcc_lo
	s_delay_alu instid0(VALU_DEP_4)
	v_add_co_u32 v25, vcc_lo, s8, v19
	v_add_co_ci_u32_e32 v26, vcc_lo, s9, v20, vcc_lo
	global_load_b128 v[11:14], v[11:12], off
	global_load_b128 v[15:18], v[17:18], off
	s_clause 0x2
	global_load_b128 v[19:22], v[21:22], off
	global_load_b128 v[50:53], v[23:24], off
	;; [unrolled: 1-line block ×3, first 2 shown]
	s_waitcnt vmcnt(3)
	v_fma_f64 v[23:24], v[11:12], v[15:16], v[35:36]
	v_fma_f64 v[25:26], v[13:14], v[15:16], v[33:34]
	s_waitcnt vmcnt(2)
	v_fma_f64 v[33:34], v[19:20], v[15:16], v[41:42]
	v_fma_f64 v[35:36], v[21:22], v[15:16], v[43:44]
	;; [unrolled: 3-line block ×4, first 2 shown]
	v_fma_f64 v[13:14], -v[13:14], v[17:18], v[23:24]
	v_fma_f64 v[11:12], v[11:12], v[17:18], v[25:26]
	v_fma_f64 v[23:24], -v[21:22], v[17:18], v[33:34]
	v_fma_f64 v[25:26], v[19:20], v[17:18], v[35:36]
	;; [unrolled: 2-line block ×4, first 2 shown]
	s_cbranch_scc1 .LBB136_23
; %bb.25:                               ;   in Loop: Header=BB136_24 Depth=2
	v_dual_mov_b32 v30, v28 :: v_dual_add_nc_u32 v29, 1, v47
	v_add_nc_u32_e32 v27, 1, v27
	s_add_i32 s4, s4, 2
	s_delay_alu instid0(VALU_DEP_2) | instskip(NEXT) | instid1(VALU_DEP_2)
	v_lshlrev_b64 v[29:30], 4, v[29:30]
	v_lshlrev_b64 v[31:32], 4, v[27:28]
	v_add_nc_u32_e32 v27, 8, v47
	s_delay_alu instid0(VALU_DEP_3) | instskip(NEXT) | instid1(VALU_DEP_4)
	v_add_co_u32 v29, vcc_lo, s8, v29
	v_add_co_ci_u32_e32 v30, vcc_lo, s9, v30, vcc_lo
	s_delay_alu instid0(VALU_DEP_4) | instskip(NEXT) | instid1(VALU_DEP_4)
	v_add_co_u32 v33, vcc_lo, s10, v31
	v_lshlrev_b64 v[35:36], 4, v[27:28]
	v_add_nc_u32_e32 v27, 15, v47
	v_add_co_ci_u32_e32 v34, vcc_lo, s11, v32, vcc_lo
	global_load_b128 v[29:32], v[29:30], off
	global_load_b128 v[50:53], v[33:34], off
	v_lshlrev_b64 v[33:34], 4, v[27:28]
	v_add_nc_u32_e32 v27, 22, v47
	v_add_co_u32 v35, vcc_lo, s8, v35
	v_add_co_ci_u32_e32 v36, vcc_lo, s9, v36, vcc_lo
	s_delay_alu instid0(VALU_DEP_3) | instskip(SKIP_2) | instid1(VALU_DEP_3)
	v_lshlrev_b64 v[37:38], 4, v[27:28]
	v_add_co_u32 v33, vcc_lo, s8, v33
	v_add_co_ci_u32_e32 v34, vcc_lo, s9, v34, vcc_lo
	v_add_co_u32 v41, vcc_lo, s8, v37
	s_delay_alu instid0(VALU_DEP_4)
	v_add_co_ci_u32_e32 v42, vcc_lo, s9, v38, vcc_lo
	s_clause 0x2
	global_load_b128 v[37:40], v[35:36], off
	global_load_b128 v[54:57], v[33:34], off
	;; [unrolled: 1-line block ×3, first 2 shown]
	s_waitcnt vmcnt(3)
	v_fma_f64 v[33:34], v[29:30], v[50:51], v[13:14]
	v_fma_f64 v[41:42], v[31:32], v[50:51], v[11:12]
	s_waitcnt vmcnt(2)
	v_fma_f64 v[43:44], v[37:38], v[50:51], v[23:24]
	v_fma_f64 v[62:63], v[39:40], v[50:51], v[25:26]
	;; [unrolled: 3-line block ×4, first 2 shown]
	v_fma_f64 v[35:36], -v[31:32], v[52:53], v[33:34]
	v_fma_f64 v[33:34], v[29:30], v[52:53], v[41:42]
	v_fma_f64 v[41:42], -v[39:40], v[52:53], v[43:44]
	v_fma_f64 v[43:44], v[37:38], v[52:53], v[62:63]
	;; [unrolled: 2-line block ×4, first 2 shown]
	s_cbranch_execnz .LBB136_24
	s_branch .LBB136_21
.LBB136_26:
	s_or_b32 exec_lo, exec_lo, s0
.LBB136_27:
	s_delay_alu instid0(SALU_CYCLE_1)
	s_or_b32 exec_lo, exec_lo, s1
.LBB136_28:
	v_mbcnt_lo_u32_b32 v41, -1, 0
	s_delay_alu instid0(VALU_DEP_1) | instskip(NEXT) | instid1(VALU_DEP_1)
	v_xor_b32_e32 v9, 2, v41
	v_cmp_gt_i32_e32 vcc_lo, 32, v9
	v_cndmask_b32_e32 v9, v41, v9, vcc_lo
	s_delay_alu instid0(VALU_DEP_1)
	v_lshlrev_b32_e32 v40, 2, v9
	ds_bpermute_b32 v9, v40, v13
	ds_bpermute_b32 v10, v40, v14
	;; [unrolled: 1-line block ×16, first 2 shown]
	s_waitcnt lgkmcnt(14)
	v_add_f64 v[9:10], v[13:14], v[9:10]
	s_waitcnt lgkmcnt(12)
	v_add_f64 v[27:28], v[11:12], v[27:28]
	;; [unrolled: 2-line block ×6, first 2 shown]
	v_xor_b32_e32 v21, 1, v41
	s_waitcnt lgkmcnt(2)
	v_add_f64 v[15:16], v[15:16], v[37:38]
	s_waitcnt lgkmcnt(0)
	v_add_f64 v[17:18], v[17:18], v[39:40]
	v_cmp_gt_i32_e32 vcc_lo, 32, v21
	v_cndmask_b32_e32 v21, v41, v21, vcc_lo
	v_cmp_eq_u32_e32 vcc_lo, 3, v48
	s_delay_alu instid0(VALU_DEP_2)
	v_lshlrev_b32_e32 v32, 2, v21
	ds_bpermute_b32 v39, v32, v9
	ds_bpermute_b32 v40, v32, v10
	;; [unrolled: 1-line block ×16, first 2 shown]
	s_and_b32 exec_lo, exec_lo, vcc_lo
	s_cbranch_execz .LBB136_33
; %bb.29:
	v_cmp_eq_f64_e32 vcc_lo, 0, v[4:5]
	v_cmp_eq_f64_e64 s0, 0, v[6:7]
	s_waitcnt lgkmcnt(14)
	v_add_f64 v[9:10], v[9:10], v[39:40]
	s_waitcnt lgkmcnt(12)
	v_add_f64 v[23:24], v[27:28], v[23:24]
	;; [unrolled: 2-line block ×8, first 2 shown]
	s_load_b64 s[2:3], s[2:3], 0x48
	s_and_b32 s0, vcc_lo, s0
	s_delay_alu instid0(SALU_CYCLE_1) | instskip(NEXT) | instid1(SALU_CYCLE_1)
	s_and_saveexec_b32 s1, s0
	s_xor_b32 s0, exec_lo, s1
	s_cbranch_execz .LBB136_31
; %bb.30:
	v_mul_f64 v[4:5], v[23:24], -v[2:3]
	v_mul_f64 v[6:7], v[0:1], v[23:24]
	v_mul_f64 v[23:24], v[21:22], -v[2:3]
	v_mul_f64 v[21:22], v[0:1], v[21:22]
	;; [unrolled: 2-line block ×4, first 2 shown]
	v_fma_f64 v[4:5], v[0:1], v[9:10], v[4:5]
	v_fma_f64 v[6:7], v[2:3], v[9:10], v[6:7]
	;; [unrolled: 1-line block ×8, first 2 shown]
	v_lshlrev_b32_e32 v13, 2, v8
                                        ; implicit-def: $vgpr8
                                        ; implicit-def: $vgpr23_vgpr24
                                        ; implicit-def: $vgpr21_vgpr22
                                        ; implicit-def: $vgpr15_vgpr16
	s_delay_alu instid0(VALU_DEP_1) | instskip(NEXT) | instid1(VALU_DEP_1)
	v_ashrrev_i32_e32 v14, 31, v13
	v_lshlrev_b64 v[13:14], 4, v[13:14]
	s_waitcnt lgkmcnt(0)
	s_delay_alu instid0(VALU_DEP_1) | instskip(NEXT) | instid1(VALU_DEP_2)
	v_add_co_u32 v13, vcc_lo, s2, v13
	v_add_co_ci_u32_e32 v14, vcc_lo, s3, v14, vcc_lo
	s_clause 0x3
	global_store_b128 v[13:14], v[4:7], off
	global_store_b128 v[13:14], v[9:12], off offset:16
	global_store_b128 v[13:14], v[17:20], off offset:32
	global_store_b128 v[13:14], v[0:3], off offset:48
                                        ; implicit-def: $vgpr0_vgpr1
                                        ; implicit-def: $vgpr2_vgpr3
                                        ; implicit-def: $vgpr4_vgpr5
                                        ; implicit-def: $vgpr6_vgpr7
                                        ; implicit-def: $vgpr9_vgpr10
                                        ; implicit-def: $vgpr11_vgpr12
                                        ; implicit-def: $vgpr13_vgpr14
                                        ; implicit-def: $vgpr19_vgpr20
                                        ; implicit-def: $vgpr17_vgpr18
.LBB136_31:
	s_and_not1_saveexec_b32 s0, s0
	s_cbranch_execz .LBB136_33
; %bb.32:
	v_lshlrev_b32_e32 v25, 2, v8
	v_mul_f64 v[43:44], v[23:24], -v[2:3]
	v_mul_f64 v[23:24], v[0:1], v[23:24]
	v_mul_f64 v[45:46], v[21:22], -v[2:3]
	v_mul_f64 v[21:22], v[0:1], v[21:22]
	v_ashrrev_i32_e32 v26, 31, v25
	v_mul_f64 v[47:48], v[19:20], -v[2:3]
	v_mul_f64 v[19:20], v[0:1], v[19:20]
	v_mul_f64 v[49:50], v[17:18], -v[2:3]
	v_mul_f64 v[17:18], v[0:1], v[17:18]
	v_lshlrev_b64 v[25:26], 4, v[25:26]
	s_waitcnt lgkmcnt(0)
	s_delay_alu instid0(VALU_DEP_1) | instskip(NEXT) | instid1(VALU_DEP_2)
	v_add_co_u32 v41, vcc_lo, s2, v25
	v_add_co_ci_u32_e32 v42, vcc_lo, s3, v26, vcc_lo
	s_clause 0x3
	global_load_b128 v[25:28], v[41:42], off
	global_load_b128 v[29:32], v[41:42], off offset:16
	global_load_b128 v[33:36], v[41:42], off offset:32
	;; [unrolled: 1-line block ×3, first 2 shown]
	v_fma_f64 v[43:44], v[0:1], v[9:10], v[43:44]
	v_fma_f64 v[8:9], v[2:3], v[9:10], v[23:24]
	;; [unrolled: 1-line block ×8, first 2 shown]
	s_waitcnt vmcnt(3)
	v_fma_f64 v[14:15], v[4:5], v[25:26], v[43:44]
	v_fma_f64 v[8:9], v[6:7], v[25:26], v[8:9]
	s_waitcnt vmcnt(2)
	v_fma_f64 v[16:17], v[4:5], v[29:30], v[23:24]
	v_fma_f64 v[10:11], v[6:7], v[29:30], v[10:11]
	;; [unrolled: 3-line block ×4, first 2 shown]
	v_fma_f64 v[0:1], -v[6:7], v[27:28], v[14:15]
	v_fma_f64 v[2:3], v[4:5], v[27:28], v[8:9]
	v_fma_f64 v[8:9], -v[6:7], v[31:32], v[16:17]
	v_fma_f64 v[10:11], v[4:5], v[31:32], v[10:11]
	;; [unrolled: 2-line block ×4, first 2 shown]
	s_clause 0x3
	global_store_b128 v[41:42], v[0:3], off
	global_store_b128 v[41:42], v[8:11], off offset:16
	global_store_b128 v[41:42], v[12:15], off offset:32
	;; [unrolled: 1-line block ×3, first 2 shown]
.LBB136_33:
	s_nop 0
	s_sendmsg sendmsg(MSG_DEALLOC_VGPRS)
	s_endpgm
	.section	.rodata,"a",@progbits
	.p2align	6, 0x0
	.amdhsa_kernel _ZN9rocsparseL19gebsrmvn_4xn_kernelILj128ELj7ELj4E21rocsparse_complex_numIdEEEvi20rocsparse_direction_NS_24const_host_device_scalarIT2_EEPKiS8_PKS5_SA_S6_PS5_21rocsparse_index_base_b
		.amdhsa_group_segment_fixed_size 2048
		.amdhsa_private_segment_fixed_size 0
		.amdhsa_kernarg_size 88
		.amdhsa_user_sgpr_count 15
		.amdhsa_user_sgpr_dispatch_ptr 1
		.amdhsa_user_sgpr_queue_ptr 0
		.amdhsa_user_sgpr_kernarg_segment_ptr 1
		.amdhsa_user_sgpr_dispatch_id 0
		.amdhsa_user_sgpr_private_segment_size 0
		.amdhsa_wavefront_size32 1
		.amdhsa_uses_dynamic_stack 0
		.amdhsa_enable_private_segment 0
		.amdhsa_system_sgpr_workgroup_id_x 1
		.amdhsa_system_sgpr_workgroup_id_y 0
		.amdhsa_system_sgpr_workgroup_id_z 0
		.amdhsa_system_sgpr_workgroup_info 0
		.amdhsa_system_vgpr_workitem_id 2
		.amdhsa_next_free_vgpr 70
		.amdhsa_next_free_sgpr 18
		.amdhsa_reserve_vcc 1
		.amdhsa_float_round_mode_32 0
		.amdhsa_float_round_mode_16_64 0
		.amdhsa_float_denorm_mode_32 3
		.amdhsa_float_denorm_mode_16_64 3
		.amdhsa_dx10_clamp 1
		.amdhsa_ieee_mode 1
		.amdhsa_fp16_overflow 0
		.amdhsa_workgroup_processor_mode 1
		.amdhsa_memory_ordered 1
		.amdhsa_forward_progress 0
		.amdhsa_shared_vgpr_count 0
		.amdhsa_exception_fp_ieee_invalid_op 0
		.amdhsa_exception_fp_denorm_src 0
		.amdhsa_exception_fp_ieee_div_zero 0
		.amdhsa_exception_fp_ieee_overflow 0
		.amdhsa_exception_fp_ieee_underflow 0
		.amdhsa_exception_fp_ieee_inexact 0
		.amdhsa_exception_int_div_zero 0
	.end_amdhsa_kernel
	.section	.text._ZN9rocsparseL19gebsrmvn_4xn_kernelILj128ELj7ELj4E21rocsparse_complex_numIdEEEvi20rocsparse_direction_NS_24const_host_device_scalarIT2_EEPKiS8_PKS5_SA_S6_PS5_21rocsparse_index_base_b,"axG",@progbits,_ZN9rocsparseL19gebsrmvn_4xn_kernelILj128ELj7ELj4E21rocsparse_complex_numIdEEEvi20rocsparse_direction_NS_24const_host_device_scalarIT2_EEPKiS8_PKS5_SA_S6_PS5_21rocsparse_index_base_b,comdat
.Lfunc_end136:
	.size	_ZN9rocsparseL19gebsrmvn_4xn_kernelILj128ELj7ELj4E21rocsparse_complex_numIdEEEvi20rocsparse_direction_NS_24const_host_device_scalarIT2_EEPKiS8_PKS5_SA_S6_PS5_21rocsparse_index_base_b, .Lfunc_end136-_ZN9rocsparseL19gebsrmvn_4xn_kernelILj128ELj7ELj4E21rocsparse_complex_numIdEEEvi20rocsparse_direction_NS_24const_host_device_scalarIT2_EEPKiS8_PKS5_SA_S6_PS5_21rocsparse_index_base_b
                                        ; -- End function
	.section	.AMDGPU.csdata,"",@progbits
; Kernel info:
; codeLenInByte = 3572
; NumSgprs: 20
; NumVgprs: 70
; ScratchSize: 0
; MemoryBound: 0
; FloatMode: 240
; IeeeMode: 1
; LDSByteSize: 2048 bytes/workgroup (compile time only)
; SGPRBlocks: 2
; VGPRBlocks: 8
; NumSGPRsForWavesPerEU: 20
; NumVGPRsForWavesPerEU: 70
; Occupancy: 16
; WaveLimiterHint : 1
; COMPUTE_PGM_RSRC2:SCRATCH_EN: 0
; COMPUTE_PGM_RSRC2:USER_SGPR: 15
; COMPUTE_PGM_RSRC2:TRAP_HANDLER: 0
; COMPUTE_PGM_RSRC2:TGID_X_EN: 1
; COMPUTE_PGM_RSRC2:TGID_Y_EN: 0
; COMPUTE_PGM_RSRC2:TGID_Z_EN: 0
; COMPUTE_PGM_RSRC2:TIDIG_COMP_CNT: 2
	.section	.text._ZN9rocsparseL19gebsrmvn_4xn_kernelILj128ELj7ELj8E21rocsparse_complex_numIdEEEvi20rocsparse_direction_NS_24const_host_device_scalarIT2_EEPKiS8_PKS5_SA_S6_PS5_21rocsparse_index_base_b,"axG",@progbits,_ZN9rocsparseL19gebsrmvn_4xn_kernelILj128ELj7ELj8E21rocsparse_complex_numIdEEEvi20rocsparse_direction_NS_24const_host_device_scalarIT2_EEPKiS8_PKS5_SA_S6_PS5_21rocsparse_index_base_b,comdat
	.globl	_ZN9rocsparseL19gebsrmvn_4xn_kernelILj128ELj7ELj8E21rocsparse_complex_numIdEEEvi20rocsparse_direction_NS_24const_host_device_scalarIT2_EEPKiS8_PKS5_SA_S6_PS5_21rocsparse_index_base_b ; -- Begin function _ZN9rocsparseL19gebsrmvn_4xn_kernelILj128ELj7ELj8E21rocsparse_complex_numIdEEEvi20rocsparse_direction_NS_24const_host_device_scalarIT2_EEPKiS8_PKS5_SA_S6_PS5_21rocsparse_index_base_b
	.p2align	8
	.type	_ZN9rocsparseL19gebsrmvn_4xn_kernelILj128ELj7ELj8E21rocsparse_complex_numIdEEEvi20rocsparse_direction_NS_24const_host_device_scalarIT2_EEPKiS8_PKS5_SA_S6_PS5_21rocsparse_index_base_b,@function
_ZN9rocsparseL19gebsrmvn_4xn_kernelILj128ELj7ELj8E21rocsparse_complex_numIdEEEvi20rocsparse_direction_NS_24const_host_device_scalarIT2_EEPKiS8_PKS5_SA_S6_PS5_21rocsparse_index_base_b: ; @_ZN9rocsparseL19gebsrmvn_4xn_kernelILj128ELj7ELj8E21rocsparse_complex_numIdEEEvi20rocsparse_direction_NS_24const_host_device_scalarIT2_EEPKiS8_PKS5_SA_S6_PS5_21rocsparse_index_base_b
; %bb.0:
	s_load_b64 s[12:13], s[2:3], 0x50
	s_load_b64 s[16:17], s[0:1], 0x4
	s_load_b128 s[8:11], s[2:3], 0x8
	v_bfe_u32 v1, v0, 10, 10
	s_mov_b64 s[0:1], src_shared_base
	s_load_b128 s[4:7], s[2:3], 0x38
	v_and_b32_e32 v12, 0x3ff, v0
	v_bfe_u32 v0, v0, 20, 10
	s_waitcnt lgkmcnt(0)
	s_bitcmp1_b32 s13, 0
	v_mul_u32_u24_e32 v1, s17, v1
	s_cselect_b32 s0, -1, 0
	s_delay_alu instid0(SALU_CYCLE_1)
	s_and_b32 vcc_lo, s0, exec_lo
	s_cselect_b32 s13, s1, s9
	s_lshr_b32 s14, s16, 16
	v_dual_mov_b32 v2, s4 :: v_dual_mov_b32 v3, s5
	s_mul_i32 s14, s14, s17
	v_mov_b32_e32 v6, s13
	v_mad_u32_u24 v1, s14, v12, v1
	s_delay_alu instid0(VALU_DEP_1) | instskip(SKIP_1) | instid1(VALU_DEP_2)
	v_add_lshl_u32 v4, v1, v0, 3
	v_dual_mov_b32 v0, s8 :: v_dual_mov_b32 v1, s9
	v_add_nc_u32_e32 v5, 0x400, v4
	ds_store_2addr_stride64_b64 v4, v[2:3], v[0:1] offset1:2
	v_dual_mov_b32 v2, s10 :: v_dual_mov_b32 v3, s11
	v_cndmask_b32_e64 v5, s8, v5, s0
	s_xor_b32 s10, s0, -1
	flat_load_b64 v[0:1], v[5:6]
	s_cbranch_vccnz .LBB137_2
; %bb.1:
	v_dual_mov_b32 v2, s8 :: v_dual_mov_b32 v3, s9
	flat_load_b64 v[2:3], v[2:3] offset:8
.LBB137_2:
	s_and_b32 s8, s0, exec_lo
	s_cselect_b32 s1, s1, s5
	v_cndmask_b32_e64 v4, s4, v4, s0
	v_dual_mov_b32 v5, s1 :: v_dual_mov_b32 v6, s6
	v_mov_b32_e32 v7, s7
	s_and_not1_b32 vcc_lo, exec_lo, s10
	flat_load_b64 v[4:5], v[4:5]
	s_cbranch_vccnz .LBB137_4
; %bb.3:
	v_dual_mov_b32 v7, s5 :: v_dual_mov_b32 v6, s4
	flat_load_b64 v[6:7], v[6:7] offset:8
.LBB137_4:
	s_waitcnt vmcnt(1) lgkmcnt(1)
	v_cmp_eq_f64_e32 vcc_lo, 0, v[0:1]
	v_cmp_eq_f64_e64 s0, 0, v[2:3]
	s_delay_alu instid0(VALU_DEP_1)
	s_and_b32 s4, vcc_lo, s0
	s_mov_b32 s0, -1
	s_and_saveexec_b32 s1, s4
	s_cbranch_execz .LBB137_6
; %bb.5:
	s_waitcnt vmcnt(0) lgkmcnt(0)
	v_cmp_neq_f64_e32 vcc_lo, 1.0, v[4:5]
	v_cmp_neq_f64_e64 s0, 0, v[6:7]
	s_delay_alu instid0(VALU_DEP_1) | instskip(NEXT) | instid1(SALU_CYCLE_1)
	s_or_b32 s0, vcc_lo, s0
	s_or_not1_b32 s0, s0, exec_lo
.LBB137_6:
	s_or_b32 exec_lo, exec_lo, s1
	s_and_saveexec_b32 s1, s0
	s_cbranch_execz .LBB137_33
; %bb.7:
	s_load_b64 s[0:1], s[2:3], 0x0
	v_lshrrev_b32_e32 v8, 3, v12
	s_delay_alu instid0(VALU_DEP_1) | instskip(SKIP_1) | instid1(VALU_DEP_1)
	v_lshl_or_b32 v8, s15, 4, v8
	s_waitcnt lgkmcnt(0)
	v_cmp_gt_i32_e32 vcc_lo, s0, v8
	s_and_b32 exec_lo, exec_lo, vcc_lo
	s_cbranch_execz .LBB137_33
; %bb.8:
	s_load_b256 s[4:11], s[2:3], 0x18
	v_ashrrev_i32_e32 v9, 31, v8
	v_and_b32_e32 v48, 7, v12
	s_cmp_lg_u32 s1, 0
	s_delay_alu instid0(VALU_DEP_2) | instskip(SKIP_1) | instid1(VALU_DEP_1)
	v_lshlrev_b64 v[9:10], 2, v[8:9]
	s_waitcnt lgkmcnt(0)
	v_add_co_u32 v9, vcc_lo, s4, v9
	s_delay_alu instid0(VALU_DEP_2) | instskip(SKIP_4) | instid1(VALU_DEP_2)
	v_add_co_ci_u32_e32 v10, vcc_lo, s5, v10, vcc_lo
	global_load_b64 v[10:11], v[9:10], off
	s_waitcnt vmcnt(0)
	v_subrev_nc_u32_e32 v9, s12, v10
	v_subrev_nc_u32_e32 v49, s12, v11
	v_add_nc_u32_e32 v9, v9, v48
	s_delay_alu instid0(VALU_DEP_1)
	v_cmp_lt_i32_e64 s0, v9, v49
	s_cbranch_scc0 .LBB137_16
; %bb.9:
	v_mov_b32_e32 v11, 0
	v_mov_b32_e32 v12, 0
	s_delay_alu instid0(VALU_DEP_1)
	v_dual_mov_b32 v14, v12 :: v_dual_mov_b32 v13, v11
	v_dual_mov_b32 v16, v12 :: v_dual_mov_b32 v15, v11
	;; [unrolled: 1-line block ×7, first 2 shown]
	s_and_saveexec_b32 s1, s0
	s_cbranch_execz .LBB137_18
; %bb.10:
	v_dual_mov_b32 v11, 0 :: v_dual_mov_b32 v28, 0
	v_dual_mov_b32 v12, 0 :: v_dual_mov_b32 v29, v9
	v_mul_lo_u32 v50, v9, 28
	s_mov_b32 s4, 0
	s_delay_alu instid0(VALU_DEP_2)
	v_dual_mov_b32 v14, v12 :: v_dual_mov_b32 v13, v11
	v_dual_mov_b32 v16, v12 :: v_dual_mov_b32 v15, v11
	;; [unrolled: 1-line block ×7, first 2 shown]
	s_branch .LBB137_12
.LBB137_11:                             ;   in Loop: Header=BB137_12 Depth=1
	v_add_nc_u32_e32 v29, 8, v29
	v_add_nc_u32_e32 v50, 0xe0, v50
	s_delay_alu instid0(VALU_DEP_2) | instskip(SKIP_1) | instid1(SALU_CYCLE_1)
	v_cmp_ge_i32_e32 vcc_lo, v29, v49
	s_or_b32 s4, vcc_lo, s4
	s_and_not1_b32 exec_lo, exec_lo, s4
	s_cbranch_execz .LBB137_17
.LBB137_12:                             ; =>This Loop Header: Depth=1
                                        ;     Child Loop BB137_14 Depth 2
	v_ashrrev_i32_e32 v30, 31, v29
	v_mov_b32_e32 v41, v12
	v_mov_b32_e32 v45, v14
	v_mov_b32_e32 v33, v16
	v_mov_b32_e32 v37, v20
	v_lshlrev_b64 v[30:31], 2, v[29:30]
	v_mov_b32_e32 v43, v24
	v_dual_mov_b32 v39, v26 :: v_dual_mov_b32 v38, v25
	v_dual_mov_b32 v27, v50 :: v_dual_mov_b32 v40, v11
	s_delay_alu instid0(VALU_DEP_4)
	v_add_co_u32 v30, vcc_lo, s6, v30
	v_add_co_ci_u32_e32 v31, vcc_lo, s7, v31, vcc_lo
	v_mov_b32_e32 v44, v13
	v_mov_b32_e32 v32, v15
	s_mov_b32 s5, 0
	global_load_b32 v30, v[30:31], off
	v_mov_b32_e32 v36, v19
	v_mov_b32_e32 v42, v23
	s_waitcnt vmcnt(0)
	v_subrev_nc_u32_e32 v34, s12, v30
	v_dual_mov_b32 v31, v18 :: v_dual_mov_b32 v30, v17
	s_delay_alu instid0(VALU_DEP_2)
	v_mul_lo_u32 v51, v34, 7
	v_dual_mov_b32 v35, v22 :: v_dual_mov_b32 v34, v21
	s_branch .LBB137_14
.LBB137_13:                             ;   in Loop: Header=BB137_12 Depth=1
                                        ; implicit-def: $vgpr38_vgpr39
                                        ; implicit-def: $vgpr42_vgpr43
                                        ; implicit-def: $vgpr34_vgpr35
                                        ; implicit-def: $vgpr36_vgpr37
                                        ; implicit-def: $vgpr30_vgpr31
                                        ; implicit-def: $vgpr32_vgpr33
                                        ; implicit-def: $vgpr44_vgpr45
                                        ; implicit-def: $vgpr40_vgpr41
                                        ; implicit-def: $sgpr5
	s_branch .LBB137_11
.LBB137_14:                             ;   Parent Loop BB137_12 Depth=1
                                        ; =>  This Inner Loop Header: Depth=2
	s_delay_alu instid0(VALU_DEP_2) | instskip(SKIP_2) | instid1(VALU_DEP_2)
	v_dual_mov_b32 v47, v28 :: v_dual_add_nc_u32 v46, s5, v51
	v_lshlrev_b64 v[11:12], 4, v[27:28]
	s_cmp_eq_u32 s5, 6
	v_lshlrev_b64 v[13:14], 4, v[46:47]
	s_delay_alu instid0(VALU_DEP_2) | instskip(NEXT) | instid1(VALU_DEP_3)
	v_add_co_u32 v23, vcc_lo, s8, v11
	v_add_co_ci_u32_e32 v24, vcc_lo, s9, v12, vcc_lo
	s_delay_alu instid0(VALU_DEP_3) | instskip(NEXT) | instid1(VALU_DEP_4)
	v_add_co_u32 v15, vcc_lo, s10, v13
	v_add_co_ci_u32_e32 v16, vcc_lo, s11, v14, vcc_lo
	global_load_b128 v[11:14], v[23:24], off
	global_load_b128 v[15:18], v[15:16], off
	s_clause 0x2
	global_load_b128 v[19:22], v[23:24], off offset:16
	global_load_b128 v[52:55], v[23:24], off offset:32
	;; [unrolled: 1-line block ×3, first 2 shown]
	s_waitcnt vmcnt(3)
	v_fma_f64 v[23:24], v[11:12], v[15:16], v[44:45]
	v_fma_f64 v[25:26], v[13:14], v[15:16], v[40:41]
	s_waitcnt vmcnt(2)
	v_fma_f64 v[40:41], v[19:20], v[15:16], v[42:43]
	v_fma_f64 v[38:39], v[21:22], v[15:16], v[38:39]
	;; [unrolled: 3-line block ×4, first 2 shown]
	v_fma_f64 v[13:14], -v[13:14], v[17:18], v[23:24]
	v_fma_f64 v[11:12], v[11:12], v[17:18], v[25:26]
	v_fma_f64 v[23:24], -v[21:22], v[17:18], v[40:41]
	v_fma_f64 v[25:26], v[19:20], v[17:18], v[38:39]
	;; [unrolled: 2-line block ×4, first 2 shown]
	s_cbranch_scc1 .LBB137_13
; %bb.15:                               ;   in Loop: Header=BB137_14 Depth=2
	v_dual_mov_b32 v31, v28 :: v_dual_add_nc_u32 v30, 4, v27
	v_dual_mov_b32 v33, v28 :: v_dual_add_nc_u32 v32, 1, v46
	v_add_nc_u32_e32 v27, 8, v27
	s_delay_alu instid0(VALU_DEP_3) | instskip(SKIP_1) | instid1(VALU_DEP_3)
	v_lshlrev_b64 v[30:31], 4, v[30:31]
	s_add_i32 s5, s5, 2
	v_lshlrev_b64 v[32:33], 4, v[32:33]
	s_delay_alu instid0(VALU_DEP_2) | instskip(NEXT) | instid1(VALU_DEP_3)
	v_add_co_u32 v38, vcc_lo, s8, v30
	v_add_co_ci_u32_e32 v39, vcc_lo, s9, v31, vcc_lo
	s_delay_alu instid0(VALU_DEP_3) | instskip(NEXT) | instid1(VALU_DEP_4)
	v_add_co_u32 v34, vcc_lo, s10, v32
	v_add_co_ci_u32_e32 v35, vcc_lo, s11, v33, vcc_lo
	global_load_b128 v[30:33], v[38:39], off
	global_load_b128 v[44:47], v[34:35], off
	s_clause 0x2
	global_load_b128 v[34:37], v[38:39], off offset:16
	global_load_b128 v[52:55], v[38:39], off offset:32
	;; [unrolled: 1-line block ×3, first 2 shown]
	s_waitcnt vmcnt(3)
	v_fma_f64 v[38:39], v[30:31], v[44:45], v[13:14]
	v_fma_f64 v[40:41], v[32:33], v[44:45], v[11:12]
	s_waitcnt vmcnt(2)
	v_fma_f64 v[42:43], v[34:35], v[44:45], v[23:24]
	v_fma_f64 v[60:61], v[36:37], v[44:45], v[25:26]
	;; [unrolled: 3-line block ×4, first 2 shown]
	v_fma_f64 v[44:45], -v[32:33], v[46:47], v[38:39]
	v_fma_f64 v[40:41], v[30:31], v[46:47], v[40:41]
	v_fma_f64 v[42:43], -v[36:37], v[46:47], v[42:43]
	v_fma_f64 v[38:39], v[34:35], v[46:47], v[60:61]
	;; [unrolled: 2-line block ×4, first 2 shown]
	s_cbranch_execnz .LBB137_14
	s_branch .LBB137_11
.LBB137_16:
                                        ; implicit-def: $vgpr11_vgpr12
                                        ; implicit-def: $vgpr13_vgpr14
                                        ; implicit-def: $vgpr15_vgpr16
                                        ; implicit-def: $vgpr17_vgpr18
                                        ; implicit-def: $vgpr19_vgpr20
                                        ; implicit-def: $vgpr21_vgpr22
                                        ; implicit-def: $vgpr23_vgpr24
                                        ; implicit-def: $vgpr25_vgpr26
	s_branch .LBB137_19
.LBB137_17:
	s_or_b32 exec_lo, exec_lo, s4
.LBB137_18:
	s_delay_alu instid0(SALU_CYCLE_1)
	s_or_b32 exec_lo, exec_lo, s1
	s_cbranch_execnz .LBB137_28
.LBB137_19:
	v_mov_b32_e32 v11, 0
	v_mov_b32_e32 v12, 0
	s_delay_alu instid0(VALU_DEP_1)
	v_dual_mov_b32 v14, v12 :: v_dual_mov_b32 v13, v11
	v_dual_mov_b32 v16, v12 :: v_dual_mov_b32 v15, v11
	;; [unrolled: 1-line block ×7, first 2 shown]
	s_and_saveexec_b32 s1, s0
	s_cbranch_execz .LBB137_27
; %bb.20:
	v_mul_lo_u32 v10, v10, 28
	v_dual_mov_b32 v11, 0 :: v_dual_mov_b32 v28, 0
	v_mov_b32_e32 v12, 0
	v_mul_lo_u32 v45, v9, 28
	s_mul_i32 s0, s12, 28
	s_delay_alu instid0(VALU_DEP_2)
	v_dual_mov_b32 v14, v12 :: v_dual_mov_b32 v13, v11
	v_mad_u32_u24 v10, v48, 28, v10
	v_dual_mov_b32 v16, v12 :: v_dual_mov_b32 v15, v11
	v_dual_mov_b32 v18, v12 :: v_dual_mov_b32 v17, v11
	;; [unrolled: 1-line block ×5, first 2 shown]
	v_subrev_nc_u32_e32 v46, s0, v10
	v_dual_mov_b32 v26, v12 :: v_dual_mov_b32 v25, v11
	s_mov_b32 s0, 0
	s_branch .LBB137_22
.LBB137_21:                             ;   in Loop: Header=BB137_22 Depth=1
	v_add_nc_u32_e32 v9, 8, v9
	v_add_nc_u32_e32 v45, 0xe0, v45
	;; [unrolled: 1-line block ×3, first 2 shown]
	s_delay_alu instid0(VALU_DEP_3) | instskip(SKIP_1) | instid1(SALU_CYCLE_1)
	v_cmp_ge_i32_e32 vcc_lo, v9, v49
	s_or_b32 s0, vcc_lo, s0
	s_and_not1_b32 exec_lo, exec_lo, s0
	s_cbranch_execz .LBB137_26
.LBB137_22:                             ; =>This Loop Header: Depth=1
                                        ;     Child Loop BB137_24 Depth 2
	v_ashrrev_i32_e32 v10, 31, v9
	v_dual_mov_b32 v34, v12 :: v_dual_mov_b32 v33, v11
	v_dual_mov_b32 v36, v14 :: v_dual_mov_b32 v35, v13
	s_delay_alu instid0(VALU_DEP_3) | instskip(SKIP_3) | instid1(VALU_DEP_4)
	v_lshlrev_b64 v[29:30], 2, v[9:10]
	v_dual_mov_b32 v32, v16 :: v_dual_mov_b32 v31, v15
	v_dual_mov_b32 v38, v20 :: v_dual_mov_b32 v37, v19
	;; [unrolled: 1-line block ×3, first 2 shown]
	v_add_co_u32 v29, vcc_lo, s6, v29
	v_add_co_ci_u32_e32 v30, vcc_lo, s7, v30, vcc_lo
	v_dual_mov_b32 v42, v24 :: v_dual_mov_b32 v41, v23
	v_dual_mov_b32 v44, v26 :: v_dual_mov_b32 v43, v25
	global_load_b32 v10, v[29:30], off
	v_dual_mov_b32 v30, v18 :: v_dual_mov_b32 v29, v17
	s_mov_b32 s4, 0
	s_waitcnt vmcnt(0)
	v_subrev_nc_u32_e32 v10, s12, v10
	s_delay_alu instid0(VALU_DEP_1)
	v_mul_lo_u32 v10, v10, 7
	s_branch .LBB137_24
.LBB137_23:                             ;   in Loop: Header=BB137_22 Depth=1
                                        ; implicit-def: $vgpr43_vgpr44
                                        ; implicit-def: $vgpr41_vgpr42
                                        ; implicit-def: $vgpr39_vgpr40
                                        ; implicit-def: $vgpr37_vgpr38
                                        ; implicit-def: $vgpr29_vgpr30
                                        ; implicit-def: $vgpr31_vgpr32
                                        ; implicit-def: $vgpr35_vgpr36
                                        ; implicit-def: $vgpr33_vgpr34
                                        ; implicit-def: $sgpr4
	s_branch .LBB137_21
.LBB137_24:                             ;   Parent Loop BB137_22 Depth=1
                                        ; =>  This Inner Loop Header: Depth=2
	v_dual_mov_b32 v14, v28 :: v_dual_add_nc_u32 v27, s4, v46
	v_dual_mov_b32 v16, v28 :: v_dual_add_nc_u32 v47, s4, v45
	s_cmp_eq_u32 s4, 6
	s_delay_alu instid0(VALU_DEP_2) | instskip(NEXT) | instid1(VALU_DEP_4)
	v_lshlrev_b64 v[11:12], 4, v[27:28]
	v_dual_mov_b32 v20, v28 :: v_dual_add_nc_u32 v27, s4, v10
	s_delay_alu instid0(VALU_DEP_3) | instskip(SKIP_2) | instid1(VALU_DEP_4)
	v_add_nc_u32_e32 v13, 7, v47
	v_add_nc_u32_e32 v15, 14, v47
	v_add_nc_u32_e32 v19, 21, v47
	v_lshlrev_b64 v[17:18], 4, v[27:28]
	v_add_co_u32 v11, vcc_lo, s8, v11
	v_lshlrev_b64 v[21:22], 4, v[13:14]
	v_add_co_ci_u32_e32 v12, vcc_lo, s9, v12, vcc_lo
	s_delay_alu instid0(VALU_DEP_4)
	v_add_co_u32 v17, vcc_lo, s10, v17
	v_lshlrev_b64 v[23:24], 4, v[15:16]
	v_add_co_ci_u32_e32 v18, vcc_lo, s11, v18, vcc_lo
	v_add_co_u32 v21, vcc_lo, s8, v21
	v_lshlrev_b64 v[19:20], 4, v[19:20]
	v_add_co_ci_u32_e32 v22, vcc_lo, s9, v22, vcc_lo
	v_add_co_u32 v23, vcc_lo, s8, v23
	v_add_co_ci_u32_e32 v24, vcc_lo, s9, v24, vcc_lo
	s_delay_alu instid0(VALU_DEP_4)
	v_add_co_u32 v25, vcc_lo, s8, v19
	v_add_co_ci_u32_e32 v26, vcc_lo, s9, v20, vcc_lo
	global_load_b128 v[11:14], v[11:12], off
	global_load_b128 v[15:18], v[17:18], off
	s_clause 0x2
	global_load_b128 v[19:22], v[21:22], off
	global_load_b128 v[50:53], v[23:24], off
	;; [unrolled: 1-line block ×3, first 2 shown]
	s_waitcnt vmcnt(3)
	v_fma_f64 v[23:24], v[11:12], v[15:16], v[35:36]
	v_fma_f64 v[25:26], v[13:14], v[15:16], v[33:34]
	s_waitcnt vmcnt(2)
	v_fma_f64 v[33:34], v[19:20], v[15:16], v[41:42]
	v_fma_f64 v[35:36], v[21:22], v[15:16], v[43:44]
	;; [unrolled: 3-line block ×4, first 2 shown]
	v_fma_f64 v[13:14], -v[13:14], v[17:18], v[23:24]
	v_fma_f64 v[11:12], v[11:12], v[17:18], v[25:26]
	v_fma_f64 v[23:24], -v[21:22], v[17:18], v[33:34]
	v_fma_f64 v[25:26], v[19:20], v[17:18], v[35:36]
	;; [unrolled: 2-line block ×4, first 2 shown]
	s_cbranch_scc1 .LBB137_23
; %bb.25:                               ;   in Loop: Header=BB137_24 Depth=2
	v_dual_mov_b32 v30, v28 :: v_dual_add_nc_u32 v29, 1, v47
	v_add_nc_u32_e32 v27, 1, v27
	s_add_i32 s4, s4, 2
	s_delay_alu instid0(VALU_DEP_2) | instskip(NEXT) | instid1(VALU_DEP_2)
	v_lshlrev_b64 v[29:30], 4, v[29:30]
	v_lshlrev_b64 v[31:32], 4, v[27:28]
	v_add_nc_u32_e32 v27, 8, v47
	s_delay_alu instid0(VALU_DEP_3) | instskip(NEXT) | instid1(VALU_DEP_4)
	v_add_co_u32 v29, vcc_lo, s8, v29
	v_add_co_ci_u32_e32 v30, vcc_lo, s9, v30, vcc_lo
	s_delay_alu instid0(VALU_DEP_4) | instskip(NEXT) | instid1(VALU_DEP_4)
	v_add_co_u32 v33, vcc_lo, s10, v31
	v_lshlrev_b64 v[35:36], 4, v[27:28]
	v_add_nc_u32_e32 v27, 15, v47
	v_add_co_ci_u32_e32 v34, vcc_lo, s11, v32, vcc_lo
	global_load_b128 v[29:32], v[29:30], off
	global_load_b128 v[50:53], v[33:34], off
	v_lshlrev_b64 v[33:34], 4, v[27:28]
	v_add_nc_u32_e32 v27, 22, v47
	v_add_co_u32 v35, vcc_lo, s8, v35
	v_add_co_ci_u32_e32 v36, vcc_lo, s9, v36, vcc_lo
	s_delay_alu instid0(VALU_DEP_3) | instskip(SKIP_2) | instid1(VALU_DEP_3)
	v_lshlrev_b64 v[37:38], 4, v[27:28]
	v_add_co_u32 v33, vcc_lo, s8, v33
	v_add_co_ci_u32_e32 v34, vcc_lo, s9, v34, vcc_lo
	v_add_co_u32 v41, vcc_lo, s8, v37
	s_delay_alu instid0(VALU_DEP_4)
	v_add_co_ci_u32_e32 v42, vcc_lo, s9, v38, vcc_lo
	s_clause 0x2
	global_load_b128 v[37:40], v[35:36], off
	global_load_b128 v[54:57], v[33:34], off
	global_load_b128 v[58:61], v[41:42], off
	s_waitcnt vmcnt(3)
	v_fma_f64 v[33:34], v[29:30], v[50:51], v[13:14]
	v_fma_f64 v[41:42], v[31:32], v[50:51], v[11:12]
	s_waitcnt vmcnt(2)
	v_fma_f64 v[43:44], v[37:38], v[50:51], v[23:24]
	v_fma_f64 v[62:63], v[39:40], v[50:51], v[25:26]
	;; [unrolled: 3-line block ×4, first 2 shown]
	v_fma_f64 v[35:36], -v[31:32], v[52:53], v[33:34]
	v_fma_f64 v[33:34], v[29:30], v[52:53], v[41:42]
	v_fma_f64 v[41:42], -v[39:40], v[52:53], v[43:44]
	v_fma_f64 v[43:44], v[37:38], v[52:53], v[62:63]
	;; [unrolled: 2-line block ×4, first 2 shown]
	s_cbranch_execnz .LBB137_24
	s_branch .LBB137_21
.LBB137_26:
	s_or_b32 exec_lo, exec_lo, s0
.LBB137_27:
	s_delay_alu instid0(SALU_CYCLE_1)
	s_or_b32 exec_lo, exec_lo, s1
.LBB137_28:
	v_mbcnt_lo_u32_b32 v41, -1, 0
	s_delay_alu instid0(VALU_DEP_1) | instskip(NEXT) | instid1(VALU_DEP_1)
	v_xor_b32_e32 v9, 4, v41
	v_cmp_gt_i32_e32 vcc_lo, 32, v9
	v_cndmask_b32_e32 v9, v41, v9, vcc_lo
	s_delay_alu instid0(VALU_DEP_1)
	v_lshlrev_b32_e32 v40, 2, v9
	ds_bpermute_b32 v9, v40, v13
	ds_bpermute_b32 v10, v40, v14
	;; [unrolled: 1-line block ×16, first 2 shown]
	s_waitcnt lgkmcnt(14)
	v_add_f64 v[9:10], v[13:14], v[9:10]
	s_waitcnt lgkmcnt(12)
	v_add_f64 v[11:12], v[11:12], v[27:28]
	;; [unrolled: 2-line block ×6, first 2 shown]
	v_xor_b32_e32 v21, 2, v41
	s_waitcnt lgkmcnt(2)
	v_add_f64 v[15:16], v[15:16], v[37:38]
	s_waitcnt lgkmcnt(0)
	v_add_f64 v[17:18], v[17:18], v[39:40]
	v_cmp_gt_i32_e32 vcc_lo, 32, v21
	v_cndmask_b32_e32 v21, v41, v21, vcc_lo
	s_delay_alu instid0(VALU_DEP_1)
	v_lshlrev_b32_e32 v40, 2, v21
	ds_bpermute_b32 v21, v40, v9
	ds_bpermute_b32 v22, v40, v10
	;; [unrolled: 1-line block ×16, first 2 shown]
	s_waitcnt lgkmcnt(14)
	v_add_f64 v[9:10], v[9:10], v[21:22]
	s_waitcnt lgkmcnt(12)
	v_add_f64 v[23:24], v[11:12], v[23:24]
	;; [unrolled: 2-line block ×4, first 2 shown]
	v_xor_b32_e32 v25, 1, v41
	s_waitcnt lgkmcnt(6)
	v_add_f64 v[13:14], v[19:20], v[33:34]
	s_waitcnt lgkmcnt(4)
	v_add_f64 v[19:20], v[27:28], v[35:36]
	;; [unrolled: 2-line block ×3, first 2 shown]
	v_cmp_gt_i32_e32 vcc_lo, 32, v25
	s_waitcnt lgkmcnt(0)
	v_add_f64 v[17:18], v[17:18], v[39:40]
	v_cndmask_b32_e32 v25, v41, v25, vcc_lo
	v_cmp_eq_u32_e32 vcc_lo, 7, v48
	s_delay_alu instid0(VALU_DEP_2)
	v_lshlrev_b32_e32 v28, 2, v25
	ds_bpermute_b32 v39, v28, v9
	ds_bpermute_b32 v40, v28, v10
	;; [unrolled: 1-line block ×16, first 2 shown]
	s_and_b32 exec_lo, exec_lo, vcc_lo
	s_cbranch_execz .LBB137_33
; %bb.29:
	v_cmp_eq_f64_e32 vcc_lo, 0, v[4:5]
	v_cmp_eq_f64_e64 s0, 0, v[6:7]
	s_waitcnt lgkmcnt(14)
	v_add_f64 v[9:10], v[9:10], v[39:40]
	s_waitcnt lgkmcnt(12)
	v_add_f64 v[23:24], v[23:24], v[37:38]
	;; [unrolled: 2-line block ×8, first 2 shown]
	s_load_b64 s[2:3], s[2:3], 0x48
	s_and_b32 s0, vcc_lo, s0
	s_delay_alu instid0(SALU_CYCLE_1) | instskip(NEXT) | instid1(SALU_CYCLE_1)
	s_and_saveexec_b32 s1, s0
	s_xor_b32 s0, exec_lo, s1
	s_cbranch_execz .LBB137_31
; %bb.30:
	v_mul_f64 v[4:5], v[23:24], -v[2:3]
	v_mul_f64 v[6:7], v[0:1], v[23:24]
	v_mul_f64 v[23:24], v[21:22], -v[2:3]
	v_mul_f64 v[21:22], v[0:1], v[21:22]
	;; [unrolled: 2-line block ×4, first 2 shown]
	v_fma_f64 v[4:5], v[0:1], v[9:10], v[4:5]
	v_fma_f64 v[6:7], v[2:3], v[9:10], v[6:7]
	;; [unrolled: 1-line block ×8, first 2 shown]
	v_lshlrev_b32_e32 v13, 2, v8
                                        ; implicit-def: $vgpr8
                                        ; implicit-def: $vgpr23_vgpr24
                                        ; implicit-def: $vgpr21_vgpr22
                                        ; implicit-def: $vgpr15_vgpr16
	s_delay_alu instid0(VALU_DEP_1) | instskip(NEXT) | instid1(VALU_DEP_1)
	v_ashrrev_i32_e32 v14, 31, v13
	v_lshlrev_b64 v[13:14], 4, v[13:14]
	s_waitcnt lgkmcnt(0)
	s_delay_alu instid0(VALU_DEP_1) | instskip(NEXT) | instid1(VALU_DEP_2)
	v_add_co_u32 v13, vcc_lo, s2, v13
	v_add_co_ci_u32_e32 v14, vcc_lo, s3, v14, vcc_lo
	s_clause 0x3
	global_store_b128 v[13:14], v[4:7], off
	global_store_b128 v[13:14], v[9:12], off offset:16
	global_store_b128 v[13:14], v[17:20], off offset:32
	;; [unrolled: 1-line block ×3, first 2 shown]
                                        ; implicit-def: $vgpr0_vgpr1
                                        ; implicit-def: $vgpr2_vgpr3
                                        ; implicit-def: $vgpr4_vgpr5
                                        ; implicit-def: $vgpr6_vgpr7
                                        ; implicit-def: $vgpr9_vgpr10
                                        ; implicit-def: $vgpr11_vgpr12
                                        ; implicit-def: $vgpr13_vgpr14
                                        ; implicit-def: $vgpr19_vgpr20
                                        ; implicit-def: $vgpr17_vgpr18
.LBB137_31:
	s_and_not1_saveexec_b32 s0, s0
	s_cbranch_execz .LBB137_33
; %bb.32:
	v_lshlrev_b32_e32 v25, 2, v8
	v_mul_f64 v[43:44], v[23:24], -v[2:3]
	v_mul_f64 v[23:24], v[0:1], v[23:24]
	v_mul_f64 v[45:46], v[21:22], -v[2:3]
	v_mul_f64 v[21:22], v[0:1], v[21:22]
	v_ashrrev_i32_e32 v26, 31, v25
	v_mul_f64 v[47:48], v[19:20], -v[2:3]
	v_mul_f64 v[19:20], v[0:1], v[19:20]
	v_mul_f64 v[49:50], v[17:18], -v[2:3]
	v_mul_f64 v[17:18], v[0:1], v[17:18]
	v_lshlrev_b64 v[25:26], 4, v[25:26]
	s_waitcnt lgkmcnt(0)
	s_delay_alu instid0(VALU_DEP_1) | instskip(NEXT) | instid1(VALU_DEP_2)
	v_add_co_u32 v41, vcc_lo, s2, v25
	v_add_co_ci_u32_e32 v42, vcc_lo, s3, v26, vcc_lo
	s_clause 0x3
	global_load_b128 v[25:28], v[41:42], off
	global_load_b128 v[29:32], v[41:42], off offset:16
	global_load_b128 v[33:36], v[41:42], off offset:32
	;; [unrolled: 1-line block ×3, first 2 shown]
	v_fma_f64 v[43:44], v[0:1], v[9:10], v[43:44]
	v_fma_f64 v[8:9], v[2:3], v[9:10], v[23:24]
	;; [unrolled: 1-line block ×8, first 2 shown]
	s_waitcnt vmcnt(3)
	v_fma_f64 v[14:15], v[4:5], v[25:26], v[43:44]
	v_fma_f64 v[8:9], v[6:7], v[25:26], v[8:9]
	s_waitcnt vmcnt(2)
	v_fma_f64 v[16:17], v[4:5], v[29:30], v[23:24]
	v_fma_f64 v[10:11], v[6:7], v[29:30], v[10:11]
	;; [unrolled: 3-line block ×4, first 2 shown]
	v_fma_f64 v[0:1], -v[6:7], v[27:28], v[14:15]
	v_fma_f64 v[2:3], v[4:5], v[27:28], v[8:9]
	v_fma_f64 v[8:9], -v[6:7], v[31:32], v[16:17]
	v_fma_f64 v[10:11], v[4:5], v[31:32], v[10:11]
	;; [unrolled: 2-line block ×4, first 2 shown]
	s_clause 0x3
	global_store_b128 v[41:42], v[0:3], off
	global_store_b128 v[41:42], v[8:11], off offset:16
	global_store_b128 v[41:42], v[12:15], off offset:32
	;; [unrolled: 1-line block ×3, first 2 shown]
.LBB137_33:
	s_nop 0
	s_sendmsg sendmsg(MSG_DEALLOC_VGPRS)
	s_endpgm
	.section	.rodata,"a",@progbits
	.p2align	6, 0x0
	.amdhsa_kernel _ZN9rocsparseL19gebsrmvn_4xn_kernelILj128ELj7ELj8E21rocsparse_complex_numIdEEEvi20rocsparse_direction_NS_24const_host_device_scalarIT2_EEPKiS8_PKS5_SA_S6_PS5_21rocsparse_index_base_b
		.amdhsa_group_segment_fixed_size 2048
		.amdhsa_private_segment_fixed_size 0
		.amdhsa_kernarg_size 88
		.amdhsa_user_sgpr_count 15
		.amdhsa_user_sgpr_dispatch_ptr 1
		.amdhsa_user_sgpr_queue_ptr 0
		.amdhsa_user_sgpr_kernarg_segment_ptr 1
		.amdhsa_user_sgpr_dispatch_id 0
		.amdhsa_user_sgpr_private_segment_size 0
		.amdhsa_wavefront_size32 1
		.amdhsa_uses_dynamic_stack 0
		.amdhsa_enable_private_segment 0
		.amdhsa_system_sgpr_workgroup_id_x 1
		.amdhsa_system_sgpr_workgroup_id_y 0
		.amdhsa_system_sgpr_workgroup_id_z 0
		.amdhsa_system_sgpr_workgroup_info 0
		.amdhsa_system_vgpr_workitem_id 2
		.amdhsa_next_free_vgpr 70
		.amdhsa_next_free_sgpr 18
		.amdhsa_reserve_vcc 1
		.amdhsa_float_round_mode_32 0
		.amdhsa_float_round_mode_16_64 0
		.amdhsa_float_denorm_mode_32 3
		.amdhsa_float_denorm_mode_16_64 3
		.amdhsa_dx10_clamp 1
		.amdhsa_ieee_mode 1
		.amdhsa_fp16_overflow 0
		.amdhsa_workgroup_processor_mode 1
		.amdhsa_memory_ordered 1
		.amdhsa_forward_progress 0
		.amdhsa_shared_vgpr_count 0
		.amdhsa_exception_fp_ieee_invalid_op 0
		.amdhsa_exception_fp_denorm_src 0
		.amdhsa_exception_fp_ieee_div_zero 0
		.amdhsa_exception_fp_ieee_overflow 0
		.amdhsa_exception_fp_ieee_underflow 0
		.amdhsa_exception_fp_ieee_inexact 0
		.amdhsa_exception_int_div_zero 0
	.end_amdhsa_kernel
	.section	.text._ZN9rocsparseL19gebsrmvn_4xn_kernelILj128ELj7ELj8E21rocsparse_complex_numIdEEEvi20rocsparse_direction_NS_24const_host_device_scalarIT2_EEPKiS8_PKS5_SA_S6_PS5_21rocsparse_index_base_b,"axG",@progbits,_ZN9rocsparseL19gebsrmvn_4xn_kernelILj128ELj7ELj8E21rocsparse_complex_numIdEEEvi20rocsparse_direction_NS_24const_host_device_scalarIT2_EEPKiS8_PKS5_SA_S6_PS5_21rocsparse_index_base_b,comdat
.Lfunc_end137:
	.size	_ZN9rocsparseL19gebsrmvn_4xn_kernelILj128ELj7ELj8E21rocsparse_complex_numIdEEEvi20rocsparse_direction_NS_24const_host_device_scalarIT2_EEPKiS8_PKS5_SA_S6_PS5_21rocsparse_index_base_b, .Lfunc_end137-_ZN9rocsparseL19gebsrmvn_4xn_kernelILj128ELj7ELj8E21rocsparse_complex_numIdEEEvi20rocsparse_direction_NS_24const_host_device_scalarIT2_EEPKiS8_PKS5_SA_S6_PS5_21rocsparse_index_base_b
                                        ; -- End function
	.section	.AMDGPU.csdata,"",@progbits
; Kernel info:
; codeLenInByte = 3816
; NumSgprs: 20
; NumVgprs: 70
; ScratchSize: 0
; MemoryBound: 0
; FloatMode: 240
; IeeeMode: 1
; LDSByteSize: 2048 bytes/workgroup (compile time only)
; SGPRBlocks: 2
; VGPRBlocks: 8
; NumSGPRsForWavesPerEU: 20
; NumVGPRsForWavesPerEU: 70
; Occupancy: 16
; WaveLimiterHint : 1
; COMPUTE_PGM_RSRC2:SCRATCH_EN: 0
; COMPUTE_PGM_RSRC2:USER_SGPR: 15
; COMPUTE_PGM_RSRC2:TRAP_HANDLER: 0
; COMPUTE_PGM_RSRC2:TGID_X_EN: 1
; COMPUTE_PGM_RSRC2:TGID_Y_EN: 0
; COMPUTE_PGM_RSRC2:TGID_Z_EN: 0
; COMPUTE_PGM_RSRC2:TIDIG_COMP_CNT: 2
	.section	.text._ZN9rocsparseL19gebsrmvn_4xn_kernelILj128ELj7ELj16E21rocsparse_complex_numIdEEEvi20rocsparse_direction_NS_24const_host_device_scalarIT2_EEPKiS8_PKS5_SA_S6_PS5_21rocsparse_index_base_b,"axG",@progbits,_ZN9rocsparseL19gebsrmvn_4xn_kernelILj128ELj7ELj16E21rocsparse_complex_numIdEEEvi20rocsparse_direction_NS_24const_host_device_scalarIT2_EEPKiS8_PKS5_SA_S6_PS5_21rocsparse_index_base_b,comdat
	.globl	_ZN9rocsparseL19gebsrmvn_4xn_kernelILj128ELj7ELj16E21rocsparse_complex_numIdEEEvi20rocsparse_direction_NS_24const_host_device_scalarIT2_EEPKiS8_PKS5_SA_S6_PS5_21rocsparse_index_base_b ; -- Begin function _ZN9rocsparseL19gebsrmvn_4xn_kernelILj128ELj7ELj16E21rocsparse_complex_numIdEEEvi20rocsparse_direction_NS_24const_host_device_scalarIT2_EEPKiS8_PKS5_SA_S6_PS5_21rocsparse_index_base_b
	.p2align	8
	.type	_ZN9rocsparseL19gebsrmvn_4xn_kernelILj128ELj7ELj16E21rocsparse_complex_numIdEEEvi20rocsparse_direction_NS_24const_host_device_scalarIT2_EEPKiS8_PKS5_SA_S6_PS5_21rocsparse_index_base_b,@function
_ZN9rocsparseL19gebsrmvn_4xn_kernelILj128ELj7ELj16E21rocsparse_complex_numIdEEEvi20rocsparse_direction_NS_24const_host_device_scalarIT2_EEPKiS8_PKS5_SA_S6_PS5_21rocsparse_index_base_b: ; @_ZN9rocsparseL19gebsrmvn_4xn_kernelILj128ELj7ELj16E21rocsparse_complex_numIdEEEvi20rocsparse_direction_NS_24const_host_device_scalarIT2_EEPKiS8_PKS5_SA_S6_PS5_21rocsparse_index_base_b
; %bb.0:
	s_load_b64 s[12:13], s[2:3], 0x50
	s_load_b64 s[16:17], s[0:1], 0x4
	s_load_b128 s[8:11], s[2:3], 0x8
	v_bfe_u32 v1, v0, 10, 10
	s_mov_b64 s[0:1], src_shared_base
	s_load_b128 s[4:7], s[2:3], 0x38
	v_and_b32_e32 v12, 0x3ff, v0
	v_bfe_u32 v0, v0, 20, 10
	s_waitcnt lgkmcnt(0)
	s_bitcmp1_b32 s13, 0
	v_mul_u32_u24_e32 v1, s17, v1
	s_cselect_b32 s0, -1, 0
	s_delay_alu instid0(SALU_CYCLE_1)
	s_and_b32 vcc_lo, s0, exec_lo
	s_cselect_b32 s13, s1, s9
	s_lshr_b32 s14, s16, 16
	v_dual_mov_b32 v2, s4 :: v_dual_mov_b32 v3, s5
	s_mul_i32 s14, s14, s17
	v_mov_b32_e32 v6, s13
	v_mad_u32_u24 v1, s14, v12, v1
	s_delay_alu instid0(VALU_DEP_1) | instskip(SKIP_1) | instid1(VALU_DEP_2)
	v_add_lshl_u32 v4, v1, v0, 3
	v_dual_mov_b32 v0, s8 :: v_dual_mov_b32 v1, s9
	v_add_nc_u32_e32 v5, 0x400, v4
	ds_store_2addr_stride64_b64 v4, v[2:3], v[0:1] offset1:2
	v_dual_mov_b32 v2, s10 :: v_dual_mov_b32 v3, s11
	v_cndmask_b32_e64 v5, s8, v5, s0
	s_xor_b32 s10, s0, -1
	flat_load_b64 v[0:1], v[5:6]
	s_cbranch_vccnz .LBB138_2
; %bb.1:
	v_dual_mov_b32 v2, s8 :: v_dual_mov_b32 v3, s9
	flat_load_b64 v[2:3], v[2:3] offset:8
.LBB138_2:
	s_and_b32 s8, s0, exec_lo
	s_cselect_b32 s1, s1, s5
	v_cndmask_b32_e64 v4, s4, v4, s0
	v_dual_mov_b32 v5, s1 :: v_dual_mov_b32 v6, s6
	v_mov_b32_e32 v7, s7
	s_and_not1_b32 vcc_lo, exec_lo, s10
	flat_load_b64 v[4:5], v[4:5]
	s_cbranch_vccnz .LBB138_4
; %bb.3:
	v_dual_mov_b32 v7, s5 :: v_dual_mov_b32 v6, s4
	flat_load_b64 v[6:7], v[6:7] offset:8
.LBB138_4:
	s_waitcnt vmcnt(1) lgkmcnt(1)
	v_cmp_eq_f64_e32 vcc_lo, 0, v[0:1]
	v_cmp_eq_f64_e64 s0, 0, v[2:3]
	s_delay_alu instid0(VALU_DEP_1)
	s_and_b32 s4, vcc_lo, s0
	s_mov_b32 s0, -1
	s_and_saveexec_b32 s1, s4
	s_cbranch_execz .LBB138_6
; %bb.5:
	s_waitcnt vmcnt(0) lgkmcnt(0)
	v_cmp_neq_f64_e32 vcc_lo, 1.0, v[4:5]
	v_cmp_neq_f64_e64 s0, 0, v[6:7]
	s_delay_alu instid0(VALU_DEP_1) | instskip(NEXT) | instid1(SALU_CYCLE_1)
	s_or_b32 s0, vcc_lo, s0
	s_or_not1_b32 s0, s0, exec_lo
.LBB138_6:
	s_or_b32 exec_lo, exec_lo, s1
	s_and_saveexec_b32 s1, s0
	s_cbranch_execz .LBB138_33
; %bb.7:
	s_load_b64 s[0:1], s[2:3], 0x0
	v_lshrrev_b32_e32 v8, 4, v12
	s_delay_alu instid0(VALU_DEP_1) | instskip(SKIP_1) | instid1(VALU_DEP_1)
	v_lshl_or_b32 v8, s15, 3, v8
	s_waitcnt lgkmcnt(0)
	v_cmp_gt_i32_e32 vcc_lo, s0, v8
	s_and_b32 exec_lo, exec_lo, vcc_lo
	s_cbranch_execz .LBB138_33
; %bb.8:
	s_load_b256 s[4:11], s[2:3], 0x18
	v_ashrrev_i32_e32 v9, 31, v8
	v_and_b32_e32 v48, 15, v12
	s_cmp_lg_u32 s1, 0
	s_delay_alu instid0(VALU_DEP_2) | instskip(SKIP_1) | instid1(VALU_DEP_1)
	v_lshlrev_b64 v[9:10], 2, v[8:9]
	s_waitcnt lgkmcnt(0)
	v_add_co_u32 v9, vcc_lo, s4, v9
	s_delay_alu instid0(VALU_DEP_2) | instskip(SKIP_4) | instid1(VALU_DEP_2)
	v_add_co_ci_u32_e32 v10, vcc_lo, s5, v10, vcc_lo
	global_load_b64 v[10:11], v[9:10], off
	s_waitcnt vmcnt(0)
	v_subrev_nc_u32_e32 v9, s12, v10
	v_subrev_nc_u32_e32 v49, s12, v11
	v_add_nc_u32_e32 v9, v9, v48
	s_delay_alu instid0(VALU_DEP_1)
	v_cmp_lt_i32_e64 s0, v9, v49
	s_cbranch_scc0 .LBB138_16
; %bb.9:
	v_mov_b32_e32 v11, 0
	v_mov_b32_e32 v12, 0
	s_delay_alu instid0(VALU_DEP_1)
	v_dual_mov_b32 v14, v12 :: v_dual_mov_b32 v13, v11
	v_dual_mov_b32 v16, v12 :: v_dual_mov_b32 v15, v11
	;; [unrolled: 1-line block ×7, first 2 shown]
	s_and_saveexec_b32 s1, s0
	s_cbranch_execz .LBB138_18
; %bb.10:
	v_dual_mov_b32 v11, 0 :: v_dual_mov_b32 v28, 0
	v_dual_mov_b32 v12, 0 :: v_dual_mov_b32 v29, v9
	v_mul_lo_u32 v50, v9, 28
	s_mov_b32 s4, 0
	s_delay_alu instid0(VALU_DEP_2)
	v_dual_mov_b32 v14, v12 :: v_dual_mov_b32 v13, v11
	v_dual_mov_b32 v16, v12 :: v_dual_mov_b32 v15, v11
	;; [unrolled: 1-line block ×7, first 2 shown]
	s_branch .LBB138_12
.LBB138_11:                             ;   in Loop: Header=BB138_12 Depth=1
	v_add_nc_u32_e32 v29, 16, v29
	v_add_nc_u32_e32 v50, 0x1c0, v50
	s_delay_alu instid0(VALU_DEP_2) | instskip(SKIP_1) | instid1(SALU_CYCLE_1)
	v_cmp_ge_i32_e32 vcc_lo, v29, v49
	s_or_b32 s4, vcc_lo, s4
	s_and_not1_b32 exec_lo, exec_lo, s4
	s_cbranch_execz .LBB138_17
.LBB138_12:                             ; =>This Loop Header: Depth=1
                                        ;     Child Loop BB138_14 Depth 2
	v_ashrrev_i32_e32 v30, 31, v29
	v_mov_b32_e32 v41, v12
	v_mov_b32_e32 v45, v14
	;; [unrolled: 1-line block ×4, first 2 shown]
	v_lshlrev_b64 v[30:31], 2, v[29:30]
	v_mov_b32_e32 v43, v24
	v_dual_mov_b32 v39, v26 :: v_dual_mov_b32 v38, v25
	v_dual_mov_b32 v27, v50 :: v_dual_mov_b32 v40, v11
	s_delay_alu instid0(VALU_DEP_4)
	v_add_co_u32 v30, vcc_lo, s6, v30
	v_add_co_ci_u32_e32 v31, vcc_lo, s7, v31, vcc_lo
	v_mov_b32_e32 v44, v13
	v_mov_b32_e32 v32, v15
	s_mov_b32 s5, 0
	global_load_b32 v30, v[30:31], off
	v_mov_b32_e32 v36, v19
	v_mov_b32_e32 v42, v23
	s_waitcnt vmcnt(0)
	v_subrev_nc_u32_e32 v34, s12, v30
	v_dual_mov_b32 v31, v18 :: v_dual_mov_b32 v30, v17
	s_delay_alu instid0(VALU_DEP_2)
	v_mul_lo_u32 v51, v34, 7
	v_dual_mov_b32 v35, v22 :: v_dual_mov_b32 v34, v21
	s_branch .LBB138_14
.LBB138_13:                             ;   in Loop: Header=BB138_12 Depth=1
                                        ; implicit-def: $vgpr38_vgpr39
                                        ; implicit-def: $vgpr42_vgpr43
                                        ; implicit-def: $vgpr34_vgpr35
                                        ; implicit-def: $vgpr36_vgpr37
                                        ; implicit-def: $vgpr30_vgpr31
                                        ; implicit-def: $vgpr32_vgpr33
                                        ; implicit-def: $vgpr44_vgpr45
                                        ; implicit-def: $vgpr40_vgpr41
                                        ; implicit-def: $sgpr5
	s_branch .LBB138_11
.LBB138_14:                             ;   Parent Loop BB138_12 Depth=1
                                        ; =>  This Inner Loop Header: Depth=2
	s_delay_alu instid0(VALU_DEP_2) | instskip(SKIP_2) | instid1(VALU_DEP_2)
	v_dual_mov_b32 v47, v28 :: v_dual_add_nc_u32 v46, s5, v51
	v_lshlrev_b64 v[11:12], 4, v[27:28]
	s_cmp_eq_u32 s5, 6
	v_lshlrev_b64 v[13:14], 4, v[46:47]
	s_delay_alu instid0(VALU_DEP_2) | instskip(NEXT) | instid1(VALU_DEP_3)
	v_add_co_u32 v23, vcc_lo, s8, v11
	v_add_co_ci_u32_e32 v24, vcc_lo, s9, v12, vcc_lo
	s_delay_alu instid0(VALU_DEP_3) | instskip(NEXT) | instid1(VALU_DEP_4)
	v_add_co_u32 v15, vcc_lo, s10, v13
	v_add_co_ci_u32_e32 v16, vcc_lo, s11, v14, vcc_lo
	global_load_b128 v[11:14], v[23:24], off
	global_load_b128 v[15:18], v[15:16], off
	s_clause 0x2
	global_load_b128 v[19:22], v[23:24], off offset:16
	global_load_b128 v[52:55], v[23:24], off offset:32
	;; [unrolled: 1-line block ×3, first 2 shown]
	s_waitcnt vmcnt(3)
	v_fma_f64 v[23:24], v[11:12], v[15:16], v[44:45]
	v_fma_f64 v[25:26], v[13:14], v[15:16], v[40:41]
	s_waitcnt vmcnt(2)
	v_fma_f64 v[40:41], v[19:20], v[15:16], v[42:43]
	v_fma_f64 v[38:39], v[21:22], v[15:16], v[38:39]
	;; [unrolled: 3-line block ×4, first 2 shown]
	v_fma_f64 v[13:14], -v[13:14], v[17:18], v[23:24]
	v_fma_f64 v[11:12], v[11:12], v[17:18], v[25:26]
	v_fma_f64 v[23:24], -v[21:22], v[17:18], v[40:41]
	v_fma_f64 v[25:26], v[19:20], v[17:18], v[38:39]
	;; [unrolled: 2-line block ×4, first 2 shown]
	s_cbranch_scc1 .LBB138_13
; %bb.15:                               ;   in Loop: Header=BB138_14 Depth=2
	v_dual_mov_b32 v31, v28 :: v_dual_add_nc_u32 v30, 4, v27
	v_dual_mov_b32 v33, v28 :: v_dual_add_nc_u32 v32, 1, v46
	v_add_nc_u32_e32 v27, 8, v27
	s_delay_alu instid0(VALU_DEP_3) | instskip(SKIP_1) | instid1(VALU_DEP_3)
	v_lshlrev_b64 v[30:31], 4, v[30:31]
	s_add_i32 s5, s5, 2
	v_lshlrev_b64 v[32:33], 4, v[32:33]
	s_delay_alu instid0(VALU_DEP_2) | instskip(NEXT) | instid1(VALU_DEP_3)
	v_add_co_u32 v38, vcc_lo, s8, v30
	v_add_co_ci_u32_e32 v39, vcc_lo, s9, v31, vcc_lo
	s_delay_alu instid0(VALU_DEP_3) | instskip(NEXT) | instid1(VALU_DEP_4)
	v_add_co_u32 v34, vcc_lo, s10, v32
	v_add_co_ci_u32_e32 v35, vcc_lo, s11, v33, vcc_lo
	global_load_b128 v[30:33], v[38:39], off
	global_load_b128 v[44:47], v[34:35], off
	s_clause 0x2
	global_load_b128 v[34:37], v[38:39], off offset:16
	global_load_b128 v[52:55], v[38:39], off offset:32
	;; [unrolled: 1-line block ×3, first 2 shown]
	s_waitcnt vmcnt(3)
	v_fma_f64 v[38:39], v[30:31], v[44:45], v[13:14]
	v_fma_f64 v[40:41], v[32:33], v[44:45], v[11:12]
	s_waitcnt vmcnt(2)
	v_fma_f64 v[42:43], v[34:35], v[44:45], v[23:24]
	v_fma_f64 v[60:61], v[36:37], v[44:45], v[25:26]
	;; [unrolled: 3-line block ×4, first 2 shown]
	v_fma_f64 v[44:45], -v[32:33], v[46:47], v[38:39]
	v_fma_f64 v[40:41], v[30:31], v[46:47], v[40:41]
	v_fma_f64 v[42:43], -v[36:37], v[46:47], v[42:43]
	v_fma_f64 v[38:39], v[34:35], v[46:47], v[60:61]
	v_fma_f64 v[36:37], -v[54:55], v[46:47], v[62:63]
	v_fma_f64 v[34:35], v[52:53], v[46:47], v[64:65]
	v_fma_f64 v[32:33], -v[58:59], v[46:47], v[66:67]
	v_fma_f64 v[30:31], v[56:57], v[46:47], v[68:69]
	s_cbranch_execnz .LBB138_14
	s_branch .LBB138_11
.LBB138_16:
                                        ; implicit-def: $vgpr11_vgpr12
                                        ; implicit-def: $vgpr13_vgpr14
                                        ; implicit-def: $vgpr15_vgpr16
                                        ; implicit-def: $vgpr17_vgpr18
                                        ; implicit-def: $vgpr19_vgpr20
                                        ; implicit-def: $vgpr21_vgpr22
                                        ; implicit-def: $vgpr23_vgpr24
                                        ; implicit-def: $vgpr25_vgpr26
	s_branch .LBB138_19
.LBB138_17:
	s_or_b32 exec_lo, exec_lo, s4
.LBB138_18:
	s_delay_alu instid0(SALU_CYCLE_1)
	s_or_b32 exec_lo, exec_lo, s1
	s_cbranch_execnz .LBB138_28
.LBB138_19:
	v_mov_b32_e32 v11, 0
	v_mov_b32_e32 v12, 0
	s_delay_alu instid0(VALU_DEP_1)
	v_dual_mov_b32 v14, v12 :: v_dual_mov_b32 v13, v11
	v_dual_mov_b32 v16, v12 :: v_dual_mov_b32 v15, v11
	;; [unrolled: 1-line block ×7, first 2 shown]
	s_and_saveexec_b32 s1, s0
	s_cbranch_execz .LBB138_27
; %bb.20:
	v_mul_lo_u32 v10, v10, 28
	v_dual_mov_b32 v11, 0 :: v_dual_mov_b32 v28, 0
	v_mov_b32_e32 v12, 0
	v_mul_lo_u32 v45, v9, 28
	s_mul_i32 s0, s12, 28
	s_delay_alu instid0(VALU_DEP_2)
	v_dual_mov_b32 v14, v12 :: v_dual_mov_b32 v13, v11
	v_mad_u32_u24 v10, v48, 28, v10
	v_dual_mov_b32 v16, v12 :: v_dual_mov_b32 v15, v11
	v_dual_mov_b32 v18, v12 :: v_dual_mov_b32 v17, v11
	v_dual_mov_b32 v20, v12 :: v_dual_mov_b32 v19, v11
	v_dual_mov_b32 v22, v12 :: v_dual_mov_b32 v21, v11
	v_dual_mov_b32 v24, v12 :: v_dual_mov_b32 v23, v11
	v_subrev_nc_u32_e32 v46, s0, v10
	v_dual_mov_b32 v26, v12 :: v_dual_mov_b32 v25, v11
	s_mov_b32 s0, 0
	s_branch .LBB138_22
.LBB138_21:                             ;   in Loop: Header=BB138_22 Depth=1
	v_add_nc_u32_e32 v9, 16, v9
	v_add_nc_u32_e32 v45, 0x1c0, v45
	;; [unrolled: 1-line block ×3, first 2 shown]
	s_delay_alu instid0(VALU_DEP_3) | instskip(SKIP_1) | instid1(SALU_CYCLE_1)
	v_cmp_ge_i32_e32 vcc_lo, v9, v49
	s_or_b32 s0, vcc_lo, s0
	s_and_not1_b32 exec_lo, exec_lo, s0
	s_cbranch_execz .LBB138_26
.LBB138_22:                             ; =>This Loop Header: Depth=1
                                        ;     Child Loop BB138_24 Depth 2
	v_ashrrev_i32_e32 v10, 31, v9
	v_dual_mov_b32 v34, v12 :: v_dual_mov_b32 v33, v11
	v_dual_mov_b32 v36, v14 :: v_dual_mov_b32 v35, v13
	s_delay_alu instid0(VALU_DEP_3) | instskip(SKIP_3) | instid1(VALU_DEP_4)
	v_lshlrev_b64 v[29:30], 2, v[9:10]
	v_dual_mov_b32 v32, v16 :: v_dual_mov_b32 v31, v15
	v_dual_mov_b32 v38, v20 :: v_dual_mov_b32 v37, v19
	;; [unrolled: 1-line block ×3, first 2 shown]
	v_add_co_u32 v29, vcc_lo, s6, v29
	v_add_co_ci_u32_e32 v30, vcc_lo, s7, v30, vcc_lo
	v_dual_mov_b32 v42, v24 :: v_dual_mov_b32 v41, v23
	v_dual_mov_b32 v44, v26 :: v_dual_mov_b32 v43, v25
	global_load_b32 v10, v[29:30], off
	v_dual_mov_b32 v30, v18 :: v_dual_mov_b32 v29, v17
	s_mov_b32 s4, 0
	s_waitcnt vmcnt(0)
	v_subrev_nc_u32_e32 v10, s12, v10
	s_delay_alu instid0(VALU_DEP_1)
	v_mul_lo_u32 v10, v10, 7
	s_branch .LBB138_24
.LBB138_23:                             ;   in Loop: Header=BB138_22 Depth=1
                                        ; implicit-def: $vgpr43_vgpr44
                                        ; implicit-def: $vgpr41_vgpr42
                                        ; implicit-def: $vgpr39_vgpr40
                                        ; implicit-def: $vgpr37_vgpr38
                                        ; implicit-def: $vgpr29_vgpr30
                                        ; implicit-def: $vgpr31_vgpr32
                                        ; implicit-def: $vgpr35_vgpr36
                                        ; implicit-def: $vgpr33_vgpr34
                                        ; implicit-def: $sgpr4
	s_branch .LBB138_21
.LBB138_24:                             ;   Parent Loop BB138_22 Depth=1
                                        ; =>  This Inner Loop Header: Depth=2
	v_dual_mov_b32 v14, v28 :: v_dual_add_nc_u32 v27, s4, v46
	v_dual_mov_b32 v16, v28 :: v_dual_add_nc_u32 v47, s4, v45
	s_cmp_eq_u32 s4, 6
	s_delay_alu instid0(VALU_DEP_2) | instskip(NEXT) | instid1(VALU_DEP_4)
	v_lshlrev_b64 v[11:12], 4, v[27:28]
	v_dual_mov_b32 v20, v28 :: v_dual_add_nc_u32 v27, s4, v10
	s_delay_alu instid0(VALU_DEP_3) | instskip(SKIP_2) | instid1(VALU_DEP_4)
	v_add_nc_u32_e32 v13, 7, v47
	v_add_nc_u32_e32 v15, 14, v47
	v_add_nc_u32_e32 v19, 21, v47
	v_lshlrev_b64 v[17:18], 4, v[27:28]
	v_add_co_u32 v11, vcc_lo, s8, v11
	v_lshlrev_b64 v[21:22], 4, v[13:14]
	v_add_co_ci_u32_e32 v12, vcc_lo, s9, v12, vcc_lo
	s_delay_alu instid0(VALU_DEP_4)
	v_add_co_u32 v17, vcc_lo, s10, v17
	v_lshlrev_b64 v[23:24], 4, v[15:16]
	v_add_co_ci_u32_e32 v18, vcc_lo, s11, v18, vcc_lo
	v_add_co_u32 v21, vcc_lo, s8, v21
	v_lshlrev_b64 v[19:20], 4, v[19:20]
	v_add_co_ci_u32_e32 v22, vcc_lo, s9, v22, vcc_lo
	v_add_co_u32 v23, vcc_lo, s8, v23
	v_add_co_ci_u32_e32 v24, vcc_lo, s9, v24, vcc_lo
	s_delay_alu instid0(VALU_DEP_4)
	v_add_co_u32 v25, vcc_lo, s8, v19
	v_add_co_ci_u32_e32 v26, vcc_lo, s9, v20, vcc_lo
	global_load_b128 v[11:14], v[11:12], off
	global_load_b128 v[15:18], v[17:18], off
	s_clause 0x2
	global_load_b128 v[19:22], v[21:22], off
	global_load_b128 v[50:53], v[23:24], off
	;; [unrolled: 1-line block ×3, first 2 shown]
	s_waitcnt vmcnt(3)
	v_fma_f64 v[23:24], v[11:12], v[15:16], v[35:36]
	v_fma_f64 v[25:26], v[13:14], v[15:16], v[33:34]
	s_waitcnt vmcnt(2)
	v_fma_f64 v[33:34], v[19:20], v[15:16], v[41:42]
	v_fma_f64 v[35:36], v[21:22], v[15:16], v[43:44]
	;; [unrolled: 3-line block ×4, first 2 shown]
	v_fma_f64 v[13:14], -v[13:14], v[17:18], v[23:24]
	v_fma_f64 v[11:12], v[11:12], v[17:18], v[25:26]
	v_fma_f64 v[23:24], -v[21:22], v[17:18], v[33:34]
	v_fma_f64 v[25:26], v[19:20], v[17:18], v[35:36]
	;; [unrolled: 2-line block ×4, first 2 shown]
	s_cbranch_scc1 .LBB138_23
; %bb.25:                               ;   in Loop: Header=BB138_24 Depth=2
	v_dual_mov_b32 v30, v28 :: v_dual_add_nc_u32 v29, 1, v47
	v_add_nc_u32_e32 v27, 1, v27
	s_add_i32 s4, s4, 2
	s_delay_alu instid0(VALU_DEP_2) | instskip(NEXT) | instid1(VALU_DEP_2)
	v_lshlrev_b64 v[29:30], 4, v[29:30]
	v_lshlrev_b64 v[31:32], 4, v[27:28]
	v_add_nc_u32_e32 v27, 8, v47
	s_delay_alu instid0(VALU_DEP_3) | instskip(NEXT) | instid1(VALU_DEP_4)
	v_add_co_u32 v29, vcc_lo, s8, v29
	v_add_co_ci_u32_e32 v30, vcc_lo, s9, v30, vcc_lo
	s_delay_alu instid0(VALU_DEP_4) | instskip(NEXT) | instid1(VALU_DEP_4)
	v_add_co_u32 v33, vcc_lo, s10, v31
	v_lshlrev_b64 v[35:36], 4, v[27:28]
	v_add_nc_u32_e32 v27, 15, v47
	v_add_co_ci_u32_e32 v34, vcc_lo, s11, v32, vcc_lo
	global_load_b128 v[29:32], v[29:30], off
	global_load_b128 v[50:53], v[33:34], off
	v_lshlrev_b64 v[33:34], 4, v[27:28]
	v_add_nc_u32_e32 v27, 22, v47
	v_add_co_u32 v35, vcc_lo, s8, v35
	v_add_co_ci_u32_e32 v36, vcc_lo, s9, v36, vcc_lo
	s_delay_alu instid0(VALU_DEP_3) | instskip(SKIP_2) | instid1(VALU_DEP_3)
	v_lshlrev_b64 v[37:38], 4, v[27:28]
	v_add_co_u32 v33, vcc_lo, s8, v33
	v_add_co_ci_u32_e32 v34, vcc_lo, s9, v34, vcc_lo
	v_add_co_u32 v41, vcc_lo, s8, v37
	s_delay_alu instid0(VALU_DEP_4)
	v_add_co_ci_u32_e32 v42, vcc_lo, s9, v38, vcc_lo
	s_clause 0x2
	global_load_b128 v[37:40], v[35:36], off
	global_load_b128 v[54:57], v[33:34], off
	;; [unrolled: 1-line block ×3, first 2 shown]
	s_waitcnt vmcnt(3)
	v_fma_f64 v[33:34], v[29:30], v[50:51], v[13:14]
	v_fma_f64 v[41:42], v[31:32], v[50:51], v[11:12]
	s_waitcnt vmcnt(2)
	v_fma_f64 v[43:44], v[37:38], v[50:51], v[23:24]
	v_fma_f64 v[62:63], v[39:40], v[50:51], v[25:26]
	;; [unrolled: 3-line block ×4, first 2 shown]
	v_fma_f64 v[35:36], -v[31:32], v[52:53], v[33:34]
	v_fma_f64 v[33:34], v[29:30], v[52:53], v[41:42]
	v_fma_f64 v[41:42], -v[39:40], v[52:53], v[43:44]
	v_fma_f64 v[43:44], v[37:38], v[52:53], v[62:63]
	;; [unrolled: 2-line block ×4, first 2 shown]
	s_cbranch_execnz .LBB138_24
	s_branch .LBB138_21
.LBB138_26:
	s_or_b32 exec_lo, exec_lo, s0
.LBB138_27:
	s_delay_alu instid0(SALU_CYCLE_1)
	s_or_b32 exec_lo, exec_lo, s1
.LBB138_28:
	v_mbcnt_lo_u32_b32 v41, -1, 0
	s_delay_alu instid0(VALU_DEP_1) | instskip(NEXT) | instid1(VALU_DEP_1)
	v_xor_b32_e32 v9, 8, v41
	v_cmp_gt_i32_e32 vcc_lo, 32, v9
	v_cndmask_b32_e32 v9, v41, v9, vcc_lo
	s_delay_alu instid0(VALU_DEP_1)
	v_lshlrev_b32_e32 v40, 2, v9
	ds_bpermute_b32 v9, v40, v13
	ds_bpermute_b32 v10, v40, v14
	;; [unrolled: 1-line block ×16, first 2 shown]
	s_waitcnt lgkmcnt(14)
	v_add_f64 v[9:10], v[13:14], v[9:10]
	s_waitcnt lgkmcnt(12)
	v_add_f64 v[11:12], v[11:12], v[27:28]
	;; [unrolled: 2-line block ×4, first 2 shown]
	v_xor_b32_e32 v25, 4, v41
	s_waitcnt lgkmcnt(6)
	v_add_f64 v[19:20], v[19:20], v[33:34]
	s_waitcnt lgkmcnt(4)
	v_add_f64 v[21:22], v[21:22], v[35:36]
	;; [unrolled: 2-line block ×3, first 2 shown]
	v_cmp_gt_i32_e32 vcc_lo, 32, v25
	s_waitcnt lgkmcnt(0)
	v_add_f64 v[17:18], v[17:18], v[39:40]
	v_cndmask_b32_e32 v25, v41, v25, vcc_lo
	s_delay_alu instid0(VALU_DEP_1)
	v_lshlrev_b32_e32 v40, 2, v25
	ds_bpermute_b32 v25, v40, v9
	ds_bpermute_b32 v26, v40, v10
	;; [unrolled: 1-line block ×16, first 2 shown]
	s_waitcnt lgkmcnt(14)
	v_add_f64 v[9:10], v[9:10], v[25:26]
	s_waitcnt lgkmcnt(12)
	v_add_f64 v[11:12], v[11:12], v[27:28]
	s_waitcnt lgkmcnt(10)
	v_add_f64 v[13:14], v[13:14], v[29:30]
	s_waitcnt lgkmcnt(8)
	v_add_f64 v[25:26], v[23:24], v[31:32]
	s_waitcnt lgkmcnt(6)
	v_add_f64 v[19:20], v[19:20], v[33:34]
	s_waitcnt lgkmcnt(4)
	v_add_f64 v[27:28], v[21:22], v[35:36]
	v_xor_b32_e32 v21, 2, v41
	s_waitcnt lgkmcnt(2)
	v_add_f64 v[15:16], v[15:16], v[37:38]
	s_waitcnt lgkmcnt(0)
	v_add_f64 v[17:18], v[17:18], v[39:40]
	v_cmp_gt_i32_e32 vcc_lo, 32, v21
	v_cndmask_b32_e32 v21, v41, v21, vcc_lo
	s_delay_alu instid0(VALU_DEP_1)
	v_lshlrev_b32_e32 v40, 2, v21
	ds_bpermute_b32 v21, v40, v9
	ds_bpermute_b32 v22, v40, v10
	;; [unrolled: 1-line block ×16, first 2 shown]
	s_waitcnt lgkmcnt(14)
	v_add_f64 v[9:10], v[9:10], v[21:22]
	s_waitcnt lgkmcnt(12)
	v_add_f64 v[23:24], v[11:12], v[23:24]
	s_waitcnt lgkmcnt(10)
	v_add_f64 v[11:12], v[13:14], v[29:30]
	s_waitcnt lgkmcnt(8)
	v_add_f64 v[21:22], v[25:26], v[31:32]
	v_xor_b32_e32 v25, 1, v41
	s_waitcnt lgkmcnt(6)
	v_add_f64 v[13:14], v[19:20], v[33:34]
	s_waitcnt lgkmcnt(4)
	v_add_f64 v[19:20], v[27:28], v[35:36]
	;; [unrolled: 2-line block ×3, first 2 shown]
	v_cmp_gt_i32_e32 vcc_lo, 32, v25
	s_waitcnt lgkmcnt(0)
	v_add_f64 v[17:18], v[17:18], v[39:40]
	v_cndmask_b32_e32 v25, v41, v25, vcc_lo
	v_cmp_eq_u32_e32 vcc_lo, 15, v48
	s_delay_alu instid0(VALU_DEP_2)
	v_lshlrev_b32_e32 v28, 2, v25
	ds_bpermute_b32 v39, v28, v9
	ds_bpermute_b32 v40, v28, v10
	ds_bpermute_b32 v37, v28, v23
	ds_bpermute_b32 v38, v28, v24
	ds_bpermute_b32 v35, v28, v11
	ds_bpermute_b32 v36, v28, v12
	ds_bpermute_b32 v33, v28, v21
	ds_bpermute_b32 v34, v28, v22
	ds_bpermute_b32 v31, v28, v13
	ds_bpermute_b32 v32, v28, v14
	ds_bpermute_b32 v29, v28, v19
	ds_bpermute_b32 v30, v28, v20
	ds_bpermute_b32 v25, v28, v15
	ds_bpermute_b32 v26, v28, v16
	ds_bpermute_b32 v27, v28, v17
	ds_bpermute_b32 v28, v28, v18
	s_and_b32 exec_lo, exec_lo, vcc_lo
	s_cbranch_execz .LBB138_33
; %bb.29:
	v_cmp_eq_f64_e32 vcc_lo, 0, v[4:5]
	v_cmp_eq_f64_e64 s0, 0, v[6:7]
	s_waitcnt lgkmcnt(14)
	v_add_f64 v[9:10], v[9:10], v[39:40]
	s_waitcnt lgkmcnt(12)
	v_add_f64 v[23:24], v[23:24], v[37:38]
	;; [unrolled: 2-line block ×8, first 2 shown]
	s_load_b64 s[2:3], s[2:3], 0x48
	s_and_b32 s0, vcc_lo, s0
	s_delay_alu instid0(SALU_CYCLE_1) | instskip(NEXT) | instid1(SALU_CYCLE_1)
	s_and_saveexec_b32 s1, s0
	s_xor_b32 s0, exec_lo, s1
	s_cbranch_execz .LBB138_31
; %bb.30:
	v_mul_f64 v[4:5], v[23:24], -v[2:3]
	v_mul_f64 v[6:7], v[0:1], v[23:24]
	v_mul_f64 v[23:24], v[21:22], -v[2:3]
	v_mul_f64 v[21:22], v[0:1], v[21:22]
	;; [unrolled: 2-line block ×4, first 2 shown]
	v_fma_f64 v[4:5], v[0:1], v[9:10], v[4:5]
	v_fma_f64 v[6:7], v[2:3], v[9:10], v[6:7]
	;; [unrolled: 1-line block ×8, first 2 shown]
	v_lshlrev_b32_e32 v13, 2, v8
                                        ; implicit-def: $vgpr8
                                        ; implicit-def: $vgpr23_vgpr24
                                        ; implicit-def: $vgpr21_vgpr22
                                        ; implicit-def: $vgpr15_vgpr16
	s_delay_alu instid0(VALU_DEP_1) | instskip(NEXT) | instid1(VALU_DEP_1)
	v_ashrrev_i32_e32 v14, 31, v13
	v_lshlrev_b64 v[13:14], 4, v[13:14]
	s_waitcnt lgkmcnt(0)
	s_delay_alu instid0(VALU_DEP_1) | instskip(NEXT) | instid1(VALU_DEP_2)
	v_add_co_u32 v13, vcc_lo, s2, v13
	v_add_co_ci_u32_e32 v14, vcc_lo, s3, v14, vcc_lo
	s_clause 0x3
	global_store_b128 v[13:14], v[4:7], off
	global_store_b128 v[13:14], v[9:12], off offset:16
	global_store_b128 v[13:14], v[17:20], off offset:32
	;; [unrolled: 1-line block ×3, first 2 shown]
                                        ; implicit-def: $vgpr0_vgpr1
                                        ; implicit-def: $vgpr2_vgpr3
                                        ; implicit-def: $vgpr4_vgpr5
                                        ; implicit-def: $vgpr6_vgpr7
                                        ; implicit-def: $vgpr9_vgpr10
                                        ; implicit-def: $vgpr11_vgpr12
                                        ; implicit-def: $vgpr13_vgpr14
                                        ; implicit-def: $vgpr19_vgpr20
                                        ; implicit-def: $vgpr17_vgpr18
.LBB138_31:
	s_and_not1_saveexec_b32 s0, s0
	s_cbranch_execz .LBB138_33
; %bb.32:
	v_lshlrev_b32_e32 v25, 2, v8
	v_mul_f64 v[43:44], v[23:24], -v[2:3]
	v_mul_f64 v[23:24], v[0:1], v[23:24]
	v_mul_f64 v[45:46], v[21:22], -v[2:3]
	v_mul_f64 v[21:22], v[0:1], v[21:22]
	v_ashrrev_i32_e32 v26, 31, v25
	v_mul_f64 v[47:48], v[19:20], -v[2:3]
	v_mul_f64 v[19:20], v[0:1], v[19:20]
	v_mul_f64 v[49:50], v[17:18], -v[2:3]
	v_mul_f64 v[17:18], v[0:1], v[17:18]
	v_lshlrev_b64 v[25:26], 4, v[25:26]
	s_waitcnt lgkmcnt(0)
	s_delay_alu instid0(VALU_DEP_1) | instskip(NEXT) | instid1(VALU_DEP_2)
	v_add_co_u32 v41, vcc_lo, s2, v25
	v_add_co_ci_u32_e32 v42, vcc_lo, s3, v26, vcc_lo
	s_clause 0x3
	global_load_b128 v[25:28], v[41:42], off
	global_load_b128 v[29:32], v[41:42], off offset:16
	global_load_b128 v[33:36], v[41:42], off offset:32
	;; [unrolled: 1-line block ×3, first 2 shown]
	v_fma_f64 v[43:44], v[0:1], v[9:10], v[43:44]
	v_fma_f64 v[8:9], v[2:3], v[9:10], v[23:24]
	;; [unrolled: 1-line block ×8, first 2 shown]
	s_waitcnt vmcnt(3)
	v_fma_f64 v[14:15], v[4:5], v[25:26], v[43:44]
	v_fma_f64 v[8:9], v[6:7], v[25:26], v[8:9]
	s_waitcnt vmcnt(2)
	v_fma_f64 v[16:17], v[4:5], v[29:30], v[23:24]
	v_fma_f64 v[10:11], v[6:7], v[29:30], v[10:11]
	;; [unrolled: 3-line block ×4, first 2 shown]
	v_fma_f64 v[0:1], -v[6:7], v[27:28], v[14:15]
	v_fma_f64 v[2:3], v[4:5], v[27:28], v[8:9]
	v_fma_f64 v[8:9], -v[6:7], v[31:32], v[16:17]
	v_fma_f64 v[10:11], v[4:5], v[31:32], v[10:11]
	v_fma_f64 v[12:13], -v[6:7], v[35:36], v[18:19]
	v_fma_f64 v[14:15], v[4:5], v[35:36], v[20:21]
	v_fma_f64 v[16:17], -v[6:7], v[39:40], v[22:23]
	v_fma_f64 v[18:19], v[4:5], v[39:40], v[24:25]
	s_clause 0x3
	global_store_b128 v[41:42], v[0:3], off
	global_store_b128 v[41:42], v[8:11], off offset:16
	global_store_b128 v[41:42], v[12:15], off offset:32
	;; [unrolled: 1-line block ×3, first 2 shown]
.LBB138_33:
	s_nop 0
	s_sendmsg sendmsg(MSG_DEALLOC_VGPRS)
	s_endpgm
	.section	.rodata,"a",@progbits
	.p2align	6, 0x0
	.amdhsa_kernel _ZN9rocsparseL19gebsrmvn_4xn_kernelILj128ELj7ELj16E21rocsparse_complex_numIdEEEvi20rocsparse_direction_NS_24const_host_device_scalarIT2_EEPKiS8_PKS5_SA_S6_PS5_21rocsparse_index_base_b
		.amdhsa_group_segment_fixed_size 2048
		.amdhsa_private_segment_fixed_size 0
		.amdhsa_kernarg_size 88
		.amdhsa_user_sgpr_count 15
		.amdhsa_user_sgpr_dispatch_ptr 1
		.amdhsa_user_sgpr_queue_ptr 0
		.amdhsa_user_sgpr_kernarg_segment_ptr 1
		.amdhsa_user_sgpr_dispatch_id 0
		.amdhsa_user_sgpr_private_segment_size 0
		.amdhsa_wavefront_size32 1
		.amdhsa_uses_dynamic_stack 0
		.amdhsa_enable_private_segment 0
		.amdhsa_system_sgpr_workgroup_id_x 1
		.amdhsa_system_sgpr_workgroup_id_y 0
		.amdhsa_system_sgpr_workgroup_id_z 0
		.amdhsa_system_sgpr_workgroup_info 0
		.amdhsa_system_vgpr_workitem_id 2
		.amdhsa_next_free_vgpr 70
		.amdhsa_next_free_sgpr 18
		.amdhsa_reserve_vcc 1
		.amdhsa_float_round_mode_32 0
		.amdhsa_float_round_mode_16_64 0
		.amdhsa_float_denorm_mode_32 3
		.amdhsa_float_denorm_mode_16_64 3
		.amdhsa_dx10_clamp 1
		.amdhsa_ieee_mode 1
		.amdhsa_fp16_overflow 0
		.amdhsa_workgroup_processor_mode 1
		.amdhsa_memory_ordered 1
		.amdhsa_forward_progress 0
		.amdhsa_shared_vgpr_count 0
		.amdhsa_exception_fp_ieee_invalid_op 0
		.amdhsa_exception_fp_denorm_src 0
		.amdhsa_exception_fp_ieee_div_zero 0
		.amdhsa_exception_fp_ieee_overflow 0
		.amdhsa_exception_fp_ieee_underflow 0
		.amdhsa_exception_fp_ieee_inexact 0
		.amdhsa_exception_int_div_zero 0
	.end_amdhsa_kernel
	.section	.text._ZN9rocsparseL19gebsrmvn_4xn_kernelILj128ELj7ELj16E21rocsparse_complex_numIdEEEvi20rocsparse_direction_NS_24const_host_device_scalarIT2_EEPKiS8_PKS5_SA_S6_PS5_21rocsparse_index_base_b,"axG",@progbits,_ZN9rocsparseL19gebsrmvn_4xn_kernelILj128ELj7ELj16E21rocsparse_complex_numIdEEEvi20rocsparse_direction_NS_24const_host_device_scalarIT2_EEPKiS8_PKS5_SA_S6_PS5_21rocsparse_index_base_b,comdat
.Lfunc_end138:
	.size	_ZN9rocsparseL19gebsrmvn_4xn_kernelILj128ELj7ELj16E21rocsparse_complex_numIdEEEvi20rocsparse_direction_NS_24const_host_device_scalarIT2_EEPKiS8_PKS5_SA_S6_PS5_21rocsparse_index_base_b, .Lfunc_end138-_ZN9rocsparseL19gebsrmvn_4xn_kernelILj128ELj7ELj16E21rocsparse_complex_numIdEEEvi20rocsparse_direction_NS_24const_host_device_scalarIT2_EEPKiS8_PKS5_SA_S6_PS5_21rocsparse_index_base_b
                                        ; -- End function
	.section	.AMDGPU.csdata,"",@progbits
; Kernel info:
; codeLenInByte = 4060
; NumSgprs: 20
; NumVgprs: 70
; ScratchSize: 0
; MemoryBound: 0
; FloatMode: 240
; IeeeMode: 1
; LDSByteSize: 2048 bytes/workgroup (compile time only)
; SGPRBlocks: 2
; VGPRBlocks: 8
; NumSGPRsForWavesPerEU: 20
; NumVGPRsForWavesPerEU: 70
; Occupancy: 16
; WaveLimiterHint : 1
; COMPUTE_PGM_RSRC2:SCRATCH_EN: 0
; COMPUTE_PGM_RSRC2:USER_SGPR: 15
; COMPUTE_PGM_RSRC2:TRAP_HANDLER: 0
; COMPUTE_PGM_RSRC2:TGID_X_EN: 1
; COMPUTE_PGM_RSRC2:TGID_Y_EN: 0
; COMPUTE_PGM_RSRC2:TGID_Z_EN: 0
; COMPUTE_PGM_RSRC2:TIDIG_COMP_CNT: 2
	.section	.text._ZN9rocsparseL19gebsrmvn_4xn_kernelILj128ELj7ELj32E21rocsparse_complex_numIdEEEvi20rocsparse_direction_NS_24const_host_device_scalarIT2_EEPKiS8_PKS5_SA_S6_PS5_21rocsparse_index_base_b,"axG",@progbits,_ZN9rocsparseL19gebsrmvn_4xn_kernelILj128ELj7ELj32E21rocsparse_complex_numIdEEEvi20rocsparse_direction_NS_24const_host_device_scalarIT2_EEPKiS8_PKS5_SA_S6_PS5_21rocsparse_index_base_b,comdat
	.globl	_ZN9rocsparseL19gebsrmvn_4xn_kernelILj128ELj7ELj32E21rocsparse_complex_numIdEEEvi20rocsparse_direction_NS_24const_host_device_scalarIT2_EEPKiS8_PKS5_SA_S6_PS5_21rocsparse_index_base_b ; -- Begin function _ZN9rocsparseL19gebsrmvn_4xn_kernelILj128ELj7ELj32E21rocsparse_complex_numIdEEEvi20rocsparse_direction_NS_24const_host_device_scalarIT2_EEPKiS8_PKS5_SA_S6_PS5_21rocsparse_index_base_b
	.p2align	8
	.type	_ZN9rocsparseL19gebsrmvn_4xn_kernelILj128ELj7ELj32E21rocsparse_complex_numIdEEEvi20rocsparse_direction_NS_24const_host_device_scalarIT2_EEPKiS8_PKS5_SA_S6_PS5_21rocsparse_index_base_b,@function
_ZN9rocsparseL19gebsrmvn_4xn_kernelILj128ELj7ELj32E21rocsparse_complex_numIdEEEvi20rocsparse_direction_NS_24const_host_device_scalarIT2_EEPKiS8_PKS5_SA_S6_PS5_21rocsparse_index_base_b: ; @_ZN9rocsparseL19gebsrmvn_4xn_kernelILj128ELj7ELj32E21rocsparse_complex_numIdEEEvi20rocsparse_direction_NS_24const_host_device_scalarIT2_EEPKiS8_PKS5_SA_S6_PS5_21rocsparse_index_base_b
; %bb.0:
	s_load_b64 s[12:13], s[2:3], 0x50
	s_load_b64 s[16:17], s[0:1], 0x4
	s_load_b128 s[8:11], s[2:3], 0x8
	v_bfe_u32 v1, v0, 10, 10
	s_mov_b64 s[0:1], src_shared_base
	s_load_b128 s[4:7], s[2:3], 0x38
	v_and_b32_e32 v12, 0x3ff, v0
	v_bfe_u32 v0, v0, 20, 10
	s_waitcnt lgkmcnt(0)
	s_bitcmp1_b32 s13, 0
	v_mul_u32_u24_e32 v1, s17, v1
	s_cselect_b32 s0, -1, 0
	s_delay_alu instid0(SALU_CYCLE_1)
	s_and_b32 vcc_lo, s0, exec_lo
	s_cselect_b32 s13, s1, s9
	s_lshr_b32 s14, s16, 16
	v_dual_mov_b32 v2, s4 :: v_dual_mov_b32 v3, s5
	s_mul_i32 s14, s14, s17
	v_mov_b32_e32 v6, s13
	v_mad_u32_u24 v1, s14, v12, v1
	s_delay_alu instid0(VALU_DEP_1) | instskip(SKIP_1) | instid1(VALU_DEP_2)
	v_add_lshl_u32 v4, v1, v0, 3
	v_dual_mov_b32 v0, s8 :: v_dual_mov_b32 v1, s9
	v_add_nc_u32_e32 v5, 0x400, v4
	ds_store_2addr_stride64_b64 v4, v[2:3], v[0:1] offset1:2
	v_dual_mov_b32 v2, s10 :: v_dual_mov_b32 v3, s11
	v_cndmask_b32_e64 v5, s8, v5, s0
	s_xor_b32 s10, s0, -1
	flat_load_b64 v[0:1], v[5:6]
	s_cbranch_vccnz .LBB139_2
; %bb.1:
	v_dual_mov_b32 v2, s8 :: v_dual_mov_b32 v3, s9
	flat_load_b64 v[2:3], v[2:3] offset:8
.LBB139_2:
	s_and_b32 s8, s0, exec_lo
	s_cselect_b32 s1, s1, s5
	v_cndmask_b32_e64 v4, s4, v4, s0
	v_dual_mov_b32 v5, s1 :: v_dual_mov_b32 v6, s6
	v_mov_b32_e32 v7, s7
	s_and_not1_b32 vcc_lo, exec_lo, s10
	flat_load_b64 v[4:5], v[4:5]
	s_cbranch_vccnz .LBB139_4
; %bb.3:
	v_dual_mov_b32 v7, s5 :: v_dual_mov_b32 v6, s4
	flat_load_b64 v[6:7], v[6:7] offset:8
.LBB139_4:
	s_waitcnt vmcnt(1) lgkmcnt(1)
	v_cmp_eq_f64_e32 vcc_lo, 0, v[0:1]
	v_cmp_eq_f64_e64 s0, 0, v[2:3]
	s_delay_alu instid0(VALU_DEP_1)
	s_and_b32 s4, vcc_lo, s0
	s_mov_b32 s0, -1
	s_and_saveexec_b32 s1, s4
	s_cbranch_execz .LBB139_6
; %bb.5:
	s_waitcnt vmcnt(0) lgkmcnt(0)
	v_cmp_neq_f64_e32 vcc_lo, 1.0, v[4:5]
	v_cmp_neq_f64_e64 s0, 0, v[6:7]
	s_delay_alu instid0(VALU_DEP_1) | instskip(NEXT) | instid1(SALU_CYCLE_1)
	s_or_b32 s0, vcc_lo, s0
	s_or_not1_b32 s0, s0, exec_lo
.LBB139_6:
	s_or_b32 exec_lo, exec_lo, s1
	s_and_saveexec_b32 s1, s0
	s_cbranch_execz .LBB139_33
; %bb.7:
	s_load_b64 s[0:1], s[2:3], 0x0
	v_lshrrev_b32_e32 v8, 5, v12
	s_delay_alu instid0(VALU_DEP_1) | instskip(SKIP_1) | instid1(VALU_DEP_1)
	v_lshl_or_b32 v8, s15, 2, v8
	s_waitcnt lgkmcnt(0)
	v_cmp_gt_i32_e32 vcc_lo, s0, v8
	s_and_b32 exec_lo, exec_lo, vcc_lo
	s_cbranch_execz .LBB139_33
; %bb.8:
	s_load_b256 s[4:11], s[2:3], 0x18
	v_ashrrev_i32_e32 v9, 31, v8
	v_and_b32_e32 v48, 31, v12
	s_cmp_lg_u32 s1, 0
	s_delay_alu instid0(VALU_DEP_2) | instskip(SKIP_1) | instid1(VALU_DEP_1)
	v_lshlrev_b64 v[9:10], 2, v[8:9]
	s_waitcnt lgkmcnt(0)
	v_add_co_u32 v9, vcc_lo, s4, v9
	s_delay_alu instid0(VALU_DEP_2) | instskip(SKIP_4) | instid1(VALU_DEP_2)
	v_add_co_ci_u32_e32 v10, vcc_lo, s5, v10, vcc_lo
	global_load_b64 v[10:11], v[9:10], off
	s_waitcnt vmcnt(0)
	v_subrev_nc_u32_e32 v9, s12, v10
	v_subrev_nc_u32_e32 v49, s12, v11
	v_add_nc_u32_e32 v9, v9, v48
	s_delay_alu instid0(VALU_DEP_1)
	v_cmp_lt_i32_e64 s0, v9, v49
	s_cbranch_scc0 .LBB139_16
; %bb.9:
	v_mov_b32_e32 v11, 0
	v_mov_b32_e32 v12, 0
	s_delay_alu instid0(VALU_DEP_1)
	v_dual_mov_b32 v14, v12 :: v_dual_mov_b32 v13, v11
	v_dual_mov_b32 v16, v12 :: v_dual_mov_b32 v15, v11
	v_dual_mov_b32 v18, v12 :: v_dual_mov_b32 v17, v11
	v_dual_mov_b32 v20, v12 :: v_dual_mov_b32 v19, v11
	v_dual_mov_b32 v22, v12 :: v_dual_mov_b32 v21, v11
	v_dual_mov_b32 v24, v12 :: v_dual_mov_b32 v23, v11
	v_dual_mov_b32 v26, v12 :: v_dual_mov_b32 v25, v11
	s_and_saveexec_b32 s1, s0
	s_cbranch_execz .LBB139_18
; %bb.10:
	v_dual_mov_b32 v11, 0 :: v_dual_mov_b32 v28, 0
	v_dual_mov_b32 v12, 0 :: v_dual_mov_b32 v29, v9
	v_mul_lo_u32 v50, v9, 28
	s_mov_b32 s4, 0
	s_delay_alu instid0(VALU_DEP_2)
	v_dual_mov_b32 v14, v12 :: v_dual_mov_b32 v13, v11
	v_dual_mov_b32 v16, v12 :: v_dual_mov_b32 v15, v11
	;; [unrolled: 1-line block ×7, first 2 shown]
	s_branch .LBB139_12
.LBB139_11:                             ;   in Loop: Header=BB139_12 Depth=1
	v_add_nc_u32_e32 v29, 32, v29
	v_add_nc_u32_e32 v50, 0x380, v50
	s_delay_alu instid0(VALU_DEP_2) | instskip(SKIP_1) | instid1(SALU_CYCLE_1)
	v_cmp_ge_i32_e32 vcc_lo, v29, v49
	s_or_b32 s4, vcc_lo, s4
	s_and_not1_b32 exec_lo, exec_lo, s4
	s_cbranch_execz .LBB139_17
.LBB139_12:                             ; =>This Loop Header: Depth=1
                                        ;     Child Loop BB139_14 Depth 2
	v_ashrrev_i32_e32 v30, 31, v29
	v_mov_b32_e32 v41, v12
	v_mov_b32_e32 v45, v14
	;; [unrolled: 1-line block ×4, first 2 shown]
	v_lshlrev_b64 v[30:31], 2, v[29:30]
	v_mov_b32_e32 v43, v24
	v_dual_mov_b32 v39, v26 :: v_dual_mov_b32 v38, v25
	v_dual_mov_b32 v27, v50 :: v_dual_mov_b32 v40, v11
	s_delay_alu instid0(VALU_DEP_4)
	v_add_co_u32 v30, vcc_lo, s6, v30
	v_add_co_ci_u32_e32 v31, vcc_lo, s7, v31, vcc_lo
	v_mov_b32_e32 v44, v13
	v_mov_b32_e32 v32, v15
	s_mov_b32 s5, 0
	global_load_b32 v30, v[30:31], off
	v_mov_b32_e32 v36, v19
	v_mov_b32_e32 v42, v23
	s_waitcnt vmcnt(0)
	v_subrev_nc_u32_e32 v34, s12, v30
	v_dual_mov_b32 v31, v18 :: v_dual_mov_b32 v30, v17
	s_delay_alu instid0(VALU_DEP_2)
	v_mul_lo_u32 v51, v34, 7
	v_dual_mov_b32 v35, v22 :: v_dual_mov_b32 v34, v21
	s_branch .LBB139_14
.LBB139_13:                             ;   in Loop: Header=BB139_12 Depth=1
                                        ; implicit-def: $vgpr38_vgpr39
                                        ; implicit-def: $vgpr42_vgpr43
                                        ; implicit-def: $vgpr34_vgpr35
                                        ; implicit-def: $vgpr36_vgpr37
                                        ; implicit-def: $vgpr30_vgpr31
                                        ; implicit-def: $vgpr32_vgpr33
                                        ; implicit-def: $vgpr44_vgpr45
                                        ; implicit-def: $vgpr40_vgpr41
                                        ; implicit-def: $sgpr5
	s_branch .LBB139_11
.LBB139_14:                             ;   Parent Loop BB139_12 Depth=1
                                        ; =>  This Inner Loop Header: Depth=2
	s_delay_alu instid0(VALU_DEP_2) | instskip(SKIP_2) | instid1(VALU_DEP_2)
	v_dual_mov_b32 v47, v28 :: v_dual_add_nc_u32 v46, s5, v51
	v_lshlrev_b64 v[11:12], 4, v[27:28]
	s_cmp_eq_u32 s5, 6
	v_lshlrev_b64 v[13:14], 4, v[46:47]
	s_delay_alu instid0(VALU_DEP_2) | instskip(NEXT) | instid1(VALU_DEP_3)
	v_add_co_u32 v23, vcc_lo, s8, v11
	v_add_co_ci_u32_e32 v24, vcc_lo, s9, v12, vcc_lo
	s_delay_alu instid0(VALU_DEP_3) | instskip(NEXT) | instid1(VALU_DEP_4)
	v_add_co_u32 v15, vcc_lo, s10, v13
	v_add_co_ci_u32_e32 v16, vcc_lo, s11, v14, vcc_lo
	global_load_b128 v[11:14], v[23:24], off
	global_load_b128 v[15:18], v[15:16], off
	s_clause 0x2
	global_load_b128 v[19:22], v[23:24], off offset:16
	global_load_b128 v[52:55], v[23:24], off offset:32
	;; [unrolled: 1-line block ×3, first 2 shown]
	s_waitcnt vmcnt(3)
	v_fma_f64 v[23:24], v[11:12], v[15:16], v[44:45]
	v_fma_f64 v[25:26], v[13:14], v[15:16], v[40:41]
	s_waitcnt vmcnt(2)
	v_fma_f64 v[40:41], v[19:20], v[15:16], v[42:43]
	v_fma_f64 v[38:39], v[21:22], v[15:16], v[38:39]
	;; [unrolled: 3-line block ×4, first 2 shown]
	v_fma_f64 v[13:14], -v[13:14], v[17:18], v[23:24]
	v_fma_f64 v[11:12], v[11:12], v[17:18], v[25:26]
	v_fma_f64 v[23:24], -v[21:22], v[17:18], v[40:41]
	v_fma_f64 v[25:26], v[19:20], v[17:18], v[38:39]
	;; [unrolled: 2-line block ×4, first 2 shown]
	s_cbranch_scc1 .LBB139_13
; %bb.15:                               ;   in Loop: Header=BB139_14 Depth=2
	v_dual_mov_b32 v31, v28 :: v_dual_add_nc_u32 v30, 4, v27
	v_dual_mov_b32 v33, v28 :: v_dual_add_nc_u32 v32, 1, v46
	v_add_nc_u32_e32 v27, 8, v27
	s_delay_alu instid0(VALU_DEP_3) | instskip(SKIP_1) | instid1(VALU_DEP_3)
	v_lshlrev_b64 v[30:31], 4, v[30:31]
	s_add_i32 s5, s5, 2
	v_lshlrev_b64 v[32:33], 4, v[32:33]
	s_delay_alu instid0(VALU_DEP_2) | instskip(NEXT) | instid1(VALU_DEP_3)
	v_add_co_u32 v38, vcc_lo, s8, v30
	v_add_co_ci_u32_e32 v39, vcc_lo, s9, v31, vcc_lo
	s_delay_alu instid0(VALU_DEP_3) | instskip(NEXT) | instid1(VALU_DEP_4)
	v_add_co_u32 v34, vcc_lo, s10, v32
	v_add_co_ci_u32_e32 v35, vcc_lo, s11, v33, vcc_lo
	global_load_b128 v[30:33], v[38:39], off
	global_load_b128 v[44:47], v[34:35], off
	s_clause 0x2
	global_load_b128 v[34:37], v[38:39], off offset:16
	global_load_b128 v[52:55], v[38:39], off offset:32
	;; [unrolled: 1-line block ×3, first 2 shown]
	s_waitcnt vmcnt(3)
	v_fma_f64 v[38:39], v[30:31], v[44:45], v[13:14]
	v_fma_f64 v[40:41], v[32:33], v[44:45], v[11:12]
	s_waitcnt vmcnt(2)
	v_fma_f64 v[42:43], v[34:35], v[44:45], v[23:24]
	v_fma_f64 v[60:61], v[36:37], v[44:45], v[25:26]
	s_waitcnt vmcnt(1)
	v_fma_f64 v[62:63], v[52:53], v[44:45], v[19:20]
	v_fma_f64 v[64:65], v[54:55], v[44:45], v[21:22]
	s_waitcnt vmcnt(0)
	v_fma_f64 v[66:67], v[56:57], v[44:45], v[15:16]
	v_fma_f64 v[68:69], v[58:59], v[44:45], v[17:18]
	v_fma_f64 v[44:45], -v[32:33], v[46:47], v[38:39]
	v_fma_f64 v[40:41], v[30:31], v[46:47], v[40:41]
	v_fma_f64 v[42:43], -v[36:37], v[46:47], v[42:43]
	v_fma_f64 v[38:39], v[34:35], v[46:47], v[60:61]
	;; [unrolled: 2-line block ×4, first 2 shown]
	s_cbranch_execnz .LBB139_14
	s_branch .LBB139_11
.LBB139_16:
                                        ; implicit-def: $vgpr11_vgpr12
                                        ; implicit-def: $vgpr13_vgpr14
                                        ; implicit-def: $vgpr15_vgpr16
                                        ; implicit-def: $vgpr17_vgpr18
                                        ; implicit-def: $vgpr19_vgpr20
                                        ; implicit-def: $vgpr21_vgpr22
                                        ; implicit-def: $vgpr23_vgpr24
                                        ; implicit-def: $vgpr25_vgpr26
	s_branch .LBB139_19
.LBB139_17:
	s_or_b32 exec_lo, exec_lo, s4
.LBB139_18:
	s_delay_alu instid0(SALU_CYCLE_1)
	s_or_b32 exec_lo, exec_lo, s1
	s_cbranch_execnz .LBB139_28
.LBB139_19:
	v_mov_b32_e32 v11, 0
	v_mov_b32_e32 v12, 0
	s_delay_alu instid0(VALU_DEP_1)
	v_dual_mov_b32 v14, v12 :: v_dual_mov_b32 v13, v11
	v_dual_mov_b32 v16, v12 :: v_dual_mov_b32 v15, v11
	;; [unrolled: 1-line block ×7, first 2 shown]
	s_and_saveexec_b32 s1, s0
	s_cbranch_execz .LBB139_27
; %bb.20:
	v_mul_lo_u32 v10, v10, 28
	v_dual_mov_b32 v11, 0 :: v_dual_mov_b32 v28, 0
	v_mov_b32_e32 v12, 0
	v_mul_lo_u32 v45, v9, 28
	s_mul_i32 s0, s12, 28
	s_delay_alu instid0(VALU_DEP_2)
	v_dual_mov_b32 v14, v12 :: v_dual_mov_b32 v13, v11
	v_mad_u32_u24 v10, v48, 28, v10
	v_dual_mov_b32 v16, v12 :: v_dual_mov_b32 v15, v11
	v_dual_mov_b32 v18, v12 :: v_dual_mov_b32 v17, v11
	;; [unrolled: 1-line block ×5, first 2 shown]
	v_subrev_nc_u32_e32 v46, s0, v10
	v_dual_mov_b32 v26, v12 :: v_dual_mov_b32 v25, v11
	s_mov_b32 s0, 0
	s_branch .LBB139_22
.LBB139_21:                             ;   in Loop: Header=BB139_22 Depth=1
	v_add_nc_u32_e32 v9, 32, v9
	v_add_nc_u32_e32 v45, 0x380, v45
	;; [unrolled: 1-line block ×3, first 2 shown]
	s_delay_alu instid0(VALU_DEP_3) | instskip(SKIP_1) | instid1(SALU_CYCLE_1)
	v_cmp_ge_i32_e32 vcc_lo, v9, v49
	s_or_b32 s0, vcc_lo, s0
	s_and_not1_b32 exec_lo, exec_lo, s0
	s_cbranch_execz .LBB139_26
.LBB139_22:                             ; =>This Loop Header: Depth=1
                                        ;     Child Loop BB139_24 Depth 2
	v_ashrrev_i32_e32 v10, 31, v9
	v_dual_mov_b32 v34, v12 :: v_dual_mov_b32 v33, v11
	v_dual_mov_b32 v36, v14 :: v_dual_mov_b32 v35, v13
	s_delay_alu instid0(VALU_DEP_3) | instskip(SKIP_3) | instid1(VALU_DEP_4)
	v_lshlrev_b64 v[29:30], 2, v[9:10]
	v_dual_mov_b32 v32, v16 :: v_dual_mov_b32 v31, v15
	v_dual_mov_b32 v38, v20 :: v_dual_mov_b32 v37, v19
	;; [unrolled: 1-line block ×3, first 2 shown]
	v_add_co_u32 v29, vcc_lo, s6, v29
	v_add_co_ci_u32_e32 v30, vcc_lo, s7, v30, vcc_lo
	v_dual_mov_b32 v42, v24 :: v_dual_mov_b32 v41, v23
	v_dual_mov_b32 v44, v26 :: v_dual_mov_b32 v43, v25
	global_load_b32 v10, v[29:30], off
	v_dual_mov_b32 v30, v18 :: v_dual_mov_b32 v29, v17
	s_mov_b32 s4, 0
	s_waitcnt vmcnt(0)
	v_subrev_nc_u32_e32 v10, s12, v10
	s_delay_alu instid0(VALU_DEP_1)
	v_mul_lo_u32 v10, v10, 7
	s_branch .LBB139_24
.LBB139_23:                             ;   in Loop: Header=BB139_22 Depth=1
                                        ; implicit-def: $vgpr43_vgpr44
                                        ; implicit-def: $vgpr41_vgpr42
                                        ; implicit-def: $vgpr39_vgpr40
                                        ; implicit-def: $vgpr37_vgpr38
                                        ; implicit-def: $vgpr29_vgpr30
                                        ; implicit-def: $vgpr31_vgpr32
                                        ; implicit-def: $vgpr35_vgpr36
                                        ; implicit-def: $vgpr33_vgpr34
                                        ; implicit-def: $sgpr4
	s_branch .LBB139_21
.LBB139_24:                             ;   Parent Loop BB139_22 Depth=1
                                        ; =>  This Inner Loop Header: Depth=2
	v_dual_mov_b32 v14, v28 :: v_dual_add_nc_u32 v27, s4, v46
	v_dual_mov_b32 v16, v28 :: v_dual_add_nc_u32 v47, s4, v45
	s_cmp_eq_u32 s4, 6
	s_delay_alu instid0(VALU_DEP_2) | instskip(NEXT) | instid1(VALU_DEP_4)
	v_lshlrev_b64 v[11:12], 4, v[27:28]
	v_dual_mov_b32 v20, v28 :: v_dual_add_nc_u32 v27, s4, v10
	s_delay_alu instid0(VALU_DEP_3) | instskip(SKIP_2) | instid1(VALU_DEP_4)
	v_add_nc_u32_e32 v13, 7, v47
	v_add_nc_u32_e32 v15, 14, v47
	;; [unrolled: 1-line block ×3, first 2 shown]
	v_lshlrev_b64 v[17:18], 4, v[27:28]
	v_add_co_u32 v11, vcc_lo, s8, v11
	v_lshlrev_b64 v[21:22], 4, v[13:14]
	v_add_co_ci_u32_e32 v12, vcc_lo, s9, v12, vcc_lo
	s_delay_alu instid0(VALU_DEP_4)
	v_add_co_u32 v17, vcc_lo, s10, v17
	v_lshlrev_b64 v[23:24], 4, v[15:16]
	v_add_co_ci_u32_e32 v18, vcc_lo, s11, v18, vcc_lo
	v_add_co_u32 v21, vcc_lo, s8, v21
	v_lshlrev_b64 v[19:20], 4, v[19:20]
	v_add_co_ci_u32_e32 v22, vcc_lo, s9, v22, vcc_lo
	v_add_co_u32 v23, vcc_lo, s8, v23
	v_add_co_ci_u32_e32 v24, vcc_lo, s9, v24, vcc_lo
	s_delay_alu instid0(VALU_DEP_4)
	v_add_co_u32 v25, vcc_lo, s8, v19
	v_add_co_ci_u32_e32 v26, vcc_lo, s9, v20, vcc_lo
	global_load_b128 v[11:14], v[11:12], off
	global_load_b128 v[15:18], v[17:18], off
	s_clause 0x2
	global_load_b128 v[19:22], v[21:22], off
	global_load_b128 v[50:53], v[23:24], off
	;; [unrolled: 1-line block ×3, first 2 shown]
	s_waitcnt vmcnt(3)
	v_fma_f64 v[23:24], v[11:12], v[15:16], v[35:36]
	v_fma_f64 v[25:26], v[13:14], v[15:16], v[33:34]
	s_waitcnt vmcnt(2)
	v_fma_f64 v[33:34], v[19:20], v[15:16], v[41:42]
	v_fma_f64 v[35:36], v[21:22], v[15:16], v[43:44]
	;; [unrolled: 3-line block ×4, first 2 shown]
	v_fma_f64 v[13:14], -v[13:14], v[17:18], v[23:24]
	v_fma_f64 v[11:12], v[11:12], v[17:18], v[25:26]
	v_fma_f64 v[23:24], -v[21:22], v[17:18], v[33:34]
	v_fma_f64 v[25:26], v[19:20], v[17:18], v[35:36]
	;; [unrolled: 2-line block ×4, first 2 shown]
	s_cbranch_scc1 .LBB139_23
; %bb.25:                               ;   in Loop: Header=BB139_24 Depth=2
	v_dual_mov_b32 v30, v28 :: v_dual_add_nc_u32 v29, 1, v47
	v_add_nc_u32_e32 v27, 1, v27
	s_add_i32 s4, s4, 2
	s_delay_alu instid0(VALU_DEP_2) | instskip(NEXT) | instid1(VALU_DEP_2)
	v_lshlrev_b64 v[29:30], 4, v[29:30]
	v_lshlrev_b64 v[31:32], 4, v[27:28]
	v_add_nc_u32_e32 v27, 8, v47
	s_delay_alu instid0(VALU_DEP_3) | instskip(NEXT) | instid1(VALU_DEP_4)
	v_add_co_u32 v29, vcc_lo, s8, v29
	v_add_co_ci_u32_e32 v30, vcc_lo, s9, v30, vcc_lo
	s_delay_alu instid0(VALU_DEP_4) | instskip(NEXT) | instid1(VALU_DEP_4)
	v_add_co_u32 v33, vcc_lo, s10, v31
	v_lshlrev_b64 v[35:36], 4, v[27:28]
	v_add_nc_u32_e32 v27, 15, v47
	v_add_co_ci_u32_e32 v34, vcc_lo, s11, v32, vcc_lo
	global_load_b128 v[29:32], v[29:30], off
	global_load_b128 v[50:53], v[33:34], off
	v_lshlrev_b64 v[33:34], 4, v[27:28]
	v_add_nc_u32_e32 v27, 22, v47
	v_add_co_u32 v35, vcc_lo, s8, v35
	v_add_co_ci_u32_e32 v36, vcc_lo, s9, v36, vcc_lo
	s_delay_alu instid0(VALU_DEP_3) | instskip(SKIP_2) | instid1(VALU_DEP_3)
	v_lshlrev_b64 v[37:38], 4, v[27:28]
	v_add_co_u32 v33, vcc_lo, s8, v33
	v_add_co_ci_u32_e32 v34, vcc_lo, s9, v34, vcc_lo
	v_add_co_u32 v41, vcc_lo, s8, v37
	s_delay_alu instid0(VALU_DEP_4)
	v_add_co_ci_u32_e32 v42, vcc_lo, s9, v38, vcc_lo
	s_clause 0x2
	global_load_b128 v[37:40], v[35:36], off
	global_load_b128 v[54:57], v[33:34], off
	;; [unrolled: 1-line block ×3, first 2 shown]
	s_waitcnt vmcnt(3)
	v_fma_f64 v[33:34], v[29:30], v[50:51], v[13:14]
	v_fma_f64 v[41:42], v[31:32], v[50:51], v[11:12]
	s_waitcnt vmcnt(2)
	v_fma_f64 v[43:44], v[37:38], v[50:51], v[23:24]
	v_fma_f64 v[62:63], v[39:40], v[50:51], v[25:26]
	;; [unrolled: 3-line block ×4, first 2 shown]
	v_fma_f64 v[35:36], -v[31:32], v[52:53], v[33:34]
	v_fma_f64 v[33:34], v[29:30], v[52:53], v[41:42]
	v_fma_f64 v[41:42], -v[39:40], v[52:53], v[43:44]
	v_fma_f64 v[43:44], v[37:38], v[52:53], v[62:63]
	;; [unrolled: 2-line block ×4, first 2 shown]
	s_cbranch_execnz .LBB139_24
	s_branch .LBB139_21
.LBB139_26:
	s_or_b32 exec_lo, exec_lo, s0
.LBB139_27:
	s_delay_alu instid0(SALU_CYCLE_1)
	s_or_b32 exec_lo, exec_lo, s1
.LBB139_28:
	v_mbcnt_lo_u32_b32 v41, -1, 0
	s_delay_alu instid0(VALU_DEP_1) | instskip(NEXT) | instid1(VALU_DEP_1)
	v_xor_b32_e32 v9, 16, v41
	v_cmp_gt_i32_e32 vcc_lo, 32, v9
	v_cndmask_b32_e32 v9, v41, v9, vcc_lo
	s_delay_alu instid0(VALU_DEP_1)
	v_lshlrev_b32_e32 v40, 2, v9
	ds_bpermute_b32 v9, v40, v13
	ds_bpermute_b32 v10, v40, v14
	ds_bpermute_b32 v27, v40, v11
	ds_bpermute_b32 v28, v40, v12
	ds_bpermute_b32 v29, v40, v23
	ds_bpermute_b32 v30, v40, v24
	ds_bpermute_b32 v31, v40, v25
	ds_bpermute_b32 v32, v40, v26
	ds_bpermute_b32 v33, v40, v19
	ds_bpermute_b32 v34, v40, v20
	ds_bpermute_b32 v35, v40, v21
	ds_bpermute_b32 v36, v40, v22
	ds_bpermute_b32 v37, v40, v15
	ds_bpermute_b32 v38, v40, v16
	ds_bpermute_b32 v39, v40, v17
	ds_bpermute_b32 v40, v40, v18
	s_waitcnt lgkmcnt(14)
	v_add_f64 v[9:10], v[13:14], v[9:10]
	s_waitcnt lgkmcnt(12)
	v_add_f64 v[11:12], v[11:12], v[27:28]
	s_waitcnt lgkmcnt(10)
	v_add_f64 v[13:14], v[23:24], v[29:30]
	s_waitcnt lgkmcnt(8)
	v_add_f64 v[23:24], v[25:26], v[31:32]
	v_xor_b32_e32 v25, 8, v41
	s_waitcnt lgkmcnt(6)
	v_add_f64 v[19:20], v[19:20], v[33:34]
	s_waitcnt lgkmcnt(4)
	v_add_f64 v[21:22], v[21:22], v[35:36]
	;; [unrolled: 2-line block ×3, first 2 shown]
	v_cmp_gt_i32_e32 vcc_lo, 32, v25
	s_waitcnt lgkmcnt(0)
	v_add_f64 v[17:18], v[17:18], v[39:40]
	v_cndmask_b32_e32 v25, v41, v25, vcc_lo
	s_delay_alu instid0(VALU_DEP_1)
	v_lshlrev_b32_e32 v40, 2, v25
	ds_bpermute_b32 v25, v40, v9
	ds_bpermute_b32 v26, v40, v10
	;; [unrolled: 1-line block ×16, first 2 shown]
	s_waitcnt lgkmcnt(14)
	v_add_f64 v[9:10], v[9:10], v[25:26]
	v_xor_b32_e32 v25, 4, v41
	s_waitcnt lgkmcnt(12)
	v_add_f64 v[11:12], v[11:12], v[27:28]
	s_waitcnt lgkmcnt(10)
	v_add_f64 v[13:14], v[13:14], v[29:30]
	;; [unrolled: 2-line block ×3, first 2 shown]
	v_cmp_gt_i32_e32 vcc_lo, 32, v25
	s_waitcnt lgkmcnt(6)
	v_add_f64 v[19:20], v[19:20], v[33:34]
	s_waitcnt lgkmcnt(4)
	v_add_f64 v[21:22], v[21:22], v[35:36]
	;; [unrolled: 2-line block ×3, first 2 shown]
	v_cndmask_b32_e32 v25, v41, v25, vcc_lo
	s_waitcnt lgkmcnt(0)
	v_add_f64 v[17:18], v[17:18], v[39:40]
	s_delay_alu instid0(VALU_DEP_2)
	v_lshlrev_b32_e32 v40, 2, v25
	ds_bpermute_b32 v25, v40, v9
	ds_bpermute_b32 v26, v40, v10
	;; [unrolled: 1-line block ×16, first 2 shown]
	s_waitcnt lgkmcnt(14)
	v_add_f64 v[9:10], v[9:10], v[25:26]
	s_waitcnt lgkmcnt(12)
	v_add_f64 v[11:12], v[11:12], v[27:28]
	;; [unrolled: 2-line block ×6, first 2 shown]
	v_xor_b32_e32 v21, 2, v41
	s_waitcnt lgkmcnt(2)
	v_add_f64 v[15:16], v[15:16], v[37:38]
	s_waitcnt lgkmcnt(0)
	v_add_f64 v[17:18], v[17:18], v[39:40]
	v_cmp_gt_i32_e32 vcc_lo, 32, v21
	v_cndmask_b32_e32 v21, v41, v21, vcc_lo
	s_delay_alu instid0(VALU_DEP_1)
	v_lshlrev_b32_e32 v40, 2, v21
	ds_bpermute_b32 v21, v40, v9
	ds_bpermute_b32 v22, v40, v10
	;; [unrolled: 1-line block ×16, first 2 shown]
	s_waitcnt lgkmcnt(14)
	v_add_f64 v[9:10], v[9:10], v[21:22]
	s_waitcnt lgkmcnt(12)
	v_add_f64 v[23:24], v[11:12], v[23:24]
	;; [unrolled: 2-line block ×4, first 2 shown]
	v_xor_b32_e32 v25, 1, v41
	s_waitcnt lgkmcnt(6)
	v_add_f64 v[13:14], v[19:20], v[33:34]
	s_waitcnt lgkmcnt(4)
	v_add_f64 v[19:20], v[27:28], v[35:36]
	;; [unrolled: 2-line block ×3, first 2 shown]
	v_cmp_gt_i32_e32 vcc_lo, 32, v25
	s_waitcnt lgkmcnt(0)
	v_add_f64 v[17:18], v[17:18], v[39:40]
	v_cndmask_b32_e32 v25, v41, v25, vcc_lo
	v_cmp_eq_u32_e32 vcc_lo, 31, v48
	s_delay_alu instid0(VALU_DEP_2)
	v_lshlrev_b32_e32 v28, 2, v25
	ds_bpermute_b32 v39, v28, v9
	ds_bpermute_b32 v40, v28, v10
	;; [unrolled: 1-line block ×16, first 2 shown]
	s_and_b32 exec_lo, exec_lo, vcc_lo
	s_cbranch_execz .LBB139_33
; %bb.29:
	v_cmp_eq_f64_e32 vcc_lo, 0, v[4:5]
	v_cmp_eq_f64_e64 s0, 0, v[6:7]
	s_waitcnt lgkmcnt(14)
	v_add_f64 v[9:10], v[9:10], v[39:40]
	s_waitcnt lgkmcnt(12)
	v_add_f64 v[23:24], v[23:24], v[37:38]
	;; [unrolled: 2-line block ×8, first 2 shown]
	s_load_b64 s[2:3], s[2:3], 0x48
	s_and_b32 s0, vcc_lo, s0
	s_delay_alu instid0(SALU_CYCLE_1) | instskip(NEXT) | instid1(SALU_CYCLE_1)
	s_and_saveexec_b32 s1, s0
	s_xor_b32 s0, exec_lo, s1
	s_cbranch_execz .LBB139_31
; %bb.30:
	v_mul_f64 v[4:5], v[23:24], -v[2:3]
	v_mul_f64 v[6:7], v[0:1], v[23:24]
	v_mul_f64 v[23:24], v[21:22], -v[2:3]
	v_mul_f64 v[21:22], v[0:1], v[21:22]
	;; [unrolled: 2-line block ×4, first 2 shown]
	v_fma_f64 v[4:5], v[0:1], v[9:10], v[4:5]
	v_fma_f64 v[6:7], v[2:3], v[9:10], v[6:7]
	;; [unrolled: 1-line block ×8, first 2 shown]
	v_lshlrev_b32_e32 v13, 2, v8
                                        ; implicit-def: $vgpr8
                                        ; implicit-def: $vgpr23_vgpr24
                                        ; implicit-def: $vgpr21_vgpr22
                                        ; implicit-def: $vgpr15_vgpr16
	s_delay_alu instid0(VALU_DEP_1) | instskip(NEXT) | instid1(VALU_DEP_1)
	v_ashrrev_i32_e32 v14, 31, v13
	v_lshlrev_b64 v[13:14], 4, v[13:14]
	s_waitcnt lgkmcnt(0)
	s_delay_alu instid0(VALU_DEP_1) | instskip(NEXT) | instid1(VALU_DEP_2)
	v_add_co_u32 v13, vcc_lo, s2, v13
	v_add_co_ci_u32_e32 v14, vcc_lo, s3, v14, vcc_lo
	s_clause 0x3
	global_store_b128 v[13:14], v[4:7], off
	global_store_b128 v[13:14], v[9:12], off offset:16
	global_store_b128 v[13:14], v[17:20], off offset:32
	;; [unrolled: 1-line block ×3, first 2 shown]
                                        ; implicit-def: $vgpr0_vgpr1
                                        ; implicit-def: $vgpr2_vgpr3
                                        ; implicit-def: $vgpr4_vgpr5
                                        ; implicit-def: $vgpr6_vgpr7
                                        ; implicit-def: $vgpr9_vgpr10
                                        ; implicit-def: $vgpr11_vgpr12
                                        ; implicit-def: $vgpr13_vgpr14
                                        ; implicit-def: $vgpr19_vgpr20
                                        ; implicit-def: $vgpr17_vgpr18
.LBB139_31:
	s_and_not1_saveexec_b32 s0, s0
	s_cbranch_execz .LBB139_33
; %bb.32:
	v_lshlrev_b32_e32 v25, 2, v8
	v_mul_f64 v[43:44], v[23:24], -v[2:3]
	v_mul_f64 v[23:24], v[0:1], v[23:24]
	v_mul_f64 v[45:46], v[21:22], -v[2:3]
	v_mul_f64 v[21:22], v[0:1], v[21:22]
	v_ashrrev_i32_e32 v26, 31, v25
	v_mul_f64 v[47:48], v[19:20], -v[2:3]
	v_mul_f64 v[19:20], v[0:1], v[19:20]
	v_mul_f64 v[49:50], v[17:18], -v[2:3]
	v_mul_f64 v[17:18], v[0:1], v[17:18]
	v_lshlrev_b64 v[25:26], 4, v[25:26]
	s_waitcnt lgkmcnt(0)
	s_delay_alu instid0(VALU_DEP_1) | instskip(NEXT) | instid1(VALU_DEP_2)
	v_add_co_u32 v41, vcc_lo, s2, v25
	v_add_co_ci_u32_e32 v42, vcc_lo, s3, v26, vcc_lo
	s_clause 0x3
	global_load_b128 v[25:28], v[41:42], off
	global_load_b128 v[29:32], v[41:42], off offset:16
	global_load_b128 v[33:36], v[41:42], off offset:32
	;; [unrolled: 1-line block ×3, first 2 shown]
	v_fma_f64 v[43:44], v[0:1], v[9:10], v[43:44]
	v_fma_f64 v[8:9], v[2:3], v[9:10], v[23:24]
	;; [unrolled: 1-line block ×8, first 2 shown]
	s_waitcnt vmcnt(3)
	v_fma_f64 v[14:15], v[4:5], v[25:26], v[43:44]
	v_fma_f64 v[8:9], v[6:7], v[25:26], v[8:9]
	s_waitcnt vmcnt(2)
	v_fma_f64 v[16:17], v[4:5], v[29:30], v[23:24]
	v_fma_f64 v[10:11], v[6:7], v[29:30], v[10:11]
	;; [unrolled: 3-line block ×4, first 2 shown]
	v_fma_f64 v[0:1], -v[6:7], v[27:28], v[14:15]
	v_fma_f64 v[2:3], v[4:5], v[27:28], v[8:9]
	v_fma_f64 v[8:9], -v[6:7], v[31:32], v[16:17]
	v_fma_f64 v[10:11], v[4:5], v[31:32], v[10:11]
	;; [unrolled: 2-line block ×4, first 2 shown]
	s_clause 0x3
	global_store_b128 v[41:42], v[0:3], off
	global_store_b128 v[41:42], v[8:11], off offset:16
	global_store_b128 v[41:42], v[12:15], off offset:32
	;; [unrolled: 1-line block ×3, first 2 shown]
.LBB139_33:
	s_nop 0
	s_sendmsg sendmsg(MSG_DEALLOC_VGPRS)
	s_endpgm
	.section	.rodata,"a",@progbits
	.p2align	6, 0x0
	.amdhsa_kernel _ZN9rocsparseL19gebsrmvn_4xn_kernelILj128ELj7ELj32E21rocsparse_complex_numIdEEEvi20rocsparse_direction_NS_24const_host_device_scalarIT2_EEPKiS8_PKS5_SA_S6_PS5_21rocsparse_index_base_b
		.amdhsa_group_segment_fixed_size 2048
		.amdhsa_private_segment_fixed_size 0
		.amdhsa_kernarg_size 88
		.amdhsa_user_sgpr_count 15
		.amdhsa_user_sgpr_dispatch_ptr 1
		.amdhsa_user_sgpr_queue_ptr 0
		.amdhsa_user_sgpr_kernarg_segment_ptr 1
		.amdhsa_user_sgpr_dispatch_id 0
		.amdhsa_user_sgpr_private_segment_size 0
		.amdhsa_wavefront_size32 1
		.amdhsa_uses_dynamic_stack 0
		.amdhsa_enable_private_segment 0
		.amdhsa_system_sgpr_workgroup_id_x 1
		.amdhsa_system_sgpr_workgroup_id_y 0
		.amdhsa_system_sgpr_workgroup_id_z 0
		.amdhsa_system_sgpr_workgroup_info 0
		.amdhsa_system_vgpr_workitem_id 2
		.amdhsa_next_free_vgpr 70
		.amdhsa_next_free_sgpr 18
		.amdhsa_reserve_vcc 1
		.amdhsa_float_round_mode_32 0
		.amdhsa_float_round_mode_16_64 0
		.amdhsa_float_denorm_mode_32 3
		.amdhsa_float_denorm_mode_16_64 3
		.amdhsa_dx10_clamp 1
		.amdhsa_ieee_mode 1
		.amdhsa_fp16_overflow 0
		.amdhsa_workgroup_processor_mode 1
		.amdhsa_memory_ordered 1
		.amdhsa_forward_progress 0
		.amdhsa_shared_vgpr_count 0
		.amdhsa_exception_fp_ieee_invalid_op 0
		.amdhsa_exception_fp_denorm_src 0
		.amdhsa_exception_fp_ieee_div_zero 0
		.amdhsa_exception_fp_ieee_overflow 0
		.amdhsa_exception_fp_ieee_underflow 0
		.amdhsa_exception_fp_ieee_inexact 0
		.amdhsa_exception_int_div_zero 0
	.end_amdhsa_kernel
	.section	.text._ZN9rocsparseL19gebsrmvn_4xn_kernelILj128ELj7ELj32E21rocsparse_complex_numIdEEEvi20rocsparse_direction_NS_24const_host_device_scalarIT2_EEPKiS8_PKS5_SA_S6_PS5_21rocsparse_index_base_b,"axG",@progbits,_ZN9rocsparseL19gebsrmvn_4xn_kernelILj128ELj7ELj32E21rocsparse_complex_numIdEEEvi20rocsparse_direction_NS_24const_host_device_scalarIT2_EEPKiS8_PKS5_SA_S6_PS5_21rocsparse_index_base_b,comdat
.Lfunc_end139:
	.size	_ZN9rocsparseL19gebsrmvn_4xn_kernelILj128ELj7ELj32E21rocsparse_complex_numIdEEEvi20rocsparse_direction_NS_24const_host_device_scalarIT2_EEPKiS8_PKS5_SA_S6_PS5_21rocsparse_index_base_b, .Lfunc_end139-_ZN9rocsparseL19gebsrmvn_4xn_kernelILj128ELj7ELj32E21rocsparse_complex_numIdEEEvi20rocsparse_direction_NS_24const_host_device_scalarIT2_EEPKiS8_PKS5_SA_S6_PS5_21rocsparse_index_base_b
                                        ; -- End function
	.section	.AMDGPU.csdata,"",@progbits
; Kernel info:
; codeLenInByte = 4304
; NumSgprs: 20
; NumVgprs: 70
; ScratchSize: 0
; MemoryBound: 0
; FloatMode: 240
; IeeeMode: 1
; LDSByteSize: 2048 bytes/workgroup (compile time only)
; SGPRBlocks: 2
; VGPRBlocks: 8
; NumSGPRsForWavesPerEU: 20
; NumVGPRsForWavesPerEU: 70
; Occupancy: 16
; WaveLimiterHint : 1
; COMPUTE_PGM_RSRC2:SCRATCH_EN: 0
; COMPUTE_PGM_RSRC2:USER_SGPR: 15
; COMPUTE_PGM_RSRC2:TRAP_HANDLER: 0
; COMPUTE_PGM_RSRC2:TGID_X_EN: 1
; COMPUTE_PGM_RSRC2:TGID_Y_EN: 0
; COMPUTE_PGM_RSRC2:TGID_Z_EN: 0
; COMPUTE_PGM_RSRC2:TIDIG_COMP_CNT: 2
	.section	.text._ZN9rocsparseL19gebsrmvn_4xn_kernelILj128ELj7ELj64E21rocsparse_complex_numIdEEEvi20rocsparse_direction_NS_24const_host_device_scalarIT2_EEPKiS8_PKS5_SA_S6_PS5_21rocsparse_index_base_b,"axG",@progbits,_ZN9rocsparseL19gebsrmvn_4xn_kernelILj128ELj7ELj64E21rocsparse_complex_numIdEEEvi20rocsparse_direction_NS_24const_host_device_scalarIT2_EEPKiS8_PKS5_SA_S6_PS5_21rocsparse_index_base_b,comdat
	.globl	_ZN9rocsparseL19gebsrmvn_4xn_kernelILj128ELj7ELj64E21rocsparse_complex_numIdEEEvi20rocsparse_direction_NS_24const_host_device_scalarIT2_EEPKiS8_PKS5_SA_S6_PS5_21rocsparse_index_base_b ; -- Begin function _ZN9rocsparseL19gebsrmvn_4xn_kernelILj128ELj7ELj64E21rocsparse_complex_numIdEEEvi20rocsparse_direction_NS_24const_host_device_scalarIT2_EEPKiS8_PKS5_SA_S6_PS5_21rocsparse_index_base_b
	.p2align	8
	.type	_ZN9rocsparseL19gebsrmvn_4xn_kernelILj128ELj7ELj64E21rocsparse_complex_numIdEEEvi20rocsparse_direction_NS_24const_host_device_scalarIT2_EEPKiS8_PKS5_SA_S6_PS5_21rocsparse_index_base_b,@function
_ZN9rocsparseL19gebsrmvn_4xn_kernelILj128ELj7ELj64E21rocsparse_complex_numIdEEEvi20rocsparse_direction_NS_24const_host_device_scalarIT2_EEPKiS8_PKS5_SA_S6_PS5_21rocsparse_index_base_b: ; @_ZN9rocsparseL19gebsrmvn_4xn_kernelILj128ELj7ELj64E21rocsparse_complex_numIdEEEvi20rocsparse_direction_NS_24const_host_device_scalarIT2_EEPKiS8_PKS5_SA_S6_PS5_21rocsparse_index_base_b
; %bb.0:
	s_load_b64 s[12:13], s[2:3], 0x50
	s_load_b64 s[16:17], s[0:1], 0x4
	s_load_b128 s[8:11], s[2:3], 0x8
	v_bfe_u32 v1, v0, 10, 10
	s_mov_b64 s[0:1], src_shared_base
	s_load_b128 s[4:7], s[2:3], 0x38
	v_and_b32_e32 v12, 0x3ff, v0
	v_bfe_u32 v0, v0, 20, 10
	s_waitcnt lgkmcnt(0)
	s_bitcmp1_b32 s13, 0
	v_mul_u32_u24_e32 v1, s17, v1
	s_cselect_b32 s0, -1, 0
	s_delay_alu instid0(SALU_CYCLE_1)
	s_and_b32 vcc_lo, s0, exec_lo
	s_cselect_b32 s13, s1, s9
	s_lshr_b32 s14, s16, 16
	v_dual_mov_b32 v2, s4 :: v_dual_mov_b32 v3, s5
	s_mul_i32 s14, s14, s17
	v_mov_b32_e32 v6, s13
	v_mad_u32_u24 v1, s14, v12, v1
	s_delay_alu instid0(VALU_DEP_1) | instskip(SKIP_1) | instid1(VALU_DEP_2)
	v_add_lshl_u32 v4, v1, v0, 3
	v_dual_mov_b32 v0, s8 :: v_dual_mov_b32 v1, s9
	v_add_nc_u32_e32 v5, 0x400, v4
	ds_store_2addr_stride64_b64 v4, v[2:3], v[0:1] offset1:2
	v_dual_mov_b32 v2, s10 :: v_dual_mov_b32 v3, s11
	v_cndmask_b32_e64 v5, s8, v5, s0
	s_xor_b32 s10, s0, -1
	flat_load_b64 v[0:1], v[5:6]
	s_cbranch_vccnz .LBB140_2
; %bb.1:
	v_dual_mov_b32 v2, s8 :: v_dual_mov_b32 v3, s9
	flat_load_b64 v[2:3], v[2:3] offset:8
.LBB140_2:
	s_and_b32 s8, s0, exec_lo
	s_cselect_b32 s1, s1, s5
	v_cndmask_b32_e64 v4, s4, v4, s0
	v_dual_mov_b32 v5, s1 :: v_dual_mov_b32 v6, s6
	v_mov_b32_e32 v7, s7
	s_and_not1_b32 vcc_lo, exec_lo, s10
	flat_load_b64 v[4:5], v[4:5]
	s_cbranch_vccnz .LBB140_4
; %bb.3:
	v_dual_mov_b32 v7, s5 :: v_dual_mov_b32 v6, s4
	flat_load_b64 v[6:7], v[6:7] offset:8
.LBB140_4:
	s_waitcnt vmcnt(1) lgkmcnt(1)
	v_cmp_eq_f64_e32 vcc_lo, 0, v[0:1]
	v_cmp_eq_f64_e64 s0, 0, v[2:3]
	s_delay_alu instid0(VALU_DEP_1)
	s_and_b32 s4, vcc_lo, s0
	s_mov_b32 s0, -1
	s_and_saveexec_b32 s1, s4
	s_cbranch_execz .LBB140_6
; %bb.5:
	s_waitcnt vmcnt(0) lgkmcnt(0)
	v_cmp_neq_f64_e32 vcc_lo, 1.0, v[4:5]
	v_cmp_neq_f64_e64 s0, 0, v[6:7]
	s_delay_alu instid0(VALU_DEP_1) | instskip(NEXT) | instid1(SALU_CYCLE_1)
	s_or_b32 s0, vcc_lo, s0
	s_or_not1_b32 s0, s0, exec_lo
.LBB140_6:
	s_or_b32 exec_lo, exec_lo, s1
	s_and_saveexec_b32 s1, s0
	s_cbranch_execz .LBB140_33
; %bb.7:
	s_load_b64 s[0:1], s[2:3], 0x0
	v_lshrrev_b32_e32 v8, 6, v12
	s_delay_alu instid0(VALU_DEP_1) | instskip(SKIP_1) | instid1(VALU_DEP_1)
	v_lshl_or_b32 v8, s15, 1, v8
	s_waitcnt lgkmcnt(0)
	v_cmp_gt_i32_e32 vcc_lo, s0, v8
	s_and_b32 exec_lo, exec_lo, vcc_lo
	s_cbranch_execz .LBB140_33
; %bb.8:
	s_load_b256 s[4:11], s[2:3], 0x18
	v_ashrrev_i32_e32 v9, 31, v8
	v_and_b32_e32 v48, 63, v12
	s_cmp_lg_u32 s1, 0
	s_delay_alu instid0(VALU_DEP_2) | instskip(SKIP_1) | instid1(VALU_DEP_1)
	v_lshlrev_b64 v[9:10], 2, v[8:9]
	s_waitcnt lgkmcnt(0)
	v_add_co_u32 v9, vcc_lo, s4, v9
	s_delay_alu instid0(VALU_DEP_2) | instskip(SKIP_4) | instid1(VALU_DEP_2)
	v_add_co_ci_u32_e32 v10, vcc_lo, s5, v10, vcc_lo
	global_load_b64 v[10:11], v[9:10], off
	s_waitcnt vmcnt(0)
	v_subrev_nc_u32_e32 v9, s12, v10
	v_subrev_nc_u32_e32 v49, s12, v11
	v_add_nc_u32_e32 v9, v9, v48
	s_delay_alu instid0(VALU_DEP_1)
	v_cmp_lt_i32_e64 s0, v9, v49
	s_cbranch_scc0 .LBB140_16
; %bb.9:
	v_mov_b32_e32 v11, 0
	v_mov_b32_e32 v12, 0
	s_delay_alu instid0(VALU_DEP_1)
	v_dual_mov_b32 v14, v12 :: v_dual_mov_b32 v13, v11
	v_dual_mov_b32 v16, v12 :: v_dual_mov_b32 v15, v11
	;; [unrolled: 1-line block ×7, first 2 shown]
	s_and_saveexec_b32 s1, s0
	s_cbranch_execz .LBB140_18
; %bb.10:
	v_dual_mov_b32 v11, 0 :: v_dual_mov_b32 v28, 0
	v_dual_mov_b32 v12, 0 :: v_dual_mov_b32 v29, v9
	v_mul_lo_u32 v50, v9, 28
	s_mov_b32 s4, 0
	s_delay_alu instid0(VALU_DEP_2)
	v_dual_mov_b32 v14, v12 :: v_dual_mov_b32 v13, v11
	v_dual_mov_b32 v16, v12 :: v_dual_mov_b32 v15, v11
	;; [unrolled: 1-line block ×7, first 2 shown]
	s_branch .LBB140_12
.LBB140_11:                             ;   in Loop: Header=BB140_12 Depth=1
	v_add_nc_u32_e32 v29, 64, v29
	v_add_nc_u32_e32 v50, 0x700, v50
	s_delay_alu instid0(VALU_DEP_2) | instskip(SKIP_1) | instid1(SALU_CYCLE_1)
	v_cmp_ge_i32_e32 vcc_lo, v29, v49
	s_or_b32 s4, vcc_lo, s4
	s_and_not1_b32 exec_lo, exec_lo, s4
	s_cbranch_execz .LBB140_17
.LBB140_12:                             ; =>This Loop Header: Depth=1
                                        ;     Child Loop BB140_14 Depth 2
	v_ashrrev_i32_e32 v30, 31, v29
	v_mov_b32_e32 v41, v12
	v_mov_b32_e32 v45, v14
	;; [unrolled: 1-line block ×4, first 2 shown]
	v_lshlrev_b64 v[30:31], 2, v[29:30]
	v_mov_b32_e32 v43, v24
	v_dual_mov_b32 v39, v26 :: v_dual_mov_b32 v38, v25
	v_dual_mov_b32 v27, v50 :: v_dual_mov_b32 v40, v11
	s_delay_alu instid0(VALU_DEP_4)
	v_add_co_u32 v30, vcc_lo, s6, v30
	v_add_co_ci_u32_e32 v31, vcc_lo, s7, v31, vcc_lo
	v_mov_b32_e32 v44, v13
	v_mov_b32_e32 v32, v15
	s_mov_b32 s5, 0
	global_load_b32 v30, v[30:31], off
	v_mov_b32_e32 v36, v19
	v_mov_b32_e32 v42, v23
	s_waitcnt vmcnt(0)
	v_subrev_nc_u32_e32 v34, s12, v30
	v_dual_mov_b32 v31, v18 :: v_dual_mov_b32 v30, v17
	s_delay_alu instid0(VALU_DEP_2)
	v_mul_lo_u32 v51, v34, 7
	v_dual_mov_b32 v35, v22 :: v_dual_mov_b32 v34, v21
	s_branch .LBB140_14
.LBB140_13:                             ;   in Loop: Header=BB140_12 Depth=1
                                        ; implicit-def: $vgpr38_vgpr39
                                        ; implicit-def: $vgpr42_vgpr43
                                        ; implicit-def: $vgpr34_vgpr35
                                        ; implicit-def: $vgpr36_vgpr37
                                        ; implicit-def: $vgpr30_vgpr31
                                        ; implicit-def: $vgpr32_vgpr33
                                        ; implicit-def: $vgpr44_vgpr45
                                        ; implicit-def: $vgpr40_vgpr41
                                        ; implicit-def: $sgpr5
	s_branch .LBB140_11
.LBB140_14:                             ;   Parent Loop BB140_12 Depth=1
                                        ; =>  This Inner Loop Header: Depth=2
	s_delay_alu instid0(VALU_DEP_2) | instskip(SKIP_2) | instid1(VALU_DEP_2)
	v_dual_mov_b32 v47, v28 :: v_dual_add_nc_u32 v46, s5, v51
	v_lshlrev_b64 v[11:12], 4, v[27:28]
	s_cmp_eq_u32 s5, 6
	v_lshlrev_b64 v[13:14], 4, v[46:47]
	s_delay_alu instid0(VALU_DEP_2) | instskip(NEXT) | instid1(VALU_DEP_3)
	v_add_co_u32 v23, vcc_lo, s8, v11
	v_add_co_ci_u32_e32 v24, vcc_lo, s9, v12, vcc_lo
	s_delay_alu instid0(VALU_DEP_3) | instskip(NEXT) | instid1(VALU_DEP_4)
	v_add_co_u32 v15, vcc_lo, s10, v13
	v_add_co_ci_u32_e32 v16, vcc_lo, s11, v14, vcc_lo
	global_load_b128 v[11:14], v[23:24], off
	global_load_b128 v[15:18], v[15:16], off
	s_clause 0x2
	global_load_b128 v[19:22], v[23:24], off offset:16
	global_load_b128 v[52:55], v[23:24], off offset:32
	;; [unrolled: 1-line block ×3, first 2 shown]
	s_waitcnt vmcnt(3)
	v_fma_f64 v[23:24], v[11:12], v[15:16], v[44:45]
	v_fma_f64 v[25:26], v[13:14], v[15:16], v[40:41]
	s_waitcnt vmcnt(2)
	v_fma_f64 v[40:41], v[19:20], v[15:16], v[42:43]
	v_fma_f64 v[38:39], v[21:22], v[15:16], v[38:39]
	;; [unrolled: 3-line block ×4, first 2 shown]
	v_fma_f64 v[13:14], -v[13:14], v[17:18], v[23:24]
	v_fma_f64 v[11:12], v[11:12], v[17:18], v[25:26]
	v_fma_f64 v[23:24], -v[21:22], v[17:18], v[40:41]
	v_fma_f64 v[25:26], v[19:20], v[17:18], v[38:39]
	;; [unrolled: 2-line block ×4, first 2 shown]
	s_cbranch_scc1 .LBB140_13
; %bb.15:                               ;   in Loop: Header=BB140_14 Depth=2
	v_dual_mov_b32 v31, v28 :: v_dual_add_nc_u32 v30, 4, v27
	v_dual_mov_b32 v33, v28 :: v_dual_add_nc_u32 v32, 1, v46
	v_add_nc_u32_e32 v27, 8, v27
	s_delay_alu instid0(VALU_DEP_3) | instskip(SKIP_1) | instid1(VALU_DEP_3)
	v_lshlrev_b64 v[30:31], 4, v[30:31]
	s_add_i32 s5, s5, 2
	v_lshlrev_b64 v[32:33], 4, v[32:33]
	s_delay_alu instid0(VALU_DEP_2) | instskip(NEXT) | instid1(VALU_DEP_3)
	v_add_co_u32 v38, vcc_lo, s8, v30
	v_add_co_ci_u32_e32 v39, vcc_lo, s9, v31, vcc_lo
	s_delay_alu instid0(VALU_DEP_3) | instskip(NEXT) | instid1(VALU_DEP_4)
	v_add_co_u32 v34, vcc_lo, s10, v32
	v_add_co_ci_u32_e32 v35, vcc_lo, s11, v33, vcc_lo
	global_load_b128 v[30:33], v[38:39], off
	global_load_b128 v[44:47], v[34:35], off
	s_clause 0x2
	global_load_b128 v[34:37], v[38:39], off offset:16
	global_load_b128 v[52:55], v[38:39], off offset:32
	global_load_b128 v[56:59], v[38:39], off offset:48
	s_waitcnt vmcnt(3)
	v_fma_f64 v[38:39], v[30:31], v[44:45], v[13:14]
	v_fma_f64 v[40:41], v[32:33], v[44:45], v[11:12]
	s_waitcnt vmcnt(2)
	v_fma_f64 v[42:43], v[34:35], v[44:45], v[23:24]
	v_fma_f64 v[60:61], v[36:37], v[44:45], v[25:26]
	;; [unrolled: 3-line block ×4, first 2 shown]
	v_fma_f64 v[44:45], -v[32:33], v[46:47], v[38:39]
	v_fma_f64 v[40:41], v[30:31], v[46:47], v[40:41]
	v_fma_f64 v[42:43], -v[36:37], v[46:47], v[42:43]
	v_fma_f64 v[38:39], v[34:35], v[46:47], v[60:61]
	;; [unrolled: 2-line block ×4, first 2 shown]
	s_cbranch_execnz .LBB140_14
	s_branch .LBB140_11
.LBB140_16:
                                        ; implicit-def: $vgpr11_vgpr12
                                        ; implicit-def: $vgpr13_vgpr14
                                        ; implicit-def: $vgpr15_vgpr16
                                        ; implicit-def: $vgpr17_vgpr18
                                        ; implicit-def: $vgpr19_vgpr20
                                        ; implicit-def: $vgpr21_vgpr22
                                        ; implicit-def: $vgpr23_vgpr24
                                        ; implicit-def: $vgpr25_vgpr26
	s_branch .LBB140_19
.LBB140_17:
	s_or_b32 exec_lo, exec_lo, s4
.LBB140_18:
	s_delay_alu instid0(SALU_CYCLE_1)
	s_or_b32 exec_lo, exec_lo, s1
	s_cbranch_execnz .LBB140_28
.LBB140_19:
	v_mov_b32_e32 v11, 0
	v_mov_b32_e32 v12, 0
	s_delay_alu instid0(VALU_DEP_1)
	v_dual_mov_b32 v14, v12 :: v_dual_mov_b32 v13, v11
	v_dual_mov_b32 v16, v12 :: v_dual_mov_b32 v15, v11
	;; [unrolled: 1-line block ×7, first 2 shown]
	s_and_saveexec_b32 s1, s0
	s_cbranch_execz .LBB140_27
; %bb.20:
	v_mul_lo_u32 v10, v10, 28
	v_dual_mov_b32 v11, 0 :: v_dual_mov_b32 v28, 0
	v_mov_b32_e32 v12, 0
	v_mul_lo_u32 v45, v9, 28
	s_mul_i32 s0, s12, 28
	s_delay_alu instid0(VALU_DEP_2)
	v_dual_mov_b32 v14, v12 :: v_dual_mov_b32 v13, v11
	v_mad_u32_u24 v10, v48, 28, v10
	v_dual_mov_b32 v16, v12 :: v_dual_mov_b32 v15, v11
	v_dual_mov_b32 v18, v12 :: v_dual_mov_b32 v17, v11
	;; [unrolled: 1-line block ×5, first 2 shown]
	v_subrev_nc_u32_e32 v46, s0, v10
	v_dual_mov_b32 v26, v12 :: v_dual_mov_b32 v25, v11
	s_mov_b32 s0, 0
	s_branch .LBB140_22
.LBB140_21:                             ;   in Loop: Header=BB140_22 Depth=1
	v_add_nc_u32_e32 v9, 64, v9
	v_add_nc_u32_e32 v45, 0x700, v45
	;; [unrolled: 1-line block ×3, first 2 shown]
	s_delay_alu instid0(VALU_DEP_3) | instskip(SKIP_1) | instid1(SALU_CYCLE_1)
	v_cmp_ge_i32_e32 vcc_lo, v9, v49
	s_or_b32 s0, vcc_lo, s0
	s_and_not1_b32 exec_lo, exec_lo, s0
	s_cbranch_execz .LBB140_26
.LBB140_22:                             ; =>This Loop Header: Depth=1
                                        ;     Child Loop BB140_24 Depth 2
	v_ashrrev_i32_e32 v10, 31, v9
	v_dual_mov_b32 v34, v12 :: v_dual_mov_b32 v33, v11
	v_dual_mov_b32 v36, v14 :: v_dual_mov_b32 v35, v13
	s_delay_alu instid0(VALU_DEP_3) | instskip(SKIP_3) | instid1(VALU_DEP_4)
	v_lshlrev_b64 v[29:30], 2, v[9:10]
	v_dual_mov_b32 v32, v16 :: v_dual_mov_b32 v31, v15
	v_dual_mov_b32 v38, v20 :: v_dual_mov_b32 v37, v19
	;; [unrolled: 1-line block ×3, first 2 shown]
	v_add_co_u32 v29, vcc_lo, s6, v29
	v_add_co_ci_u32_e32 v30, vcc_lo, s7, v30, vcc_lo
	v_dual_mov_b32 v42, v24 :: v_dual_mov_b32 v41, v23
	v_dual_mov_b32 v44, v26 :: v_dual_mov_b32 v43, v25
	global_load_b32 v10, v[29:30], off
	v_dual_mov_b32 v30, v18 :: v_dual_mov_b32 v29, v17
	s_mov_b32 s4, 0
	s_waitcnt vmcnt(0)
	v_subrev_nc_u32_e32 v10, s12, v10
	s_delay_alu instid0(VALU_DEP_1)
	v_mul_lo_u32 v10, v10, 7
	s_branch .LBB140_24
.LBB140_23:                             ;   in Loop: Header=BB140_22 Depth=1
                                        ; implicit-def: $vgpr43_vgpr44
                                        ; implicit-def: $vgpr41_vgpr42
                                        ; implicit-def: $vgpr39_vgpr40
                                        ; implicit-def: $vgpr37_vgpr38
                                        ; implicit-def: $vgpr29_vgpr30
                                        ; implicit-def: $vgpr31_vgpr32
                                        ; implicit-def: $vgpr35_vgpr36
                                        ; implicit-def: $vgpr33_vgpr34
                                        ; implicit-def: $sgpr4
	s_branch .LBB140_21
.LBB140_24:                             ;   Parent Loop BB140_22 Depth=1
                                        ; =>  This Inner Loop Header: Depth=2
	v_dual_mov_b32 v14, v28 :: v_dual_add_nc_u32 v27, s4, v46
	v_dual_mov_b32 v16, v28 :: v_dual_add_nc_u32 v47, s4, v45
	s_cmp_eq_u32 s4, 6
	s_delay_alu instid0(VALU_DEP_2) | instskip(NEXT) | instid1(VALU_DEP_4)
	v_lshlrev_b64 v[11:12], 4, v[27:28]
	v_dual_mov_b32 v20, v28 :: v_dual_add_nc_u32 v27, s4, v10
	s_delay_alu instid0(VALU_DEP_3) | instskip(SKIP_2) | instid1(VALU_DEP_4)
	v_add_nc_u32_e32 v13, 7, v47
	v_add_nc_u32_e32 v15, 14, v47
	;; [unrolled: 1-line block ×3, first 2 shown]
	v_lshlrev_b64 v[17:18], 4, v[27:28]
	v_add_co_u32 v11, vcc_lo, s8, v11
	v_lshlrev_b64 v[21:22], 4, v[13:14]
	v_add_co_ci_u32_e32 v12, vcc_lo, s9, v12, vcc_lo
	s_delay_alu instid0(VALU_DEP_4)
	v_add_co_u32 v17, vcc_lo, s10, v17
	v_lshlrev_b64 v[23:24], 4, v[15:16]
	v_add_co_ci_u32_e32 v18, vcc_lo, s11, v18, vcc_lo
	v_add_co_u32 v21, vcc_lo, s8, v21
	v_lshlrev_b64 v[19:20], 4, v[19:20]
	v_add_co_ci_u32_e32 v22, vcc_lo, s9, v22, vcc_lo
	v_add_co_u32 v23, vcc_lo, s8, v23
	v_add_co_ci_u32_e32 v24, vcc_lo, s9, v24, vcc_lo
	s_delay_alu instid0(VALU_DEP_4)
	v_add_co_u32 v25, vcc_lo, s8, v19
	v_add_co_ci_u32_e32 v26, vcc_lo, s9, v20, vcc_lo
	global_load_b128 v[11:14], v[11:12], off
	global_load_b128 v[15:18], v[17:18], off
	s_clause 0x2
	global_load_b128 v[19:22], v[21:22], off
	global_load_b128 v[50:53], v[23:24], off
	;; [unrolled: 1-line block ×3, first 2 shown]
	s_waitcnt vmcnt(3)
	v_fma_f64 v[23:24], v[11:12], v[15:16], v[35:36]
	v_fma_f64 v[25:26], v[13:14], v[15:16], v[33:34]
	s_waitcnt vmcnt(2)
	v_fma_f64 v[33:34], v[19:20], v[15:16], v[41:42]
	v_fma_f64 v[35:36], v[21:22], v[15:16], v[43:44]
	;; [unrolled: 3-line block ×4, first 2 shown]
	v_fma_f64 v[13:14], -v[13:14], v[17:18], v[23:24]
	v_fma_f64 v[11:12], v[11:12], v[17:18], v[25:26]
	v_fma_f64 v[23:24], -v[21:22], v[17:18], v[33:34]
	v_fma_f64 v[25:26], v[19:20], v[17:18], v[35:36]
	;; [unrolled: 2-line block ×4, first 2 shown]
	s_cbranch_scc1 .LBB140_23
; %bb.25:                               ;   in Loop: Header=BB140_24 Depth=2
	v_dual_mov_b32 v30, v28 :: v_dual_add_nc_u32 v29, 1, v47
	v_add_nc_u32_e32 v27, 1, v27
	s_add_i32 s4, s4, 2
	s_delay_alu instid0(VALU_DEP_2) | instskip(NEXT) | instid1(VALU_DEP_2)
	v_lshlrev_b64 v[29:30], 4, v[29:30]
	v_lshlrev_b64 v[31:32], 4, v[27:28]
	v_add_nc_u32_e32 v27, 8, v47
	s_delay_alu instid0(VALU_DEP_3) | instskip(NEXT) | instid1(VALU_DEP_4)
	v_add_co_u32 v29, vcc_lo, s8, v29
	v_add_co_ci_u32_e32 v30, vcc_lo, s9, v30, vcc_lo
	s_delay_alu instid0(VALU_DEP_4) | instskip(NEXT) | instid1(VALU_DEP_4)
	v_add_co_u32 v33, vcc_lo, s10, v31
	v_lshlrev_b64 v[35:36], 4, v[27:28]
	v_add_nc_u32_e32 v27, 15, v47
	v_add_co_ci_u32_e32 v34, vcc_lo, s11, v32, vcc_lo
	global_load_b128 v[29:32], v[29:30], off
	global_load_b128 v[50:53], v[33:34], off
	v_lshlrev_b64 v[33:34], 4, v[27:28]
	v_add_nc_u32_e32 v27, 22, v47
	v_add_co_u32 v35, vcc_lo, s8, v35
	v_add_co_ci_u32_e32 v36, vcc_lo, s9, v36, vcc_lo
	s_delay_alu instid0(VALU_DEP_3) | instskip(SKIP_2) | instid1(VALU_DEP_3)
	v_lshlrev_b64 v[37:38], 4, v[27:28]
	v_add_co_u32 v33, vcc_lo, s8, v33
	v_add_co_ci_u32_e32 v34, vcc_lo, s9, v34, vcc_lo
	v_add_co_u32 v41, vcc_lo, s8, v37
	s_delay_alu instid0(VALU_DEP_4)
	v_add_co_ci_u32_e32 v42, vcc_lo, s9, v38, vcc_lo
	s_clause 0x2
	global_load_b128 v[37:40], v[35:36], off
	global_load_b128 v[54:57], v[33:34], off
	;; [unrolled: 1-line block ×3, first 2 shown]
	s_waitcnt vmcnt(3)
	v_fma_f64 v[33:34], v[29:30], v[50:51], v[13:14]
	v_fma_f64 v[41:42], v[31:32], v[50:51], v[11:12]
	s_waitcnt vmcnt(2)
	v_fma_f64 v[43:44], v[37:38], v[50:51], v[23:24]
	v_fma_f64 v[62:63], v[39:40], v[50:51], v[25:26]
	;; [unrolled: 3-line block ×4, first 2 shown]
	v_fma_f64 v[35:36], -v[31:32], v[52:53], v[33:34]
	v_fma_f64 v[33:34], v[29:30], v[52:53], v[41:42]
	v_fma_f64 v[41:42], -v[39:40], v[52:53], v[43:44]
	v_fma_f64 v[43:44], v[37:38], v[52:53], v[62:63]
	;; [unrolled: 2-line block ×4, first 2 shown]
	s_cbranch_execnz .LBB140_24
	s_branch .LBB140_21
.LBB140_26:
	s_or_b32 exec_lo, exec_lo, s0
.LBB140_27:
	s_delay_alu instid0(SALU_CYCLE_1)
	s_or_b32 exec_lo, exec_lo, s1
.LBB140_28:
	v_mbcnt_lo_u32_b32 v41, -1, 0
	s_delay_alu instid0(VALU_DEP_1) | instskip(NEXT) | instid1(VALU_DEP_1)
	v_or_b32_e32 v9, 32, v41
	v_cmp_gt_i32_e32 vcc_lo, 32, v9
	v_cndmask_b32_e32 v9, v41, v9, vcc_lo
	s_delay_alu instid0(VALU_DEP_1)
	v_lshlrev_b32_e32 v40, 2, v9
	ds_bpermute_b32 v9, v40, v13
	ds_bpermute_b32 v10, v40, v14
	;; [unrolled: 1-line block ×16, first 2 shown]
	s_waitcnt lgkmcnt(14)
	v_add_f64 v[9:10], v[13:14], v[9:10]
	s_waitcnt lgkmcnt(12)
	v_add_f64 v[11:12], v[11:12], v[27:28]
	;; [unrolled: 2-line block ×4, first 2 shown]
	v_xor_b32_e32 v25, 16, v41
	s_waitcnt lgkmcnt(6)
	v_add_f64 v[19:20], v[19:20], v[33:34]
	s_waitcnt lgkmcnt(4)
	v_add_f64 v[21:22], v[21:22], v[35:36]
	;; [unrolled: 2-line block ×3, first 2 shown]
	v_cmp_gt_i32_e32 vcc_lo, 32, v25
	s_waitcnt lgkmcnt(0)
	v_add_f64 v[17:18], v[17:18], v[39:40]
	v_cndmask_b32_e32 v25, v41, v25, vcc_lo
	s_delay_alu instid0(VALU_DEP_1)
	v_lshlrev_b32_e32 v40, 2, v25
	ds_bpermute_b32 v25, v40, v9
	ds_bpermute_b32 v26, v40, v10
	;; [unrolled: 1-line block ×16, first 2 shown]
	s_waitcnt lgkmcnt(14)
	v_add_f64 v[9:10], v[9:10], v[25:26]
	v_xor_b32_e32 v25, 8, v41
	s_waitcnt lgkmcnt(12)
	v_add_f64 v[11:12], v[11:12], v[27:28]
	s_waitcnt lgkmcnt(10)
	v_add_f64 v[13:14], v[13:14], v[29:30]
	;; [unrolled: 2-line block ×3, first 2 shown]
	v_cmp_gt_i32_e32 vcc_lo, 32, v25
	s_waitcnt lgkmcnt(6)
	v_add_f64 v[19:20], v[19:20], v[33:34]
	s_waitcnt lgkmcnt(4)
	v_add_f64 v[21:22], v[21:22], v[35:36]
	;; [unrolled: 2-line block ×3, first 2 shown]
	v_cndmask_b32_e32 v25, v41, v25, vcc_lo
	s_waitcnt lgkmcnt(0)
	v_add_f64 v[17:18], v[17:18], v[39:40]
	s_delay_alu instid0(VALU_DEP_2)
	v_lshlrev_b32_e32 v40, 2, v25
	ds_bpermute_b32 v25, v40, v9
	ds_bpermute_b32 v26, v40, v10
	;; [unrolled: 1-line block ×16, first 2 shown]
	s_waitcnt lgkmcnt(14)
	v_add_f64 v[9:10], v[9:10], v[25:26]
	v_xor_b32_e32 v25, 4, v41
	s_waitcnt lgkmcnt(12)
	v_add_f64 v[11:12], v[11:12], v[27:28]
	s_waitcnt lgkmcnt(10)
	v_add_f64 v[13:14], v[13:14], v[29:30]
	s_waitcnt lgkmcnt(8)
	v_add_f64 v[23:24], v[23:24], v[31:32]
	v_cmp_gt_i32_e32 vcc_lo, 32, v25
	s_waitcnt lgkmcnt(6)
	v_add_f64 v[19:20], v[19:20], v[33:34]
	s_waitcnt lgkmcnt(4)
	v_add_f64 v[21:22], v[21:22], v[35:36]
	s_waitcnt lgkmcnt(2)
	v_add_f64 v[15:16], v[15:16], v[37:38]
	v_cndmask_b32_e32 v25, v41, v25, vcc_lo
	s_waitcnt lgkmcnt(0)
	v_add_f64 v[17:18], v[17:18], v[39:40]
	s_delay_alu instid0(VALU_DEP_2)
	v_lshlrev_b32_e32 v40, 2, v25
	ds_bpermute_b32 v25, v40, v9
	ds_bpermute_b32 v26, v40, v10
	;; [unrolled: 1-line block ×16, first 2 shown]
	s_waitcnt lgkmcnt(14)
	v_add_f64 v[9:10], v[9:10], v[25:26]
	s_waitcnt lgkmcnt(12)
	v_add_f64 v[11:12], v[11:12], v[27:28]
	;; [unrolled: 2-line block ×6, first 2 shown]
	v_xor_b32_e32 v21, 2, v41
	s_waitcnt lgkmcnt(2)
	v_add_f64 v[15:16], v[15:16], v[37:38]
	s_waitcnt lgkmcnt(0)
	v_add_f64 v[17:18], v[17:18], v[39:40]
	v_cmp_gt_i32_e32 vcc_lo, 32, v21
	v_cndmask_b32_e32 v21, v41, v21, vcc_lo
	s_delay_alu instid0(VALU_DEP_1)
	v_lshlrev_b32_e32 v40, 2, v21
	ds_bpermute_b32 v21, v40, v9
	ds_bpermute_b32 v22, v40, v10
	;; [unrolled: 1-line block ×16, first 2 shown]
	s_waitcnt lgkmcnt(14)
	v_add_f64 v[9:10], v[9:10], v[21:22]
	s_waitcnt lgkmcnt(12)
	v_add_f64 v[23:24], v[11:12], v[23:24]
	;; [unrolled: 2-line block ×4, first 2 shown]
	v_xor_b32_e32 v25, 1, v41
	s_waitcnt lgkmcnt(6)
	v_add_f64 v[13:14], v[19:20], v[33:34]
	s_waitcnt lgkmcnt(4)
	v_add_f64 v[19:20], v[27:28], v[35:36]
	;; [unrolled: 2-line block ×3, first 2 shown]
	v_cmp_gt_i32_e32 vcc_lo, 32, v25
	s_waitcnt lgkmcnt(0)
	v_add_f64 v[17:18], v[17:18], v[39:40]
	v_cndmask_b32_e32 v25, v41, v25, vcc_lo
	v_cmp_eq_u32_e32 vcc_lo, 63, v48
	s_delay_alu instid0(VALU_DEP_2)
	v_lshlrev_b32_e32 v28, 2, v25
	ds_bpermute_b32 v39, v28, v9
	ds_bpermute_b32 v40, v28, v10
	;; [unrolled: 1-line block ×16, first 2 shown]
	s_and_b32 exec_lo, exec_lo, vcc_lo
	s_cbranch_execz .LBB140_33
; %bb.29:
	v_cmp_eq_f64_e32 vcc_lo, 0, v[4:5]
	v_cmp_eq_f64_e64 s0, 0, v[6:7]
	s_waitcnt lgkmcnt(14)
	v_add_f64 v[9:10], v[9:10], v[39:40]
	s_waitcnt lgkmcnt(12)
	v_add_f64 v[23:24], v[23:24], v[37:38]
	;; [unrolled: 2-line block ×8, first 2 shown]
	s_load_b64 s[2:3], s[2:3], 0x48
	s_and_b32 s0, vcc_lo, s0
	s_delay_alu instid0(SALU_CYCLE_1) | instskip(NEXT) | instid1(SALU_CYCLE_1)
	s_and_saveexec_b32 s1, s0
	s_xor_b32 s0, exec_lo, s1
	s_cbranch_execz .LBB140_31
; %bb.30:
	v_mul_f64 v[4:5], v[23:24], -v[2:3]
	v_mul_f64 v[6:7], v[0:1], v[23:24]
	v_mul_f64 v[23:24], v[21:22], -v[2:3]
	v_mul_f64 v[21:22], v[0:1], v[21:22]
	;; [unrolled: 2-line block ×4, first 2 shown]
	v_fma_f64 v[4:5], v[0:1], v[9:10], v[4:5]
	v_fma_f64 v[6:7], v[2:3], v[9:10], v[6:7]
	;; [unrolled: 1-line block ×8, first 2 shown]
	v_lshlrev_b32_e32 v13, 2, v8
                                        ; implicit-def: $vgpr8
                                        ; implicit-def: $vgpr23_vgpr24
                                        ; implicit-def: $vgpr21_vgpr22
                                        ; implicit-def: $vgpr15_vgpr16
	s_delay_alu instid0(VALU_DEP_1) | instskip(NEXT) | instid1(VALU_DEP_1)
	v_ashrrev_i32_e32 v14, 31, v13
	v_lshlrev_b64 v[13:14], 4, v[13:14]
	s_waitcnt lgkmcnt(0)
	s_delay_alu instid0(VALU_DEP_1) | instskip(NEXT) | instid1(VALU_DEP_2)
	v_add_co_u32 v13, vcc_lo, s2, v13
	v_add_co_ci_u32_e32 v14, vcc_lo, s3, v14, vcc_lo
	s_clause 0x3
	global_store_b128 v[13:14], v[4:7], off
	global_store_b128 v[13:14], v[9:12], off offset:16
	global_store_b128 v[13:14], v[17:20], off offset:32
	;; [unrolled: 1-line block ×3, first 2 shown]
                                        ; implicit-def: $vgpr0_vgpr1
                                        ; implicit-def: $vgpr2_vgpr3
                                        ; implicit-def: $vgpr4_vgpr5
                                        ; implicit-def: $vgpr6_vgpr7
                                        ; implicit-def: $vgpr9_vgpr10
                                        ; implicit-def: $vgpr11_vgpr12
                                        ; implicit-def: $vgpr13_vgpr14
                                        ; implicit-def: $vgpr19_vgpr20
                                        ; implicit-def: $vgpr17_vgpr18
.LBB140_31:
	s_and_not1_saveexec_b32 s0, s0
	s_cbranch_execz .LBB140_33
; %bb.32:
	v_lshlrev_b32_e32 v25, 2, v8
	v_mul_f64 v[43:44], v[23:24], -v[2:3]
	v_mul_f64 v[23:24], v[0:1], v[23:24]
	v_mul_f64 v[45:46], v[21:22], -v[2:3]
	v_mul_f64 v[21:22], v[0:1], v[21:22]
	v_ashrrev_i32_e32 v26, 31, v25
	v_mul_f64 v[47:48], v[19:20], -v[2:3]
	v_mul_f64 v[19:20], v[0:1], v[19:20]
	v_mul_f64 v[49:50], v[17:18], -v[2:3]
	v_mul_f64 v[17:18], v[0:1], v[17:18]
	v_lshlrev_b64 v[25:26], 4, v[25:26]
	s_waitcnt lgkmcnt(0)
	s_delay_alu instid0(VALU_DEP_1) | instskip(NEXT) | instid1(VALU_DEP_2)
	v_add_co_u32 v41, vcc_lo, s2, v25
	v_add_co_ci_u32_e32 v42, vcc_lo, s3, v26, vcc_lo
	s_clause 0x3
	global_load_b128 v[25:28], v[41:42], off
	global_load_b128 v[29:32], v[41:42], off offset:16
	global_load_b128 v[33:36], v[41:42], off offset:32
	;; [unrolled: 1-line block ×3, first 2 shown]
	v_fma_f64 v[43:44], v[0:1], v[9:10], v[43:44]
	v_fma_f64 v[8:9], v[2:3], v[9:10], v[23:24]
	;; [unrolled: 1-line block ×8, first 2 shown]
	s_waitcnt vmcnt(3)
	v_fma_f64 v[14:15], v[4:5], v[25:26], v[43:44]
	v_fma_f64 v[8:9], v[6:7], v[25:26], v[8:9]
	s_waitcnt vmcnt(2)
	v_fma_f64 v[16:17], v[4:5], v[29:30], v[23:24]
	v_fma_f64 v[10:11], v[6:7], v[29:30], v[10:11]
	;; [unrolled: 3-line block ×4, first 2 shown]
	v_fma_f64 v[0:1], -v[6:7], v[27:28], v[14:15]
	v_fma_f64 v[2:3], v[4:5], v[27:28], v[8:9]
	v_fma_f64 v[8:9], -v[6:7], v[31:32], v[16:17]
	v_fma_f64 v[10:11], v[4:5], v[31:32], v[10:11]
	;; [unrolled: 2-line block ×4, first 2 shown]
	s_clause 0x3
	global_store_b128 v[41:42], v[0:3], off
	global_store_b128 v[41:42], v[8:11], off offset:16
	global_store_b128 v[41:42], v[12:15], off offset:32
	;; [unrolled: 1-line block ×3, first 2 shown]
.LBB140_33:
	s_nop 0
	s_sendmsg sendmsg(MSG_DEALLOC_VGPRS)
	s_endpgm
	.section	.rodata,"a",@progbits
	.p2align	6, 0x0
	.amdhsa_kernel _ZN9rocsparseL19gebsrmvn_4xn_kernelILj128ELj7ELj64E21rocsparse_complex_numIdEEEvi20rocsparse_direction_NS_24const_host_device_scalarIT2_EEPKiS8_PKS5_SA_S6_PS5_21rocsparse_index_base_b
		.amdhsa_group_segment_fixed_size 2048
		.amdhsa_private_segment_fixed_size 0
		.amdhsa_kernarg_size 88
		.amdhsa_user_sgpr_count 15
		.amdhsa_user_sgpr_dispatch_ptr 1
		.amdhsa_user_sgpr_queue_ptr 0
		.amdhsa_user_sgpr_kernarg_segment_ptr 1
		.amdhsa_user_sgpr_dispatch_id 0
		.amdhsa_user_sgpr_private_segment_size 0
		.amdhsa_wavefront_size32 1
		.amdhsa_uses_dynamic_stack 0
		.amdhsa_enable_private_segment 0
		.amdhsa_system_sgpr_workgroup_id_x 1
		.amdhsa_system_sgpr_workgroup_id_y 0
		.amdhsa_system_sgpr_workgroup_id_z 0
		.amdhsa_system_sgpr_workgroup_info 0
		.amdhsa_system_vgpr_workitem_id 2
		.amdhsa_next_free_vgpr 70
		.amdhsa_next_free_sgpr 18
		.amdhsa_reserve_vcc 1
		.amdhsa_float_round_mode_32 0
		.amdhsa_float_round_mode_16_64 0
		.amdhsa_float_denorm_mode_32 3
		.amdhsa_float_denorm_mode_16_64 3
		.amdhsa_dx10_clamp 1
		.amdhsa_ieee_mode 1
		.amdhsa_fp16_overflow 0
		.amdhsa_workgroup_processor_mode 1
		.amdhsa_memory_ordered 1
		.amdhsa_forward_progress 0
		.amdhsa_shared_vgpr_count 0
		.amdhsa_exception_fp_ieee_invalid_op 0
		.amdhsa_exception_fp_denorm_src 0
		.amdhsa_exception_fp_ieee_div_zero 0
		.amdhsa_exception_fp_ieee_overflow 0
		.amdhsa_exception_fp_ieee_underflow 0
		.amdhsa_exception_fp_ieee_inexact 0
		.amdhsa_exception_int_div_zero 0
	.end_amdhsa_kernel
	.section	.text._ZN9rocsparseL19gebsrmvn_4xn_kernelILj128ELj7ELj64E21rocsparse_complex_numIdEEEvi20rocsparse_direction_NS_24const_host_device_scalarIT2_EEPKiS8_PKS5_SA_S6_PS5_21rocsparse_index_base_b,"axG",@progbits,_ZN9rocsparseL19gebsrmvn_4xn_kernelILj128ELj7ELj64E21rocsparse_complex_numIdEEEvi20rocsparse_direction_NS_24const_host_device_scalarIT2_EEPKiS8_PKS5_SA_S6_PS5_21rocsparse_index_base_b,comdat
.Lfunc_end140:
	.size	_ZN9rocsparseL19gebsrmvn_4xn_kernelILj128ELj7ELj64E21rocsparse_complex_numIdEEEvi20rocsparse_direction_NS_24const_host_device_scalarIT2_EEPKiS8_PKS5_SA_S6_PS5_21rocsparse_index_base_b, .Lfunc_end140-_ZN9rocsparseL19gebsrmvn_4xn_kernelILj128ELj7ELj64E21rocsparse_complex_numIdEEEvi20rocsparse_direction_NS_24const_host_device_scalarIT2_EEPKiS8_PKS5_SA_S6_PS5_21rocsparse_index_base_b
                                        ; -- End function
	.section	.AMDGPU.csdata,"",@progbits
; Kernel info:
; codeLenInByte = 4548
; NumSgprs: 20
; NumVgprs: 70
; ScratchSize: 0
; MemoryBound: 0
; FloatMode: 240
; IeeeMode: 1
; LDSByteSize: 2048 bytes/workgroup (compile time only)
; SGPRBlocks: 2
; VGPRBlocks: 8
; NumSGPRsForWavesPerEU: 20
; NumVGPRsForWavesPerEU: 70
; Occupancy: 16
; WaveLimiterHint : 1
; COMPUTE_PGM_RSRC2:SCRATCH_EN: 0
; COMPUTE_PGM_RSRC2:USER_SGPR: 15
; COMPUTE_PGM_RSRC2:TRAP_HANDLER: 0
; COMPUTE_PGM_RSRC2:TGID_X_EN: 1
; COMPUTE_PGM_RSRC2:TGID_Y_EN: 0
; COMPUTE_PGM_RSRC2:TGID_Z_EN: 0
; COMPUTE_PGM_RSRC2:TIDIG_COMP_CNT: 2
	.section	.text._ZN9rocsparseL19gebsrmvn_4xn_kernelILj128ELj8ELj4E21rocsparse_complex_numIdEEEvi20rocsparse_direction_NS_24const_host_device_scalarIT2_EEPKiS8_PKS5_SA_S6_PS5_21rocsparse_index_base_b,"axG",@progbits,_ZN9rocsparseL19gebsrmvn_4xn_kernelILj128ELj8ELj4E21rocsparse_complex_numIdEEEvi20rocsparse_direction_NS_24const_host_device_scalarIT2_EEPKiS8_PKS5_SA_S6_PS5_21rocsparse_index_base_b,comdat
	.globl	_ZN9rocsparseL19gebsrmvn_4xn_kernelILj128ELj8ELj4E21rocsparse_complex_numIdEEEvi20rocsparse_direction_NS_24const_host_device_scalarIT2_EEPKiS8_PKS5_SA_S6_PS5_21rocsparse_index_base_b ; -- Begin function _ZN9rocsparseL19gebsrmvn_4xn_kernelILj128ELj8ELj4E21rocsparse_complex_numIdEEEvi20rocsparse_direction_NS_24const_host_device_scalarIT2_EEPKiS8_PKS5_SA_S6_PS5_21rocsparse_index_base_b
	.p2align	8
	.type	_ZN9rocsparseL19gebsrmvn_4xn_kernelILj128ELj8ELj4E21rocsparse_complex_numIdEEEvi20rocsparse_direction_NS_24const_host_device_scalarIT2_EEPKiS8_PKS5_SA_S6_PS5_21rocsparse_index_base_b,@function
_ZN9rocsparseL19gebsrmvn_4xn_kernelILj128ELj8ELj4E21rocsparse_complex_numIdEEEvi20rocsparse_direction_NS_24const_host_device_scalarIT2_EEPKiS8_PKS5_SA_S6_PS5_21rocsparse_index_base_b: ; @_ZN9rocsparseL19gebsrmvn_4xn_kernelILj128ELj8ELj4E21rocsparse_complex_numIdEEEvi20rocsparse_direction_NS_24const_host_device_scalarIT2_EEPKiS8_PKS5_SA_S6_PS5_21rocsparse_index_base_b
; %bb.0:
	s_load_b64 s[12:13], s[2:3], 0x50
	s_load_b64 s[16:17], s[0:1], 0x4
	s_load_b128 s[8:11], s[2:3], 0x8
	v_bfe_u32 v1, v0, 10, 10
	s_mov_b64 s[0:1], src_shared_base
	s_load_b128 s[4:7], s[2:3], 0x38
	v_and_b32_e32 v10, 0x3ff, v0
	v_bfe_u32 v0, v0, 20, 10
	s_waitcnt lgkmcnt(0)
	s_bitcmp1_b32 s13, 0
	v_mul_u32_u24_e32 v1, s17, v1
	s_cselect_b32 s0, -1, 0
	s_delay_alu instid0(SALU_CYCLE_1)
	s_and_b32 vcc_lo, s0, exec_lo
	s_cselect_b32 s13, s1, s9
	s_lshr_b32 s14, s16, 16
	v_dual_mov_b32 v2, s4 :: v_dual_mov_b32 v3, s5
	s_mul_i32 s14, s14, s17
	v_mov_b32_e32 v6, s13
	v_mad_u32_u24 v1, s14, v10, v1
	s_delay_alu instid0(VALU_DEP_1) | instskip(SKIP_1) | instid1(VALU_DEP_2)
	v_add_lshl_u32 v4, v1, v0, 3
	v_dual_mov_b32 v0, s8 :: v_dual_mov_b32 v1, s9
	v_add_nc_u32_e32 v5, 0x400, v4
	ds_store_2addr_stride64_b64 v4, v[2:3], v[0:1] offset1:2
	v_dual_mov_b32 v2, s10 :: v_dual_mov_b32 v3, s11
	v_cndmask_b32_e64 v5, s8, v5, s0
	s_xor_b32 s10, s0, -1
	flat_load_b64 v[0:1], v[5:6]
	s_cbranch_vccnz .LBB141_2
; %bb.1:
	v_dual_mov_b32 v2, s8 :: v_dual_mov_b32 v3, s9
	flat_load_b64 v[2:3], v[2:3] offset:8
.LBB141_2:
	s_and_b32 s8, s0, exec_lo
	s_cselect_b32 s1, s1, s5
	v_cndmask_b32_e64 v4, s4, v4, s0
	v_dual_mov_b32 v5, s1 :: v_dual_mov_b32 v6, s6
	v_mov_b32_e32 v7, s7
	s_and_not1_b32 vcc_lo, exec_lo, s10
	flat_load_b64 v[4:5], v[4:5]
	s_cbranch_vccnz .LBB141_4
; %bb.3:
	v_dual_mov_b32 v7, s5 :: v_dual_mov_b32 v6, s4
	flat_load_b64 v[6:7], v[6:7] offset:8
.LBB141_4:
	s_waitcnt vmcnt(1) lgkmcnt(1)
	v_cmp_eq_f64_e32 vcc_lo, 0, v[0:1]
	v_cmp_eq_f64_e64 s0, 0, v[2:3]
	s_delay_alu instid0(VALU_DEP_1)
	s_and_b32 s4, vcc_lo, s0
	s_mov_b32 s0, -1
	s_and_saveexec_b32 s1, s4
	s_cbranch_execz .LBB141_6
; %bb.5:
	s_waitcnt vmcnt(0) lgkmcnt(0)
	v_cmp_neq_f64_e32 vcc_lo, 1.0, v[4:5]
	v_cmp_neq_f64_e64 s0, 0, v[6:7]
	s_delay_alu instid0(VALU_DEP_1) | instskip(NEXT) | instid1(SALU_CYCLE_1)
	s_or_b32 s0, vcc_lo, s0
	s_or_not1_b32 s0, s0, exec_lo
.LBB141_6:
	s_or_b32 exec_lo, exec_lo, s1
	s_and_saveexec_b32 s1, s0
	s_cbranch_execz .LBB141_29
; %bb.7:
	s_load_b64 s[0:1], s[2:3], 0x0
	v_lshrrev_b32_e32 v8, 2, v10
	s_delay_alu instid0(VALU_DEP_1) | instskip(SKIP_1) | instid1(VALU_DEP_1)
	v_lshl_or_b32 v8, s15, 5, v8
	s_waitcnt lgkmcnt(0)
	v_cmp_gt_i32_e32 vcc_lo, s0, v8
	s_and_b32 exec_lo, exec_lo, vcc_lo
	s_cbranch_execz .LBB141_29
; %bb.8:
	s_load_b256 s[4:11], s[2:3], 0x18
	v_ashrrev_i32_e32 v9, 31, v8
	v_and_b32_e32 v41, 3, v10
	s_cmp_lg_u32 s1, 0
	s_delay_alu instid0(VALU_DEP_2) | instskip(SKIP_1) | instid1(VALU_DEP_1)
	v_lshlrev_b64 v[11:12], 2, v[8:9]
	s_waitcnt lgkmcnt(0)
	v_add_co_u32 v11, vcc_lo, s4, v11
	s_delay_alu instid0(VALU_DEP_2) | instskip(SKIP_4) | instid1(VALU_DEP_2)
	v_add_co_ci_u32_e32 v12, vcc_lo, s5, v12, vcc_lo
	global_load_b64 v[11:12], v[11:12], off
	s_waitcnt vmcnt(0)
	v_subrev_nc_u32_e32 v9, s12, v11
	v_subrev_nc_u32_e32 v34, s12, v12
	v_add_nc_u32_e32 v9, v9, v41
	s_delay_alu instid0(VALU_DEP_1)
	v_cmp_lt_i32_e64 s0, v9, v34
	s_cbranch_scc0 .LBB141_16
; %bb.9:
	v_mov_b32_e32 v11, 0
	v_mov_b32_e32 v12, 0
	s_delay_alu instid0(VALU_DEP_1)
	v_dual_mov_b32 v18, v12 :: v_dual_mov_b32 v17, v11
	v_dual_mov_b32 v14, v12 :: v_dual_mov_b32 v13, v11
	;; [unrolled: 1-line block ×7, first 2 shown]
	s_and_saveexec_b32 s1, s0
	s_cbranch_execz .LBB141_15
; %bb.10:
	v_dual_mov_b32 v11, 0 :: v_dual_mov_b32 v30, 0
	v_dual_mov_b32 v12, 0 :: v_dual_lshlrev_b32 v27, 5, v9
	v_mov_b32_e32 v31, v9
	s_add_u32 s13, s10, 16
	s_addc_u32 s15, s11, 0
	s_delay_alu instid0(VALU_DEP_2)
	v_or_b32_e32 v10, 4, v27
	v_dual_mov_b32 v18, v12 :: v_dual_mov_b32 v17, v11
	v_dual_mov_b32 v14, v12 :: v_dual_mov_b32 v13, v11
	;; [unrolled: 1-line block ×7, first 2 shown]
	s_mov_b32 s14, 0
.LBB141_11:                             ; =>This Loop Header: Depth=1
                                        ;     Child Loop BB141_12 Depth 2
	v_ashrrev_i32_e32 v32, 31, v31
	s_mov_b64 s[4:5], 0
	s_delay_alu instid0(VALU_DEP_1) | instskip(NEXT) | instid1(VALU_DEP_1)
	v_lshlrev_b64 v[28:29], 2, v[31:32]
	v_add_co_u32 v28, vcc_lo, s6, v28
	s_delay_alu instid0(VALU_DEP_2) | instskip(SKIP_3) | instid1(VALU_DEP_1)
	v_add_co_ci_u32_e32 v29, vcc_lo, s7, v29, vcc_lo
	global_load_b32 v28, v[28:29], off
	s_waitcnt vmcnt(0)
	v_subrev_nc_u32_e32 v29, s12, v28
	v_dual_mov_b32 v28, v30 :: v_dual_lshlrev_b32 v29, 3, v29
	s_delay_alu instid0(VALU_DEP_1) | instskip(NEXT) | instid1(VALU_DEP_2)
	v_lshlrev_b64 v[32:33], 4, v[27:28]
	v_lshlrev_b64 v[36:37], 4, v[29:30]
	v_mov_b32_e32 v29, v10
	s_delay_alu instid0(VALU_DEP_3) | instskip(NEXT) | instid1(VALU_DEP_4)
	v_add_co_u32 v28, vcc_lo, s8, v32
	v_add_co_ci_u32_e32 v35, vcc_lo, s9, v33, vcc_lo
	s_delay_alu instid0(VALU_DEP_4)
	v_add_co_u32 v32, vcc_lo, s13, v36
	v_add_co_ci_u32_e32 v33, vcc_lo, s15, v37, vcc_lo
.LBB141_12:                             ;   Parent Loop BB141_11 Depth=1
                                        ; =>  This Inner Loop Header: Depth=2
	s_delay_alu instid0(VALU_DEP_4) | instskip(NEXT) | instid1(VALU_DEP_4)
	v_add_co_u32 v58, vcc_lo, v28, s4
	v_add_co_ci_u32_e32 v59, vcc_lo, s5, v35, vcc_lo
	v_lshlrev_b64 v[62:63], 4, v[29:30]
	s_clause 0x1
	global_load_b128 v[36:39], v[32:33], off
	global_load_b128 v[42:45], v[32:33], off offset:-16
	s_clause 0x3
	global_load_b128 v[46:49], v[58:59], off
	global_load_b128 v[50:53], v[58:59], off offset:16
	global_load_b128 v[54:57], v[58:59], off offset:32
	;; [unrolled: 1-line block ×3, first 2 shown]
	v_add_nc_u32_e32 v29, 8, v29
	s_add_u32 s4, s4, 0x80
	s_addc_u32 s5, s5, 0
	s_cmpk_eq_i32 s4, 0x200
	v_add_co_u32 v74, vcc_lo, s8, v62
	v_add_co_ci_u32_e32 v75, vcc_lo, s9, v63, vcc_lo
	s_clause 0x3
	global_load_b128 v[62:65], v[74:75], off
	global_load_b128 v[66:69], v[74:75], off offset:16
	global_load_b128 v[70:73], v[74:75], off offset:32
	;; [unrolled: 1-line block ×3, first 2 shown]
	v_add_co_u32 v32, vcc_lo, v32, 32
	v_add_co_ci_u32_e32 v33, vcc_lo, 0, v33, vcc_lo
	s_waitcnt vmcnt(7)
	v_fma_f64 v[17:18], v[46:47], v[42:43], v[17:18]
	v_fma_f64 v[11:12], v[48:49], v[42:43], v[11:12]
	s_waitcnt vmcnt(6)
	v_fma_f64 v[23:24], v[50:51], v[42:43], v[23:24]
	v_fma_f64 v[25:26], v[52:53], v[42:43], v[25:26]
	;; [unrolled: 3-line block ×4, first 2 shown]
	v_fma_f64 v[17:18], -v[48:49], v[44:45], v[17:18]
	v_fma_f64 v[11:12], v[46:47], v[44:45], v[11:12]
	v_fma_f64 v[23:24], -v[52:53], v[44:45], v[23:24]
	v_fma_f64 v[25:26], v[50:51], v[44:45], v[25:26]
	;; [unrolled: 2-line block ×4, first 2 shown]
	s_waitcnt vmcnt(3)
	v_fma_f64 v[17:18], v[62:63], v[36:37], v[17:18]
	v_fma_f64 v[11:12], v[64:65], v[36:37], v[11:12]
	s_waitcnt vmcnt(2)
	v_fma_f64 v[23:24], v[66:67], v[36:37], v[23:24]
	v_fma_f64 v[25:26], v[68:69], v[36:37], v[25:26]
	;; [unrolled: 3-line block ×4, first 2 shown]
	v_fma_f64 v[17:18], -v[64:65], v[38:39], v[17:18]
	v_fma_f64 v[11:12], v[62:63], v[38:39], v[11:12]
	v_fma_f64 v[23:24], -v[68:69], v[38:39], v[23:24]
	v_fma_f64 v[25:26], v[66:67], v[38:39], v[25:26]
	v_fma_f64 v[19:20], -v[72:73], v[38:39], v[19:20]
	v_fma_f64 v[21:22], v[70:71], v[38:39], v[21:22]
	v_fma_f64 v[13:14], -v[76:77], v[38:39], v[13:14]
	v_fma_f64 v[15:16], v[74:75], v[38:39], v[15:16]
	s_cbranch_scc0 .LBB141_12
; %bb.13:                               ;   in Loop: Header=BB141_11 Depth=1
	v_add_nc_u32_e32 v31, 4, v31
	v_add_nc_u32_e32 v10, 0x80, v10
	;; [unrolled: 1-line block ×3, first 2 shown]
	s_delay_alu instid0(VALU_DEP_3) | instskip(SKIP_1) | instid1(SALU_CYCLE_1)
	v_cmp_ge_i32_e32 vcc_lo, v31, v34
	s_or_b32 s14, vcc_lo, s14
	s_and_not1_b32 exec_lo, exec_lo, s14
	s_cbranch_execnz .LBB141_11
; %bb.14:
	s_or_b32 exec_lo, exec_lo, s14
.LBB141_15:
	s_delay_alu instid0(SALU_CYCLE_1)
	s_or_b32 exec_lo, exec_lo, s1
	s_cbranch_execz .LBB141_17
	s_branch .LBB141_24
.LBB141_16:
                                        ; implicit-def: $vgpr11_vgpr12
                                        ; implicit-def: $vgpr17_vgpr18
                                        ; implicit-def: $vgpr13_vgpr14
                                        ; implicit-def: $vgpr15_vgpr16
                                        ; implicit-def: $vgpr19_vgpr20
                                        ; implicit-def: $vgpr21_vgpr22
                                        ; implicit-def: $vgpr23_vgpr24
                                        ; implicit-def: $vgpr25_vgpr26
.LBB141_17:
	v_mov_b32_e32 v11, 0
	v_mov_b32_e32 v12, 0
	s_delay_alu instid0(VALU_DEP_1)
	v_dual_mov_b32 v18, v12 :: v_dual_mov_b32 v17, v11
	v_dual_mov_b32 v14, v12 :: v_dual_mov_b32 v13, v11
	;; [unrolled: 1-line block ×7, first 2 shown]
	s_and_saveexec_b32 s4, s0
	s_cbranch_execz .LBB141_23
; %bb.18:
	v_dual_mov_b32 v11, 0 :: v_dual_mov_b32 v28, 0
	v_dual_mov_b32 v12, 0 :: v_dual_lshlrev_b32 v27, 5, v9
	s_mov_b32 s5, 0
	s_delay_alu instid0(VALU_DEP_1)
	v_dual_mov_b32 v18, v12 :: v_dual_mov_b32 v17, v11
	v_dual_mov_b32 v14, v12 :: v_dual_mov_b32 v13, v11
	;; [unrolled: 1-line block ×7, first 2 shown]
.LBB141_19:                             ; =>This Loop Header: Depth=1
                                        ;     Child Loop BB141_20 Depth 2
	v_ashrrev_i32_e32 v10, 31, v9
	v_lshlrev_b64 v[31:32], 4, v[27:28]
	s_mov_b64 s[0:1], 0
	s_delay_alu instid0(VALU_DEP_2) | instskip(NEXT) | instid1(VALU_DEP_1)
	v_lshlrev_b64 v[29:30], 2, v[9:10]
	v_add_co_u32 v29, vcc_lo, s6, v29
	s_delay_alu instid0(VALU_DEP_2) | instskip(SKIP_3) | instid1(VALU_DEP_1)
	v_add_co_ci_u32_e32 v30, vcc_lo, s7, v30, vcc_lo
	global_load_b32 v10, v[29:30], off
	s_waitcnt vmcnt(0)
	v_subrev_nc_u32_e32 v10, s12, v10
	v_dual_mov_b32 v30, v28 :: v_dual_lshlrev_b32 v29, 3, v10
	v_add_co_u32 v10, vcc_lo, s8, v31
	s_delay_alu instid0(VALU_DEP_2) | instskip(SKIP_1) | instid1(VALU_DEP_2)
	v_lshlrev_b64 v[35:36], 4, v[29:30]
	v_add_co_ci_u32_e32 v29, vcc_lo, s9, v32, vcc_lo
	v_add_co_u32 v30, vcc_lo, s10, v35
	s_delay_alu instid0(VALU_DEP_3)
	v_add_co_ci_u32_e32 v31, vcc_lo, s11, v36, vcc_lo
.LBB141_20:                             ;   Parent Loop BB141_19 Depth=1
                                        ; =>  This Inner Loop Header: Depth=2
	v_add_co_u32 v32, vcc_lo, v10, s0
	s_delay_alu instid0(VALU_DEP_4) | instskip(NEXT) | instid1(VALU_DEP_4)
	v_add_co_ci_u32_e32 v33, vcc_lo, s1, v29, vcc_lo
	v_add_co_u32 v39, vcc_lo, v30, s0
	s_delay_alu instid0(VALU_DEP_4)
	v_add_co_ci_u32_e32 v40, vcc_lo, s1, v31, vcc_lo
	s_add_u32 s0, s0, 32
	global_load_b128 v[35:38], v[32:33], off
	global_load_b128 v[42:45], v[39:40], off
	s_clause 0x3
	global_load_b128 v[46:49], v[32:33], off offset:128
	global_load_b128 v[50:53], v[32:33], off offset:256
	;; [unrolled: 1-line block ×5, first 2 shown]
	s_clause 0x2
	global_load_b128 v[66:69], v[32:33], off offset:144
	global_load_b128 v[70:73], v[32:33], off offset:272
	global_load_b128 v[74:77], v[32:33], off offset:400
	s_addc_u32 s1, s1, 0
	s_cmpk_eq_i32 s0, 0x80
	s_waitcnt vmcnt(8)
	v_fma_f64 v[17:18], v[35:36], v[42:43], v[17:18]
	v_fma_f64 v[11:12], v[37:38], v[42:43], v[11:12]
	s_waitcnt vmcnt(7)
	v_fma_f64 v[23:24], v[46:47], v[42:43], v[23:24]
	v_fma_f64 v[25:26], v[48:49], v[42:43], v[25:26]
	;; [unrolled: 3-line block ×4, first 2 shown]
	v_fma_f64 v[17:18], -v[37:38], v[44:45], v[17:18]
	v_fma_f64 v[11:12], v[35:36], v[44:45], v[11:12]
	v_fma_f64 v[23:24], -v[48:49], v[44:45], v[23:24]
	v_fma_f64 v[25:26], v[46:47], v[44:45], v[25:26]
	;; [unrolled: 2-line block ×4, first 2 shown]
	s_waitcnt vmcnt(3)
	v_fma_f64 v[17:18], v[58:59], v[62:63], v[17:18]
	v_fma_f64 v[11:12], v[60:61], v[62:63], v[11:12]
	s_waitcnt vmcnt(2)
	v_fma_f64 v[23:24], v[66:67], v[62:63], v[23:24]
	v_fma_f64 v[25:26], v[68:69], v[62:63], v[25:26]
	;; [unrolled: 3-line block ×4, first 2 shown]
	v_fma_f64 v[17:18], -v[60:61], v[64:65], v[17:18]
	v_fma_f64 v[11:12], v[58:59], v[64:65], v[11:12]
	v_fma_f64 v[23:24], -v[68:69], v[64:65], v[23:24]
	v_fma_f64 v[25:26], v[66:67], v[64:65], v[25:26]
	;; [unrolled: 2-line block ×4, first 2 shown]
	s_cbranch_scc0 .LBB141_20
; %bb.21:                               ;   in Loop: Header=BB141_19 Depth=1
	v_add_nc_u32_e32 v9, 4, v9
	v_add_nc_u32_e32 v27, 0x80, v27
	s_delay_alu instid0(VALU_DEP_2) | instskip(SKIP_1) | instid1(SALU_CYCLE_1)
	v_cmp_ge_i32_e32 vcc_lo, v9, v34
	s_or_b32 s5, vcc_lo, s5
	s_and_not1_b32 exec_lo, exec_lo, s5
	s_cbranch_execnz .LBB141_19
; %bb.22:
	s_or_b32 exec_lo, exec_lo, s5
.LBB141_23:
	s_delay_alu instid0(SALU_CYCLE_1)
	s_or_b32 exec_lo, exec_lo, s4
.LBB141_24:
	v_mbcnt_lo_u32_b32 v44, -1, 0
	s_delay_alu instid0(VALU_DEP_1) | instskip(NEXT) | instid1(VALU_DEP_1)
	v_xor_b32_e32 v9, 2, v44
	v_cmp_gt_i32_e32 vcc_lo, 32, v9
	v_cndmask_b32_e32 v9, v44, v9, vcc_lo
	s_delay_alu instid0(VALU_DEP_1)
	v_lshlrev_b32_e32 v31, 2, v9
	ds_bpermute_b32 v9, v31, v17
	ds_bpermute_b32 v10, v31, v18
	;; [unrolled: 1-line block ×16, first 2 shown]
	s_waitcnt lgkmcnt(14)
	v_add_f64 v[9:10], v[17:18], v[9:10]
	s_waitcnt lgkmcnt(12)
	v_add_f64 v[31:32], v[11:12], v[27:28]
	;; [unrolled: 2-line block ×7, first 2 shown]
	v_xor_b32_e32 v13, 1, v44
	s_waitcnt lgkmcnt(0)
	v_add_f64 v[25:26], v[15:16], v[42:43]
	s_delay_alu instid0(VALU_DEP_2) | instskip(SKIP_2) | instid1(VALU_DEP_2)
	v_cmp_gt_i32_e32 vcc_lo, 32, v13
	v_cndmask_b32_e32 v13, v44, v13, vcc_lo
	v_cmp_eq_u32_e32 vcc_lo, 3, v41
	v_lshlrev_b32_e32 v34, 2, v13
	ds_bpermute_b32 v39, v34, v9
	ds_bpermute_b32 v40, v34, v10
	;; [unrolled: 1-line block ×16, first 2 shown]
	s_and_b32 exec_lo, exec_lo, vcc_lo
	s_cbranch_execz .LBB141_29
; %bb.25:
	v_cmp_eq_f64_e32 vcc_lo, 0, v[4:5]
	v_cmp_eq_f64_e64 s0, 0, v[6:7]
	s_waitcnt lgkmcnt(14)
	v_add_f64 v[9:10], v[9:10], v[39:40]
	s_waitcnt lgkmcnt(12)
	v_add_f64 v[23:24], v[31:32], v[23:24]
	;; [unrolled: 2-line block ×8, first 2 shown]
	s_load_b64 s[2:3], s[2:3], 0x48
	s_and_b32 s0, vcc_lo, s0
	s_delay_alu instid0(SALU_CYCLE_1) | instskip(NEXT) | instid1(SALU_CYCLE_1)
	s_and_saveexec_b32 s1, s0
	s_xor_b32 s0, exec_lo, s1
	s_cbranch_execz .LBB141_27
; %bb.26:
	v_mul_f64 v[4:5], v[23:24], -v[2:3]
	v_mul_f64 v[6:7], v[0:1], v[23:24]
	v_mul_f64 v[23:24], v[21:22], -v[2:3]
	v_mul_f64 v[21:22], v[0:1], v[21:22]
	;; [unrolled: 2-line block ×4, first 2 shown]
	v_fma_f64 v[4:5], v[0:1], v[9:10], v[4:5]
	v_fma_f64 v[6:7], v[2:3], v[9:10], v[6:7]
	;; [unrolled: 1-line block ×8, first 2 shown]
	v_lshlrev_b32_e32 v13, 2, v8
                                        ; implicit-def: $vgpr8
                                        ; implicit-def: $vgpr23_vgpr24
                                        ; implicit-def: $vgpr21_vgpr22
                                        ; implicit-def: $vgpr15_vgpr16
	s_delay_alu instid0(VALU_DEP_1) | instskip(NEXT) | instid1(VALU_DEP_1)
	v_ashrrev_i32_e32 v14, 31, v13
	v_lshlrev_b64 v[13:14], 4, v[13:14]
	s_waitcnt lgkmcnt(0)
	s_delay_alu instid0(VALU_DEP_1) | instskip(NEXT) | instid1(VALU_DEP_2)
	v_add_co_u32 v13, vcc_lo, s2, v13
	v_add_co_ci_u32_e32 v14, vcc_lo, s3, v14, vcc_lo
	s_clause 0x3
	global_store_b128 v[13:14], v[4:7], off
	global_store_b128 v[13:14], v[9:12], off offset:16
	global_store_b128 v[13:14], v[17:20], off offset:32
	;; [unrolled: 1-line block ×3, first 2 shown]
                                        ; implicit-def: $vgpr0_vgpr1
                                        ; implicit-def: $vgpr2_vgpr3
                                        ; implicit-def: $vgpr4_vgpr5
                                        ; implicit-def: $vgpr6_vgpr7
                                        ; implicit-def: $vgpr9_vgpr10
                                        ; implicit-def: $vgpr11_vgpr12
                                        ; implicit-def: $vgpr13_vgpr14
                                        ; implicit-def: $vgpr19_vgpr20
                                        ; implicit-def: $vgpr17_vgpr18
.LBB141_27:
	s_and_not1_saveexec_b32 s0, s0
	s_cbranch_execz .LBB141_29
; %bb.28:
	v_lshlrev_b32_e32 v25, 2, v8
	v_mul_f64 v[43:44], v[23:24], -v[2:3]
	v_mul_f64 v[23:24], v[0:1], v[23:24]
	v_mul_f64 v[45:46], v[21:22], -v[2:3]
	v_mul_f64 v[21:22], v[0:1], v[21:22]
	v_ashrrev_i32_e32 v26, 31, v25
	v_mul_f64 v[47:48], v[19:20], -v[2:3]
	v_mul_f64 v[19:20], v[0:1], v[19:20]
	v_mul_f64 v[49:50], v[17:18], -v[2:3]
	v_mul_f64 v[17:18], v[0:1], v[17:18]
	v_lshlrev_b64 v[25:26], 4, v[25:26]
	s_waitcnt lgkmcnt(0)
	s_delay_alu instid0(VALU_DEP_1) | instskip(NEXT) | instid1(VALU_DEP_2)
	v_add_co_u32 v41, vcc_lo, s2, v25
	v_add_co_ci_u32_e32 v42, vcc_lo, s3, v26, vcc_lo
	s_clause 0x3
	global_load_b128 v[25:28], v[41:42], off
	global_load_b128 v[29:32], v[41:42], off offset:16
	global_load_b128 v[33:36], v[41:42], off offset:32
	;; [unrolled: 1-line block ×3, first 2 shown]
	v_fma_f64 v[43:44], v[0:1], v[9:10], v[43:44]
	v_fma_f64 v[8:9], v[2:3], v[9:10], v[23:24]
	;; [unrolled: 1-line block ×8, first 2 shown]
	s_waitcnt vmcnt(3)
	v_fma_f64 v[14:15], v[4:5], v[25:26], v[43:44]
	v_fma_f64 v[8:9], v[6:7], v[25:26], v[8:9]
	s_waitcnt vmcnt(2)
	v_fma_f64 v[16:17], v[4:5], v[29:30], v[23:24]
	v_fma_f64 v[10:11], v[6:7], v[29:30], v[10:11]
	;; [unrolled: 3-line block ×4, first 2 shown]
	v_fma_f64 v[0:1], -v[6:7], v[27:28], v[14:15]
	v_fma_f64 v[2:3], v[4:5], v[27:28], v[8:9]
	v_fma_f64 v[8:9], -v[6:7], v[31:32], v[16:17]
	v_fma_f64 v[10:11], v[4:5], v[31:32], v[10:11]
	v_fma_f64 v[12:13], -v[6:7], v[35:36], v[18:19]
	v_fma_f64 v[14:15], v[4:5], v[35:36], v[20:21]
	v_fma_f64 v[16:17], -v[6:7], v[39:40], v[22:23]
	v_fma_f64 v[18:19], v[4:5], v[39:40], v[24:25]
	s_clause 0x3
	global_store_b128 v[41:42], v[0:3], off
	global_store_b128 v[41:42], v[8:11], off offset:16
	global_store_b128 v[41:42], v[12:15], off offset:32
	;; [unrolled: 1-line block ×3, first 2 shown]
.LBB141_29:
	s_nop 0
	s_sendmsg sendmsg(MSG_DEALLOC_VGPRS)
	s_endpgm
	.section	.rodata,"a",@progbits
	.p2align	6, 0x0
	.amdhsa_kernel _ZN9rocsparseL19gebsrmvn_4xn_kernelILj128ELj8ELj4E21rocsparse_complex_numIdEEEvi20rocsparse_direction_NS_24const_host_device_scalarIT2_EEPKiS8_PKS5_SA_S6_PS5_21rocsparse_index_base_b
		.amdhsa_group_segment_fixed_size 2048
		.amdhsa_private_segment_fixed_size 0
		.amdhsa_kernarg_size 88
		.amdhsa_user_sgpr_count 15
		.amdhsa_user_sgpr_dispatch_ptr 1
		.amdhsa_user_sgpr_queue_ptr 0
		.amdhsa_user_sgpr_kernarg_segment_ptr 1
		.amdhsa_user_sgpr_dispatch_id 0
		.amdhsa_user_sgpr_private_segment_size 0
		.amdhsa_wavefront_size32 1
		.amdhsa_uses_dynamic_stack 0
		.amdhsa_enable_private_segment 0
		.amdhsa_system_sgpr_workgroup_id_x 1
		.amdhsa_system_sgpr_workgroup_id_y 0
		.amdhsa_system_sgpr_workgroup_id_z 0
		.amdhsa_system_sgpr_workgroup_info 0
		.amdhsa_system_vgpr_workitem_id 2
		.amdhsa_next_free_vgpr 78
		.amdhsa_next_free_sgpr 18
		.amdhsa_reserve_vcc 1
		.amdhsa_float_round_mode_32 0
		.amdhsa_float_round_mode_16_64 0
		.amdhsa_float_denorm_mode_32 3
		.amdhsa_float_denorm_mode_16_64 3
		.amdhsa_dx10_clamp 1
		.amdhsa_ieee_mode 1
		.amdhsa_fp16_overflow 0
		.amdhsa_workgroup_processor_mode 1
		.amdhsa_memory_ordered 1
		.amdhsa_forward_progress 0
		.amdhsa_shared_vgpr_count 0
		.amdhsa_exception_fp_ieee_invalid_op 0
		.amdhsa_exception_fp_denorm_src 0
		.amdhsa_exception_fp_ieee_div_zero 0
		.amdhsa_exception_fp_ieee_overflow 0
		.amdhsa_exception_fp_ieee_underflow 0
		.amdhsa_exception_fp_ieee_inexact 0
		.amdhsa_exception_int_div_zero 0
	.end_amdhsa_kernel
	.section	.text._ZN9rocsparseL19gebsrmvn_4xn_kernelILj128ELj8ELj4E21rocsparse_complex_numIdEEEvi20rocsparse_direction_NS_24const_host_device_scalarIT2_EEPKiS8_PKS5_SA_S6_PS5_21rocsparse_index_base_b,"axG",@progbits,_ZN9rocsparseL19gebsrmvn_4xn_kernelILj128ELj8ELj4E21rocsparse_complex_numIdEEEvi20rocsparse_direction_NS_24const_host_device_scalarIT2_EEPKiS8_PKS5_SA_S6_PS5_21rocsparse_index_base_b,comdat
.Lfunc_end141:
	.size	_ZN9rocsparseL19gebsrmvn_4xn_kernelILj128ELj8ELj4E21rocsparse_complex_numIdEEEvi20rocsparse_direction_NS_24const_host_device_scalarIT2_EEPKiS8_PKS5_SA_S6_PS5_21rocsparse_index_base_b, .Lfunc_end141-_ZN9rocsparseL19gebsrmvn_4xn_kernelILj128ELj8ELj4E21rocsparse_complex_numIdEEEvi20rocsparse_direction_NS_24const_host_device_scalarIT2_EEPKiS8_PKS5_SA_S6_PS5_21rocsparse_index_base_b
                                        ; -- End function
	.section	.AMDGPU.csdata,"",@progbits
; Kernel info:
; codeLenInByte = 3156
; NumSgprs: 20
; NumVgprs: 78
; ScratchSize: 0
; MemoryBound: 0
; FloatMode: 240
; IeeeMode: 1
; LDSByteSize: 2048 bytes/workgroup (compile time only)
; SGPRBlocks: 2
; VGPRBlocks: 9
; NumSGPRsForWavesPerEU: 20
; NumVGPRsForWavesPerEU: 78
; Occupancy: 16
; WaveLimiterHint : 1
; COMPUTE_PGM_RSRC2:SCRATCH_EN: 0
; COMPUTE_PGM_RSRC2:USER_SGPR: 15
; COMPUTE_PGM_RSRC2:TRAP_HANDLER: 0
; COMPUTE_PGM_RSRC2:TGID_X_EN: 1
; COMPUTE_PGM_RSRC2:TGID_Y_EN: 0
; COMPUTE_PGM_RSRC2:TGID_Z_EN: 0
; COMPUTE_PGM_RSRC2:TIDIG_COMP_CNT: 2
	.section	.text._ZN9rocsparseL19gebsrmvn_4xn_kernelILj128ELj8ELj8E21rocsparse_complex_numIdEEEvi20rocsparse_direction_NS_24const_host_device_scalarIT2_EEPKiS8_PKS5_SA_S6_PS5_21rocsparse_index_base_b,"axG",@progbits,_ZN9rocsparseL19gebsrmvn_4xn_kernelILj128ELj8ELj8E21rocsparse_complex_numIdEEEvi20rocsparse_direction_NS_24const_host_device_scalarIT2_EEPKiS8_PKS5_SA_S6_PS5_21rocsparse_index_base_b,comdat
	.globl	_ZN9rocsparseL19gebsrmvn_4xn_kernelILj128ELj8ELj8E21rocsparse_complex_numIdEEEvi20rocsparse_direction_NS_24const_host_device_scalarIT2_EEPKiS8_PKS5_SA_S6_PS5_21rocsparse_index_base_b ; -- Begin function _ZN9rocsparseL19gebsrmvn_4xn_kernelILj128ELj8ELj8E21rocsparse_complex_numIdEEEvi20rocsparse_direction_NS_24const_host_device_scalarIT2_EEPKiS8_PKS5_SA_S6_PS5_21rocsparse_index_base_b
	.p2align	8
	.type	_ZN9rocsparseL19gebsrmvn_4xn_kernelILj128ELj8ELj8E21rocsparse_complex_numIdEEEvi20rocsparse_direction_NS_24const_host_device_scalarIT2_EEPKiS8_PKS5_SA_S6_PS5_21rocsparse_index_base_b,@function
_ZN9rocsparseL19gebsrmvn_4xn_kernelILj128ELj8ELj8E21rocsparse_complex_numIdEEEvi20rocsparse_direction_NS_24const_host_device_scalarIT2_EEPKiS8_PKS5_SA_S6_PS5_21rocsparse_index_base_b: ; @_ZN9rocsparseL19gebsrmvn_4xn_kernelILj128ELj8ELj8E21rocsparse_complex_numIdEEEvi20rocsparse_direction_NS_24const_host_device_scalarIT2_EEPKiS8_PKS5_SA_S6_PS5_21rocsparse_index_base_b
; %bb.0:
	s_load_b64 s[12:13], s[2:3], 0x50
	s_load_b64 s[16:17], s[0:1], 0x4
	s_load_b128 s[8:11], s[2:3], 0x8
	v_bfe_u32 v1, v0, 10, 10
	s_mov_b64 s[0:1], src_shared_base
	s_load_b128 s[4:7], s[2:3], 0x38
	v_and_b32_e32 v10, 0x3ff, v0
	v_bfe_u32 v0, v0, 20, 10
	s_waitcnt lgkmcnt(0)
	s_bitcmp1_b32 s13, 0
	v_mul_u32_u24_e32 v1, s17, v1
	s_cselect_b32 s0, -1, 0
	s_delay_alu instid0(SALU_CYCLE_1)
	s_and_b32 vcc_lo, s0, exec_lo
	s_cselect_b32 s13, s1, s9
	s_lshr_b32 s14, s16, 16
	v_dual_mov_b32 v2, s4 :: v_dual_mov_b32 v3, s5
	s_mul_i32 s14, s14, s17
	v_mov_b32_e32 v6, s13
	v_mad_u32_u24 v1, s14, v10, v1
	s_delay_alu instid0(VALU_DEP_1) | instskip(SKIP_1) | instid1(VALU_DEP_2)
	v_add_lshl_u32 v4, v1, v0, 3
	v_dual_mov_b32 v0, s8 :: v_dual_mov_b32 v1, s9
	v_add_nc_u32_e32 v5, 0x400, v4
	ds_store_2addr_stride64_b64 v4, v[2:3], v[0:1] offset1:2
	v_dual_mov_b32 v2, s10 :: v_dual_mov_b32 v3, s11
	v_cndmask_b32_e64 v5, s8, v5, s0
	s_xor_b32 s10, s0, -1
	flat_load_b64 v[0:1], v[5:6]
	s_cbranch_vccnz .LBB142_2
; %bb.1:
	v_dual_mov_b32 v2, s8 :: v_dual_mov_b32 v3, s9
	flat_load_b64 v[2:3], v[2:3] offset:8
.LBB142_2:
	s_and_b32 s8, s0, exec_lo
	s_cselect_b32 s1, s1, s5
	v_cndmask_b32_e64 v4, s4, v4, s0
	v_dual_mov_b32 v5, s1 :: v_dual_mov_b32 v6, s6
	v_mov_b32_e32 v7, s7
	s_and_not1_b32 vcc_lo, exec_lo, s10
	flat_load_b64 v[4:5], v[4:5]
	s_cbranch_vccnz .LBB142_4
; %bb.3:
	v_dual_mov_b32 v7, s5 :: v_dual_mov_b32 v6, s4
	flat_load_b64 v[6:7], v[6:7] offset:8
.LBB142_4:
	s_waitcnt vmcnt(1) lgkmcnt(1)
	v_cmp_eq_f64_e32 vcc_lo, 0, v[0:1]
	v_cmp_eq_f64_e64 s0, 0, v[2:3]
	s_delay_alu instid0(VALU_DEP_1)
	s_and_b32 s4, vcc_lo, s0
	s_mov_b32 s0, -1
	s_and_saveexec_b32 s1, s4
	s_cbranch_execz .LBB142_6
; %bb.5:
	s_waitcnt vmcnt(0) lgkmcnt(0)
	v_cmp_neq_f64_e32 vcc_lo, 1.0, v[4:5]
	v_cmp_neq_f64_e64 s0, 0, v[6:7]
	s_delay_alu instid0(VALU_DEP_1) | instskip(NEXT) | instid1(SALU_CYCLE_1)
	s_or_b32 s0, vcc_lo, s0
	s_or_not1_b32 s0, s0, exec_lo
.LBB142_6:
	s_or_b32 exec_lo, exec_lo, s1
	s_and_saveexec_b32 s1, s0
	s_cbranch_execz .LBB142_29
; %bb.7:
	s_load_b64 s[0:1], s[2:3], 0x0
	v_lshrrev_b32_e32 v8, 3, v10
	s_delay_alu instid0(VALU_DEP_1) | instskip(SKIP_1) | instid1(VALU_DEP_1)
	v_lshl_or_b32 v8, s15, 4, v8
	s_waitcnt lgkmcnt(0)
	v_cmp_gt_i32_e32 vcc_lo, s0, v8
	s_and_b32 exec_lo, exec_lo, vcc_lo
	s_cbranch_execz .LBB142_29
; %bb.8:
	s_load_b256 s[4:11], s[2:3], 0x18
	v_ashrrev_i32_e32 v9, 31, v8
	v_and_b32_e32 v41, 7, v10
	s_cmp_lg_u32 s1, 0
	s_delay_alu instid0(VALU_DEP_2) | instskip(SKIP_1) | instid1(VALU_DEP_1)
	v_lshlrev_b64 v[11:12], 2, v[8:9]
	s_waitcnt lgkmcnt(0)
	v_add_co_u32 v11, vcc_lo, s4, v11
	s_delay_alu instid0(VALU_DEP_2) | instskip(SKIP_4) | instid1(VALU_DEP_2)
	v_add_co_ci_u32_e32 v12, vcc_lo, s5, v12, vcc_lo
	global_load_b64 v[11:12], v[11:12], off
	s_waitcnt vmcnt(0)
	v_subrev_nc_u32_e32 v9, s12, v11
	v_subrev_nc_u32_e32 v34, s12, v12
	v_add_nc_u32_e32 v17, v9, v41
	s_delay_alu instid0(VALU_DEP_1)
	v_cmp_lt_i32_e64 s0, v17, v34
	s_cbranch_scc0 .LBB142_16
; %bb.9:
	v_mov_b32_e32 v9, 0
	v_mov_b32_e32 v10, 0
	s_delay_alu instid0(VALU_DEP_1)
	v_dual_mov_b32 v16, v10 :: v_dual_mov_b32 v15, v9
	v_dual_mov_b32 v12, v10 :: v_dual_mov_b32 v11, v9
	;; [unrolled: 1-line block ×7, first 2 shown]
	s_and_saveexec_b32 s1, s0
	s_cbranch_execz .LBB142_15
; %bb.10:
	v_dual_mov_b32 v9, 0 :: v_dual_mov_b32 v30, 0
	v_dual_mov_b32 v10, 0 :: v_dual_lshlrev_b32 v27, 5, v17
	v_mov_b32_e32 v31, v17
	s_add_u32 s13, s10, 16
	s_addc_u32 s15, s11, 0
	s_delay_alu instid0(VALU_DEP_2)
	v_or_b32_e32 v18, 4, v27
	v_dual_mov_b32 v16, v10 :: v_dual_mov_b32 v15, v9
	v_dual_mov_b32 v12, v10 :: v_dual_mov_b32 v11, v9
	;; [unrolled: 1-line block ×7, first 2 shown]
	s_mov_b32 s14, 0
.LBB142_11:                             ; =>This Loop Header: Depth=1
                                        ;     Child Loop BB142_12 Depth 2
	v_ashrrev_i32_e32 v32, 31, v31
	s_mov_b64 s[4:5], 0
	s_delay_alu instid0(VALU_DEP_1) | instskip(NEXT) | instid1(VALU_DEP_1)
	v_lshlrev_b64 v[28:29], 2, v[31:32]
	v_add_co_u32 v28, vcc_lo, s6, v28
	s_delay_alu instid0(VALU_DEP_2) | instskip(SKIP_3) | instid1(VALU_DEP_1)
	v_add_co_ci_u32_e32 v29, vcc_lo, s7, v29, vcc_lo
	global_load_b32 v28, v[28:29], off
	s_waitcnt vmcnt(0)
	v_subrev_nc_u32_e32 v29, s12, v28
	v_dual_mov_b32 v28, v30 :: v_dual_lshlrev_b32 v29, 3, v29
	s_delay_alu instid0(VALU_DEP_1) | instskip(NEXT) | instid1(VALU_DEP_2)
	v_lshlrev_b64 v[32:33], 4, v[27:28]
	v_lshlrev_b64 v[36:37], 4, v[29:30]
	v_mov_b32_e32 v29, v18
	s_delay_alu instid0(VALU_DEP_3) | instskip(NEXT) | instid1(VALU_DEP_4)
	v_add_co_u32 v28, vcc_lo, s8, v32
	v_add_co_ci_u32_e32 v35, vcc_lo, s9, v33, vcc_lo
	s_delay_alu instid0(VALU_DEP_4)
	v_add_co_u32 v32, vcc_lo, s13, v36
	v_add_co_ci_u32_e32 v33, vcc_lo, s15, v37, vcc_lo
.LBB142_12:                             ;   Parent Loop BB142_11 Depth=1
                                        ; =>  This Inner Loop Header: Depth=2
	s_delay_alu instid0(VALU_DEP_4) | instskip(NEXT) | instid1(VALU_DEP_4)
	v_add_co_u32 v58, vcc_lo, v28, s4
	v_add_co_ci_u32_e32 v59, vcc_lo, s5, v35, vcc_lo
	v_lshlrev_b64 v[62:63], 4, v[29:30]
	s_clause 0x1
	global_load_b128 v[36:39], v[32:33], off
	global_load_b128 v[42:45], v[32:33], off offset:-16
	s_clause 0x3
	global_load_b128 v[46:49], v[58:59], off
	global_load_b128 v[50:53], v[58:59], off offset:16
	global_load_b128 v[54:57], v[58:59], off offset:32
	;; [unrolled: 1-line block ×3, first 2 shown]
	v_add_nc_u32_e32 v29, 8, v29
	s_add_u32 s4, s4, 0x80
	s_addc_u32 s5, s5, 0
	s_cmpk_eq_i32 s4, 0x200
	v_add_co_u32 v74, vcc_lo, s8, v62
	v_add_co_ci_u32_e32 v75, vcc_lo, s9, v63, vcc_lo
	s_clause 0x3
	global_load_b128 v[62:65], v[74:75], off
	global_load_b128 v[66:69], v[74:75], off offset:16
	global_load_b128 v[70:73], v[74:75], off offset:32
	;; [unrolled: 1-line block ×3, first 2 shown]
	v_add_co_u32 v32, vcc_lo, v32, 32
	v_add_co_ci_u32_e32 v33, vcc_lo, 0, v33, vcc_lo
	s_waitcnt vmcnt(7)
	v_fma_f64 v[15:16], v[46:47], v[42:43], v[15:16]
	v_fma_f64 v[9:10], v[48:49], v[42:43], v[9:10]
	s_waitcnt vmcnt(6)
	v_fma_f64 v[23:24], v[50:51], v[42:43], v[23:24]
	v_fma_f64 v[25:26], v[52:53], v[42:43], v[25:26]
	;; [unrolled: 3-line block ×4, first 2 shown]
	v_fma_f64 v[15:16], -v[48:49], v[44:45], v[15:16]
	v_fma_f64 v[9:10], v[46:47], v[44:45], v[9:10]
	v_fma_f64 v[23:24], -v[52:53], v[44:45], v[23:24]
	v_fma_f64 v[25:26], v[50:51], v[44:45], v[25:26]
	;; [unrolled: 2-line block ×4, first 2 shown]
	s_waitcnt vmcnt(3)
	v_fma_f64 v[15:16], v[62:63], v[36:37], v[15:16]
	v_fma_f64 v[9:10], v[64:65], v[36:37], v[9:10]
	s_waitcnt vmcnt(2)
	v_fma_f64 v[23:24], v[66:67], v[36:37], v[23:24]
	v_fma_f64 v[25:26], v[68:69], v[36:37], v[25:26]
	;; [unrolled: 3-line block ×4, first 2 shown]
	v_fma_f64 v[15:16], -v[64:65], v[38:39], v[15:16]
	v_fma_f64 v[9:10], v[62:63], v[38:39], v[9:10]
	v_fma_f64 v[23:24], -v[68:69], v[38:39], v[23:24]
	v_fma_f64 v[25:26], v[66:67], v[38:39], v[25:26]
	;; [unrolled: 2-line block ×4, first 2 shown]
	s_cbranch_scc0 .LBB142_12
; %bb.13:                               ;   in Loop: Header=BB142_11 Depth=1
	v_add_nc_u32_e32 v31, 8, v31
	v_add_nc_u32_e32 v18, 0x100, v18
	v_add_nc_u32_e32 v27, 0x100, v27
	s_delay_alu instid0(VALU_DEP_3) | instskip(SKIP_1) | instid1(SALU_CYCLE_1)
	v_cmp_ge_i32_e32 vcc_lo, v31, v34
	s_or_b32 s14, vcc_lo, s14
	s_and_not1_b32 exec_lo, exec_lo, s14
	s_cbranch_execnz .LBB142_11
; %bb.14:
	s_or_b32 exec_lo, exec_lo, s14
.LBB142_15:
	s_delay_alu instid0(SALU_CYCLE_1)
	s_or_b32 exec_lo, exec_lo, s1
	s_cbranch_execz .LBB142_17
	s_branch .LBB142_24
.LBB142_16:
                                        ; implicit-def: $vgpr9_vgpr10
                                        ; implicit-def: $vgpr15_vgpr16
                                        ; implicit-def: $vgpr11_vgpr12
                                        ; implicit-def: $vgpr13_vgpr14
                                        ; implicit-def: $vgpr19_vgpr20
                                        ; implicit-def: $vgpr21_vgpr22
                                        ; implicit-def: $vgpr23_vgpr24
                                        ; implicit-def: $vgpr25_vgpr26
.LBB142_17:
	v_mov_b32_e32 v9, 0
	v_mov_b32_e32 v10, 0
	s_delay_alu instid0(VALU_DEP_1)
	v_dual_mov_b32 v16, v10 :: v_dual_mov_b32 v15, v9
	v_dual_mov_b32 v12, v10 :: v_dual_mov_b32 v11, v9
	;; [unrolled: 1-line block ×7, first 2 shown]
	s_and_saveexec_b32 s4, s0
	s_cbranch_execz .LBB142_23
; %bb.18:
	v_dual_mov_b32 v9, 0 :: v_dual_mov_b32 v28, 0
	v_dual_mov_b32 v10, 0 :: v_dual_lshlrev_b32 v27, 5, v17
	s_mov_b32 s5, 0
	s_delay_alu instid0(VALU_DEP_1)
	v_dual_mov_b32 v16, v10 :: v_dual_mov_b32 v15, v9
	v_dual_mov_b32 v12, v10 :: v_dual_mov_b32 v11, v9
	;; [unrolled: 1-line block ×7, first 2 shown]
.LBB142_19:                             ; =>This Loop Header: Depth=1
                                        ;     Child Loop BB142_20 Depth 2
	v_ashrrev_i32_e32 v18, 31, v17
	v_lshlrev_b64 v[31:32], 4, v[27:28]
	s_mov_b64 s[0:1], 0
	s_delay_alu instid0(VALU_DEP_2) | instskip(NEXT) | instid1(VALU_DEP_1)
	v_lshlrev_b64 v[29:30], 2, v[17:18]
	v_add_co_u32 v29, vcc_lo, s6, v29
	s_delay_alu instid0(VALU_DEP_2) | instskip(SKIP_3) | instid1(VALU_DEP_1)
	v_add_co_ci_u32_e32 v30, vcc_lo, s7, v30, vcc_lo
	global_load_b32 v18, v[29:30], off
	s_waitcnt vmcnt(0)
	v_subrev_nc_u32_e32 v18, s12, v18
	v_dual_mov_b32 v30, v28 :: v_dual_lshlrev_b32 v29, 3, v18
	v_add_co_u32 v18, vcc_lo, s8, v31
	s_delay_alu instid0(VALU_DEP_2) | instskip(SKIP_1) | instid1(VALU_DEP_2)
	v_lshlrev_b64 v[35:36], 4, v[29:30]
	v_add_co_ci_u32_e32 v29, vcc_lo, s9, v32, vcc_lo
	v_add_co_u32 v30, vcc_lo, s10, v35
	s_delay_alu instid0(VALU_DEP_3)
	v_add_co_ci_u32_e32 v31, vcc_lo, s11, v36, vcc_lo
.LBB142_20:                             ;   Parent Loop BB142_19 Depth=1
                                        ; =>  This Inner Loop Header: Depth=2
	v_add_co_u32 v32, vcc_lo, v18, s0
	s_delay_alu instid0(VALU_DEP_4) | instskip(NEXT) | instid1(VALU_DEP_4)
	v_add_co_ci_u32_e32 v33, vcc_lo, s1, v29, vcc_lo
	v_add_co_u32 v39, vcc_lo, v30, s0
	s_delay_alu instid0(VALU_DEP_4)
	v_add_co_ci_u32_e32 v40, vcc_lo, s1, v31, vcc_lo
	s_add_u32 s0, s0, 32
	global_load_b128 v[35:38], v[32:33], off
	global_load_b128 v[42:45], v[39:40], off
	s_clause 0x3
	global_load_b128 v[46:49], v[32:33], off offset:128
	global_load_b128 v[50:53], v[32:33], off offset:256
	;; [unrolled: 1-line block ×5, first 2 shown]
	s_clause 0x2
	global_load_b128 v[66:69], v[32:33], off offset:144
	global_load_b128 v[70:73], v[32:33], off offset:272
	;; [unrolled: 1-line block ×3, first 2 shown]
	s_addc_u32 s1, s1, 0
	s_cmpk_eq_i32 s0, 0x80
	s_waitcnt vmcnt(8)
	v_fma_f64 v[15:16], v[35:36], v[42:43], v[15:16]
	v_fma_f64 v[9:10], v[37:38], v[42:43], v[9:10]
	s_waitcnt vmcnt(7)
	v_fma_f64 v[23:24], v[46:47], v[42:43], v[23:24]
	v_fma_f64 v[25:26], v[48:49], v[42:43], v[25:26]
	;; [unrolled: 3-line block ×4, first 2 shown]
	v_fma_f64 v[15:16], -v[37:38], v[44:45], v[15:16]
	v_fma_f64 v[9:10], v[35:36], v[44:45], v[9:10]
	v_fma_f64 v[23:24], -v[48:49], v[44:45], v[23:24]
	v_fma_f64 v[25:26], v[46:47], v[44:45], v[25:26]
	;; [unrolled: 2-line block ×4, first 2 shown]
	s_waitcnt vmcnt(3)
	v_fma_f64 v[15:16], v[58:59], v[62:63], v[15:16]
	v_fma_f64 v[9:10], v[60:61], v[62:63], v[9:10]
	s_waitcnt vmcnt(2)
	v_fma_f64 v[23:24], v[66:67], v[62:63], v[23:24]
	v_fma_f64 v[25:26], v[68:69], v[62:63], v[25:26]
	;; [unrolled: 3-line block ×4, first 2 shown]
	v_fma_f64 v[15:16], -v[60:61], v[64:65], v[15:16]
	v_fma_f64 v[9:10], v[58:59], v[64:65], v[9:10]
	v_fma_f64 v[23:24], -v[68:69], v[64:65], v[23:24]
	v_fma_f64 v[25:26], v[66:67], v[64:65], v[25:26]
	;; [unrolled: 2-line block ×4, first 2 shown]
	s_cbranch_scc0 .LBB142_20
; %bb.21:                               ;   in Loop: Header=BB142_19 Depth=1
	v_add_nc_u32_e32 v17, 8, v17
	v_add_nc_u32_e32 v27, 0x100, v27
	s_delay_alu instid0(VALU_DEP_2) | instskip(SKIP_1) | instid1(SALU_CYCLE_1)
	v_cmp_ge_i32_e32 vcc_lo, v17, v34
	s_or_b32 s5, vcc_lo, s5
	s_and_not1_b32 exec_lo, exec_lo, s5
	s_cbranch_execnz .LBB142_19
; %bb.22:
	s_or_b32 exec_lo, exec_lo, s5
.LBB142_23:
	s_delay_alu instid0(SALU_CYCLE_1)
	s_or_b32 exec_lo, exec_lo, s4
.LBB142_24:
	v_mbcnt_lo_u32_b32 v44, -1, 0
	s_delay_alu instid0(VALU_DEP_1) | instskip(NEXT) | instid1(VALU_DEP_1)
	v_xor_b32_e32 v17, 4, v44
	v_cmp_gt_i32_e32 vcc_lo, 32, v17
	v_cndmask_b32_e32 v17, v44, v17, vcc_lo
	s_delay_alu instid0(VALU_DEP_1)
	v_lshlrev_b32_e32 v40, 2, v17
	ds_bpermute_b32 v17, v40, v15
	ds_bpermute_b32 v18, v40, v16
	;; [unrolled: 1-line block ×16, first 2 shown]
	s_waitcnt lgkmcnt(14)
	v_add_f64 v[15:16], v[15:16], v[17:18]
	s_waitcnt lgkmcnt(12)
	v_add_f64 v[17:18], v[9:10], v[27:28]
	v_xor_b32_e32 v9, 2, v44
	s_waitcnt lgkmcnt(10)
	v_add_f64 v[27:28], v[23:24], v[29:30]
	s_waitcnt lgkmcnt(8)
	v_add_f64 v[25:26], v[25:26], v[31:32]
	;; [unrolled: 2-line block ×3, first 2 shown]
	v_cmp_gt_i32_e32 vcc_lo, 32, v9
	s_waitcnt lgkmcnt(4)
	v_add_f64 v[29:30], v[21:22], v[35:36]
	s_waitcnt lgkmcnt(2)
	v_add_f64 v[31:32], v[11:12], v[37:38]
	;; [unrolled: 2-line block ×3, first 2 shown]
	v_cndmask_b32_e32 v9, v44, v9, vcc_lo
	s_delay_alu instid0(VALU_DEP_1)
	v_lshlrev_b32_e32 v23, 2, v9
	ds_bpermute_b32 v9, v23, v15
	ds_bpermute_b32 v10, v23, v16
	;; [unrolled: 1-line block ×16, first 2 shown]
	s_waitcnt lgkmcnt(14)
	v_add_f64 v[9:10], v[15:16], v[9:10]
	s_waitcnt lgkmcnt(12)
	v_add_f64 v[23:24], v[17:18], v[11:12]
	;; [unrolled: 2-line block ×4, first 2 shown]
	v_xor_b32_e32 v25, 1, v44
	s_waitcnt lgkmcnt(6)
	v_add_f64 v[13:14], v[19:20], v[35:36]
	s_waitcnt lgkmcnt(4)
	v_add_f64 v[19:20], v[29:30], v[37:38]
	;; [unrolled: 2-line block ×3, first 2 shown]
	v_cmp_gt_i32_e32 vcc_lo, 32, v25
	s_waitcnt lgkmcnt(0)
	v_add_f64 v[17:18], v[33:34], v[42:43]
	v_cndmask_b32_e32 v25, v44, v25, vcc_lo
	v_cmp_eq_u32_e32 vcc_lo, 7, v41
	s_delay_alu instid0(VALU_DEP_2)
	v_lshlrev_b32_e32 v28, 2, v25
	ds_bpermute_b32 v39, v28, v9
	ds_bpermute_b32 v40, v28, v10
	;; [unrolled: 1-line block ×16, first 2 shown]
	s_and_b32 exec_lo, exec_lo, vcc_lo
	s_cbranch_execz .LBB142_29
; %bb.25:
	v_cmp_eq_f64_e32 vcc_lo, 0, v[4:5]
	v_cmp_eq_f64_e64 s0, 0, v[6:7]
	s_waitcnt lgkmcnt(14)
	v_add_f64 v[9:10], v[9:10], v[39:40]
	s_waitcnt lgkmcnt(12)
	v_add_f64 v[23:24], v[23:24], v[37:38]
	;; [unrolled: 2-line block ×8, first 2 shown]
	s_load_b64 s[2:3], s[2:3], 0x48
	s_and_b32 s0, vcc_lo, s0
	s_delay_alu instid0(SALU_CYCLE_1) | instskip(NEXT) | instid1(SALU_CYCLE_1)
	s_and_saveexec_b32 s1, s0
	s_xor_b32 s0, exec_lo, s1
	s_cbranch_execz .LBB142_27
; %bb.26:
	v_mul_f64 v[4:5], v[23:24], -v[2:3]
	v_mul_f64 v[6:7], v[0:1], v[23:24]
	v_mul_f64 v[23:24], v[21:22], -v[2:3]
	v_mul_f64 v[21:22], v[0:1], v[21:22]
	;; [unrolled: 2-line block ×4, first 2 shown]
	v_fma_f64 v[4:5], v[0:1], v[9:10], v[4:5]
	v_fma_f64 v[6:7], v[2:3], v[9:10], v[6:7]
	;; [unrolled: 1-line block ×8, first 2 shown]
	v_lshlrev_b32_e32 v13, 2, v8
                                        ; implicit-def: $vgpr8
                                        ; implicit-def: $vgpr23_vgpr24
                                        ; implicit-def: $vgpr21_vgpr22
                                        ; implicit-def: $vgpr15_vgpr16
	s_delay_alu instid0(VALU_DEP_1) | instskip(NEXT) | instid1(VALU_DEP_1)
	v_ashrrev_i32_e32 v14, 31, v13
	v_lshlrev_b64 v[13:14], 4, v[13:14]
	s_waitcnt lgkmcnt(0)
	s_delay_alu instid0(VALU_DEP_1) | instskip(NEXT) | instid1(VALU_DEP_2)
	v_add_co_u32 v13, vcc_lo, s2, v13
	v_add_co_ci_u32_e32 v14, vcc_lo, s3, v14, vcc_lo
	s_clause 0x3
	global_store_b128 v[13:14], v[4:7], off
	global_store_b128 v[13:14], v[9:12], off offset:16
	global_store_b128 v[13:14], v[17:20], off offset:32
	;; [unrolled: 1-line block ×3, first 2 shown]
                                        ; implicit-def: $vgpr0_vgpr1
                                        ; implicit-def: $vgpr2_vgpr3
                                        ; implicit-def: $vgpr4_vgpr5
                                        ; implicit-def: $vgpr6_vgpr7
                                        ; implicit-def: $vgpr9_vgpr10
                                        ; implicit-def: $vgpr11_vgpr12
                                        ; implicit-def: $vgpr13_vgpr14
                                        ; implicit-def: $vgpr19_vgpr20
                                        ; implicit-def: $vgpr17_vgpr18
.LBB142_27:
	s_and_not1_saveexec_b32 s0, s0
	s_cbranch_execz .LBB142_29
; %bb.28:
	v_lshlrev_b32_e32 v25, 2, v8
	v_mul_f64 v[43:44], v[23:24], -v[2:3]
	v_mul_f64 v[23:24], v[0:1], v[23:24]
	v_mul_f64 v[45:46], v[21:22], -v[2:3]
	v_mul_f64 v[21:22], v[0:1], v[21:22]
	v_ashrrev_i32_e32 v26, 31, v25
	v_mul_f64 v[47:48], v[19:20], -v[2:3]
	v_mul_f64 v[19:20], v[0:1], v[19:20]
	v_mul_f64 v[49:50], v[17:18], -v[2:3]
	v_mul_f64 v[17:18], v[0:1], v[17:18]
	v_lshlrev_b64 v[25:26], 4, v[25:26]
	s_waitcnt lgkmcnt(0)
	s_delay_alu instid0(VALU_DEP_1) | instskip(NEXT) | instid1(VALU_DEP_2)
	v_add_co_u32 v41, vcc_lo, s2, v25
	v_add_co_ci_u32_e32 v42, vcc_lo, s3, v26, vcc_lo
	s_clause 0x3
	global_load_b128 v[25:28], v[41:42], off
	global_load_b128 v[29:32], v[41:42], off offset:16
	global_load_b128 v[33:36], v[41:42], off offset:32
	;; [unrolled: 1-line block ×3, first 2 shown]
	v_fma_f64 v[43:44], v[0:1], v[9:10], v[43:44]
	v_fma_f64 v[8:9], v[2:3], v[9:10], v[23:24]
	;; [unrolled: 1-line block ×8, first 2 shown]
	s_waitcnt vmcnt(3)
	v_fma_f64 v[14:15], v[4:5], v[25:26], v[43:44]
	v_fma_f64 v[8:9], v[6:7], v[25:26], v[8:9]
	s_waitcnt vmcnt(2)
	v_fma_f64 v[16:17], v[4:5], v[29:30], v[23:24]
	v_fma_f64 v[10:11], v[6:7], v[29:30], v[10:11]
	;; [unrolled: 3-line block ×4, first 2 shown]
	v_fma_f64 v[0:1], -v[6:7], v[27:28], v[14:15]
	v_fma_f64 v[2:3], v[4:5], v[27:28], v[8:9]
	v_fma_f64 v[8:9], -v[6:7], v[31:32], v[16:17]
	v_fma_f64 v[10:11], v[4:5], v[31:32], v[10:11]
	;; [unrolled: 2-line block ×4, first 2 shown]
	s_clause 0x3
	global_store_b128 v[41:42], v[0:3], off
	global_store_b128 v[41:42], v[8:11], off offset:16
	global_store_b128 v[41:42], v[12:15], off offset:32
	;; [unrolled: 1-line block ×3, first 2 shown]
.LBB142_29:
	s_nop 0
	s_sendmsg sendmsg(MSG_DEALLOC_VGPRS)
	s_endpgm
	.section	.rodata,"a",@progbits
	.p2align	6, 0x0
	.amdhsa_kernel _ZN9rocsparseL19gebsrmvn_4xn_kernelILj128ELj8ELj8E21rocsparse_complex_numIdEEEvi20rocsparse_direction_NS_24const_host_device_scalarIT2_EEPKiS8_PKS5_SA_S6_PS5_21rocsparse_index_base_b
		.amdhsa_group_segment_fixed_size 2048
		.amdhsa_private_segment_fixed_size 0
		.amdhsa_kernarg_size 88
		.amdhsa_user_sgpr_count 15
		.amdhsa_user_sgpr_dispatch_ptr 1
		.amdhsa_user_sgpr_queue_ptr 0
		.amdhsa_user_sgpr_kernarg_segment_ptr 1
		.amdhsa_user_sgpr_dispatch_id 0
		.amdhsa_user_sgpr_private_segment_size 0
		.amdhsa_wavefront_size32 1
		.amdhsa_uses_dynamic_stack 0
		.amdhsa_enable_private_segment 0
		.amdhsa_system_sgpr_workgroup_id_x 1
		.amdhsa_system_sgpr_workgroup_id_y 0
		.amdhsa_system_sgpr_workgroup_id_z 0
		.amdhsa_system_sgpr_workgroup_info 0
		.amdhsa_system_vgpr_workitem_id 2
		.amdhsa_next_free_vgpr 78
		.amdhsa_next_free_sgpr 18
		.amdhsa_reserve_vcc 1
		.amdhsa_float_round_mode_32 0
		.amdhsa_float_round_mode_16_64 0
		.amdhsa_float_denorm_mode_32 3
		.amdhsa_float_denorm_mode_16_64 3
		.amdhsa_dx10_clamp 1
		.amdhsa_ieee_mode 1
		.amdhsa_fp16_overflow 0
		.amdhsa_workgroup_processor_mode 1
		.amdhsa_memory_ordered 1
		.amdhsa_forward_progress 0
		.amdhsa_shared_vgpr_count 0
		.amdhsa_exception_fp_ieee_invalid_op 0
		.amdhsa_exception_fp_denorm_src 0
		.amdhsa_exception_fp_ieee_div_zero 0
		.amdhsa_exception_fp_ieee_overflow 0
		.amdhsa_exception_fp_ieee_underflow 0
		.amdhsa_exception_fp_ieee_inexact 0
		.amdhsa_exception_int_div_zero 0
	.end_amdhsa_kernel
	.section	.text._ZN9rocsparseL19gebsrmvn_4xn_kernelILj128ELj8ELj8E21rocsparse_complex_numIdEEEvi20rocsparse_direction_NS_24const_host_device_scalarIT2_EEPKiS8_PKS5_SA_S6_PS5_21rocsparse_index_base_b,"axG",@progbits,_ZN9rocsparseL19gebsrmvn_4xn_kernelILj128ELj8ELj8E21rocsparse_complex_numIdEEEvi20rocsparse_direction_NS_24const_host_device_scalarIT2_EEPKiS8_PKS5_SA_S6_PS5_21rocsparse_index_base_b,comdat
.Lfunc_end142:
	.size	_ZN9rocsparseL19gebsrmvn_4xn_kernelILj128ELj8ELj8E21rocsparse_complex_numIdEEEvi20rocsparse_direction_NS_24const_host_device_scalarIT2_EEPKiS8_PKS5_SA_S6_PS5_21rocsparse_index_base_b, .Lfunc_end142-_ZN9rocsparseL19gebsrmvn_4xn_kernelILj128ELj8ELj8E21rocsparse_complex_numIdEEEvi20rocsparse_direction_NS_24const_host_device_scalarIT2_EEPKiS8_PKS5_SA_S6_PS5_21rocsparse_index_base_b
                                        ; -- End function
	.section	.AMDGPU.csdata,"",@progbits
; Kernel info:
; codeLenInByte = 3400
; NumSgprs: 20
; NumVgprs: 78
; ScratchSize: 0
; MemoryBound: 0
; FloatMode: 240
; IeeeMode: 1
; LDSByteSize: 2048 bytes/workgroup (compile time only)
; SGPRBlocks: 2
; VGPRBlocks: 9
; NumSGPRsForWavesPerEU: 20
; NumVGPRsForWavesPerEU: 78
; Occupancy: 16
; WaveLimiterHint : 1
; COMPUTE_PGM_RSRC2:SCRATCH_EN: 0
; COMPUTE_PGM_RSRC2:USER_SGPR: 15
; COMPUTE_PGM_RSRC2:TRAP_HANDLER: 0
; COMPUTE_PGM_RSRC2:TGID_X_EN: 1
; COMPUTE_PGM_RSRC2:TGID_Y_EN: 0
; COMPUTE_PGM_RSRC2:TGID_Z_EN: 0
; COMPUTE_PGM_RSRC2:TIDIG_COMP_CNT: 2
	.section	.text._ZN9rocsparseL19gebsrmvn_4xn_kernelILj128ELj8ELj16E21rocsparse_complex_numIdEEEvi20rocsparse_direction_NS_24const_host_device_scalarIT2_EEPKiS8_PKS5_SA_S6_PS5_21rocsparse_index_base_b,"axG",@progbits,_ZN9rocsparseL19gebsrmvn_4xn_kernelILj128ELj8ELj16E21rocsparse_complex_numIdEEEvi20rocsparse_direction_NS_24const_host_device_scalarIT2_EEPKiS8_PKS5_SA_S6_PS5_21rocsparse_index_base_b,comdat
	.globl	_ZN9rocsparseL19gebsrmvn_4xn_kernelILj128ELj8ELj16E21rocsparse_complex_numIdEEEvi20rocsparse_direction_NS_24const_host_device_scalarIT2_EEPKiS8_PKS5_SA_S6_PS5_21rocsparse_index_base_b ; -- Begin function _ZN9rocsparseL19gebsrmvn_4xn_kernelILj128ELj8ELj16E21rocsparse_complex_numIdEEEvi20rocsparse_direction_NS_24const_host_device_scalarIT2_EEPKiS8_PKS5_SA_S6_PS5_21rocsparse_index_base_b
	.p2align	8
	.type	_ZN9rocsparseL19gebsrmvn_4xn_kernelILj128ELj8ELj16E21rocsparse_complex_numIdEEEvi20rocsparse_direction_NS_24const_host_device_scalarIT2_EEPKiS8_PKS5_SA_S6_PS5_21rocsparse_index_base_b,@function
_ZN9rocsparseL19gebsrmvn_4xn_kernelILj128ELj8ELj16E21rocsparse_complex_numIdEEEvi20rocsparse_direction_NS_24const_host_device_scalarIT2_EEPKiS8_PKS5_SA_S6_PS5_21rocsparse_index_base_b: ; @_ZN9rocsparseL19gebsrmvn_4xn_kernelILj128ELj8ELj16E21rocsparse_complex_numIdEEEvi20rocsparse_direction_NS_24const_host_device_scalarIT2_EEPKiS8_PKS5_SA_S6_PS5_21rocsparse_index_base_b
; %bb.0:
	s_load_b64 s[12:13], s[2:3], 0x50
	s_load_b64 s[16:17], s[0:1], 0x4
	s_load_b128 s[8:11], s[2:3], 0x8
	v_bfe_u32 v1, v0, 10, 10
	s_mov_b64 s[0:1], src_shared_base
	s_load_b128 s[4:7], s[2:3], 0x38
	v_and_b32_e32 v10, 0x3ff, v0
	v_bfe_u32 v0, v0, 20, 10
	s_waitcnt lgkmcnt(0)
	s_bitcmp1_b32 s13, 0
	v_mul_u32_u24_e32 v1, s17, v1
	s_cselect_b32 s0, -1, 0
	s_delay_alu instid0(SALU_CYCLE_1)
	s_and_b32 vcc_lo, s0, exec_lo
	s_cselect_b32 s13, s1, s9
	s_lshr_b32 s14, s16, 16
	v_dual_mov_b32 v2, s4 :: v_dual_mov_b32 v3, s5
	s_mul_i32 s14, s14, s17
	v_mov_b32_e32 v6, s13
	v_mad_u32_u24 v1, s14, v10, v1
	s_delay_alu instid0(VALU_DEP_1) | instskip(SKIP_1) | instid1(VALU_DEP_2)
	v_add_lshl_u32 v4, v1, v0, 3
	v_dual_mov_b32 v0, s8 :: v_dual_mov_b32 v1, s9
	v_add_nc_u32_e32 v5, 0x400, v4
	ds_store_2addr_stride64_b64 v4, v[2:3], v[0:1] offset1:2
	v_dual_mov_b32 v2, s10 :: v_dual_mov_b32 v3, s11
	v_cndmask_b32_e64 v5, s8, v5, s0
	s_xor_b32 s10, s0, -1
	flat_load_b64 v[0:1], v[5:6]
	s_cbranch_vccnz .LBB143_2
; %bb.1:
	v_dual_mov_b32 v2, s8 :: v_dual_mov_b32 v3, s9
	flat_load_b64 v[2:3], v[2:3] offset:8
.LBB143_2:
	s_and_b32 s8, s0, exec_lo
	s_cselect_b32 s1, s1, s5
	v_cndmask_b32_e64 v4, s4, v4, s0
	v_dual_mov_b32 v5, s1 :: v_dual_mov_b32 v6, s6
	v_mov_b32_e32 v7, s7
	s_and_not1_b32 vcc_lo, exec_lo, s10
	flat_load_b64 v[4:5], v[4:5]
	s_cbranch_vccnz .LBB143_4
; %bb.3:
	v_dual_mov_b32 v7, s5 :: v_dual_mov_b32 v6, s4
	flat_load_b64 v[6:7], v[6:7] offset:8
.LBB143_4:
	s_waitcnt vmcnt(1) lgkmcnt(1)
	v_cmp_eq_f64_e32 vcc_lo, 0, v[0:1]
	v_cmp_eq_f64_e64 s0, 0, v[2:3]
	s_delay_alu instid0(VALU_DEP_1)
	s_and_b32 s4, vcc_lo, s0
	s_mov_b32 s0, -1
	s_and_saveexec_b32 s1, s4
	s_cbranch_execz .LBB143_6
; %bb.5:
	s_waitcnt vmcnt(0) lgkmcnt(0)
	v_cmp_neq_f64_e32 vcc_lo, 1.0, v[4:5]
	v_cmp_neq_f64_e64 s0, 0, v[6:7]
	s_delay_alu instid0(VALU_DEP_1) | instskip(NEXT) | instid1(SALU_CYCLE_1)
	s_or_b32 s0, vcc_lo, s0
	s_or_not1_b32 s0, s0, exec_lo
.LBB143_6:
	s_or_b32 exec_lo, exec_lo, s1
	s_and_saveexec_b32 s1, s0
	s_cbranch_execz .LBB143_29
; %bb.7:
	s_load_b64 s[0:1], s[2:3], 0x0
	v_lshrrev_b32_e32 v8, 4, v10
	s_delay_alu instid0(VALU_DEP_1) | instskip(SKIP_1) | instid1(VALU_DEP_1)
	v_lshl_or_b32 v8, s15, 3, v8
	s_waitcnt lgkmcnt(0)
	v_cmp_gt_i32_e32 vcc_lo, s0, v8
	s_and_b32 exec_lo, exec_lo, vcc_lo
	s_cbranch_execz .LBB143_29
; %bb.8:
	s_load_b256 s[4:11], s[2:3], 0x18
	v_ashrrev_i32_e32 v9, 31, v8
	v_and_b32_e32 v41, 15, v10
	s_cmp_lg_u32 s1, 0
	s_delay_alu instid0(VALU_DEP_2) | instskip(SKIP_1) | instid1(VALU_DEP_1)
	v_lshlrev_b64 v[11:12], 2, v[8:9]
	s_waitcnt lgkmcnt(0)
	v_add_co_u32 v11, vcc_lo, s4, v11
	s_delay_alu instid0(VALU_DEP_2) | instskip(SKIP_4) | instid1(VALU_DEP_2)
	v_add_co_ci_u32_e32 v12, vcc_lo, s5, v12, vcc_lo
	global_load_b64 v[11:12], v[11:12], off
	s_waitcnt vmcnt(0)
	v_subrev_nc_u32_e32 v9, s12, v11
	v_subrev_nc_u32_e32 v33, s12, v12
	v_add_nc_u32_e32 v25, v9, v41
	s_delay_alu instid0(VALU_DEP_1)
	v_cmp_lt_i32_e64 s0, v25, v33
	s_cbranch_scc0 .LBB143_16
; %bb.9:
	v_mov_b32_e32 v9, 0
	v_mov_b32_e32 v10, 0
	s_delay_alu instid0(VALU_DEP_1)
	v_dual_mov_b32 v16, v10 :: v_dual_mov_b32 v15, v9
	v_dual_mov_b32 v12, v10 :: v_dual_mov_b32 v11, v9
	;; [unrolled: 1-line block ×7, first 2 shown]
	s_and_saveexec_b32 s1, s0
	s_cbranch_execz .LBB143_15
; %bb.10:
	v_dual_mov_b32 v9, 0 :: v_dual_lshlrev_b32 v26, 5, v25
	v_dual_mov_b32 v10, 0 :: v_dual_mov_b32 v29, 0
	v_mov_b32_e32 v30, v25
	s_delay_alu instid0(VALU_DEP_3) | instskip(SKIP_1) | instid1(VALU_DEP_3)
	v_or_b32_e32 v34, 4, v26
	s_add_u32 s13, s10, 16
	v_dual_mov_b32 v16, v10 :: v_dual_mov_b32 v15, v9
	v_dual_mov_b32 v12, v10 :: v_dual_mov_b32 v11, v9
	;; [unrolled: 1-line block ×7, first 2 shown]
	s_addc_u32 s15, s11, 0
	s_mov_b32 s14, 0
.LBB143_11:                             ; =>This Loop Header: Depth=1
                                        ;     Child Loop BB143_12 Depth 2
	v_ashrrev_i32_e32 v31, 31, v30
	s_mov_b64 s[4:5], 0
	s_delay_alu instid0(VALU_DEP_1) | instskip(NEXT) | instid1(VALU_DEP_1)
	v_lshlrev_b64 v[27:28], 2, v[30:31]
	v_add_co_u32 v27, vcc_lo, s6, v27
	s_delay_alu instid0(VALU_DEP_2) | instskip(SKIP_3) | instid1(VALU_DEP_1)
	v_add_co_ci_u32_e32 v28, vcc_lo, s7, v28, vcc_lo
	global_load_b32 v27, v[27:28], off
	s_waitcnt vmcnt(0)
	v_subrev_nc_u32_e32 v28, s12, v27
	v_dual_mov_b32 v27, v29 :: v_dual_lshlrev_b32 v28, 3, v28
	s_delay_alu instid0(VALU_DEP_1) | instskip(NEXT) | instid1(VALU_DEP_2)
	v_lshlrev_b64 v[31:32], 4, v[26:27]
	v_lshlrev_b64 v[36:37], 4, v[28:29]
	v_mov_b32_e32 v28, v34
	s_delay_alu instid0(VALU_DEP_3) | instskip(NEXT) | instid1(VALU_DEP_4)
	v_add_co_u32 v27, vcc_lo, s8, v31
	v_add_co_ci_u32_e32 v35, vcc_lo, s9, v32, vcc_lo
	s_delay_alu instid0(VALU_DEP_4)
	v_add_co_u32 v31, vcc_lo, s13, v36
	v_add_co_ci_u32_e32 v32, vcc_lo, s15, v37, vcc_lo
.LBB143_12:                             ;   Parent Loop BB143_11 Depth=1
                                        ; =>  This Inner Loop Header: Depth=2
	s_delay_alu instid0(VALU_DEP_4) | instskip(NEXT) | instid1(VALU_DEP_4)
	v_add_co_u32 v58, vcc_lo, v27, s4
	v_add_co_ci_u32_e32 v59, vcc_lo, s5, v35, vcc_lo
	v_lshlrev_b64 v[62:63], 4, v[28:29]
	s_clause 0x1
	global_load_b128 v[36:39], v[31:32], off
	global_load_b128 v[42:45], v[31:32], off offset:-16
	s_clause 0x3
	global_load_b128 v[46:49], v[58:59], off
	global_load_b128 v[50:53], v[58:59], off offset:16
	global_load_b128 v[54:57], v[58:59], off offset:32
	;; [unrolled: 1-line block ×3, first 2 shown]
	v_add_nc_u32_e32 v28, 8, v28
	s_add_u32 s4, s4, 0x80
	s_addc_u32 s5, s5, 0
	s_cmpk_eq_i32 s4, 0x200
	v_add_co_u32 v74, vcc_lo, s8, v62
	v_add_co_ci_u32_e32 v75, vcc_lo, s9, v63, vcc_lo
	s_clause 0x3
	global_load_b128 v[62:65], v[74:75], off
	global_load_b128 v[66:69], v[74:75], off offset:16
	global_load_b128 v[70:73], v[74:75], off offset:32
	global_load_b128 v[74:77], v[74:75], off offset:48
	v_add_co_u32 v31, vcc_lo, v31, 32
	v_add_co_ci_u32_e32 v32, vcc_lo, 0, v32, vcc_lo
	s_waitcnt vmcnt(7)
	v_fma_f64 v[15:16], v[46:47], v[42:43], v[15:16]
	v_fma_f64 v[9:10], v[48:49], v[42:43], v[9:10]
	s_waitcnt vmcnt(6)
	v_fma_f64 v[21:22], v[50:51], v[42:43], v[21:22]
	v_fma_f64 v[23:24], v[52:53], v[42:43], v[23:24]
	;; [unrolled: 3-line block ×4, first 2 shown]
	v_fma_f64 v[15:16], -v[48:49], v[44:45], v[15:16]
	v_fma_f64 v[9:10], v[46:47], v[44:45], v[9:10]
	v_fma_f64 v[21:22], -v[52:53], v[44:45], v[21:22]
	v_fma_f64 v[23:24], v[50:51], v[44:45], v[23:24]
	;; [unrolled: 2-line block ×4, first 2 shown]
	s_waitcnt vmcnt(3)
	v_fma_f64 v[15:16], v[62:63], v[36:37], v[15:16]
	v_fma_f64 v[9:10], v[64:65], v[36:37], v[9:10]
	s_waitcnt vmcnt(2)
	v_fma_f64 v[21:22], v[66:67], v[36:37], v[21:22]
	v_fma_f64 v[23:24], v[68:69], v[36:37], v[23:24]
	;; [unrolled: 3-line block ×4, first 2 shown]
	v_fma_f64 v[15:16], -v[64:65], v[38:39], v[15:16]
	v_fma_f64 v[9:10], v[62:63], v[38:39], v[9:10]
	v_fma_f64 v[21:22], -v[68:69], v[38:39], v[21:22]
	v_fma_f64 v[23:24], v[66:67], v[38:39], v[23:24]
	;; [unrolled: 2-line block ×4, first 2 shown]
	s_cbranch_scc0 .LBB143_12
; %bb.13:                               ;   in Loop: Header=BB143_11 Depth=1
	v_add_nc_u32_e32 v30, 16, v30
	v_add_nc_u32_e32 v34, 0x200, v34
	;; [unrolled: 1-line block ×3, first 2 shown]
	s_delay_alu instid0(VALU_DEP_3) | instskip(SKIP_1) | instid1(SALU_CYCLE_1)
	v_cmp_ge_i32_e32 vcc_lo, v30, v33
	s_or_b32 s14, vcc_lo, s14
	s_and_not1_b32 exec_lo, exec_lo, s14
	s_cbranch_execnz .LBB143_11
; %bb.14:
	s_or_b32 exec_lo, exec_lo, s14
.LBB143_15:
	s_delay_alu instid0(SALU_CYCLE_1)
	s_or_b32 exec_lo, exec_lo, s1
	s_cbranch_execz .LBB143_17
	s_branch .LBB143_24
.LBB143_16:
                                        ; implicit-def: $vgpr9_vgpr10
                                        ; implicit-def: $vgpr15_vgpr16
                                        ; implicit-def: $vgpr11_vgpr12
                                        ; implicit-def: $vgpr13_vgpr14
                                        ; implicit-def: $vgpr17_vgpr18
                                        ; implicit-def: $vgpr19_vgpr20
                                        ; implicit-def: $vgpr21_vgpr22
                                        ; implicit-def: $vgpr23_vgpr24
.LBB143_17:
	v_mov_b32_e32 v9, 0
	v_mov_b32_e32 v10, 0
	s_delay_alu instid0(VALU_DEP_1)
	v_dual_mov_b32 v16, v10 :: v_dual_mov_b32 v15, v9
	v_dual_mov_b32 v12, v10 :: v_dual_mov_b32 v11, v9
	;; [unrolled: 1-line block ×7, first 2 shown]
	s_and_saveexec_b32 s4, s0
	s_cbranch_execz .LBB143_23
; %bb.18:
	v_dual_mov_b32 v9, 0 :: v_dual_mov_b32 v28, 0
	v_dual_mov_b32 v10, 0 :: v_dual_lshlrev_b32 v27, 5, v25
	s_mov_b32 s5, 0
	s_delay_alu instid0(VALU_DEP_1)
	v_dual_mov_b32 v16, v10 :: v_dual_mov_b32 v15, v9
	v_dual_mov_b32 v12, v10 :: v_dual_mov_b32 v11, v9
	;; [unrolled: 1-line block ×7, first 2 shown]
.LBB143_19:                             ; =>This Loop Header: Depth=1
                                        ;     Child Loop BB143_20 Depth 2
	v_ashrrev_i32_e32 v26, 31, v25
	v_lshlrev_b64 v[31:32], 4, v[27:28]
	s_mov_b64 s[0:1], 0
	s_delay_alu instid0(VALU_DEP_2) | instskip(NEXT) | instid1(VALU_DEP_1)
	v_lshlrev_b64 v[29:30], 2, v[25:26]
	v_add_co_u32 v29, vcc_lo, s6, v29
	s_delay_alu instid0(VALU_DEP_2) | instskip(SKIP_3) | instid1(VALU_DEP_1)
	v_add_co_ci_u32_e32 v30, vcc_lo, s7, v30, vcc_lo
	global_load_b32 v26, v[29:30], off
	s_waitcnt vmcnt(0)
	v_subrev_nc_u32_e32 v26, s12, v26
	v_dual_mov_b32 v30, v28 :: v_dual_lshlrev_b32 v29, 3, v26
	v_add_co_u32 v26, vcc_lo, s8, v31
	s_delay_alu instid0(VALU_DEP_2) | instskip(SKIP_1) | instid1(VALU_DEP_2)
	v_lshlrev_b64 v[34:35], 4, v[29:30]
	v_add_co_ci_u32_e32 v29, vcc_lo, s9, v32, vcc_lo
	v_add_co_u32 v30, vcc_lo, s10, v34
	s_delay_alu instid0(VALU_DEP_3)
	v_add_co_ci_u32_e32 v31, vcc_lo, s11, v35, vcc_lo
.LBB143_20:                             ;   Parent Loop BB143_19 Depth=1
                                        ; =>  This Inner Loop Header: Depth=2
	v_add_co_u32 v38, vcc_lo, v26, s0
	s_delay_alu instid0(VALU_DEP_4) | instskip(NEXT) | instid1(VALU_DEP_4)
	v_add_co_ci_u32_e32 v39, vcc_lo, s1, v29, vcc_lo
	v_add_co_u32 v62, vcc_lo, v30, s0
	s_delay_alu instid0(VALU_DEP_4)
	v_add_co_ci_u32_e32 v63, vcc_lo, s1, v31, vcc_lo
	s_add_u32 s0, s0, 32
	global_load_b128 v[34:37], v[38:39], off
	global_load_b128 v[42:45], v[62:63], off
	s_clause 0x3
	global_load_b128 v[46:49], v[38:39], off offset:128
	global_load_b128 v[50:53], v[38:39], off offset:256
	;; [unrolled: 1-line block ×5, first 2 shown]
	s_clause 0x2
	global_load_b128 v[66:69], v[38:39], off offset:144
	global_load_b128 v[70:73], v[38:39], off offset:272
	;; [unrolled: 1-line block ×3, first 2 shown]
	s_addc_u32 s1, s1, 0
	s_cmpk_eq_i32 s0, 0x80
	s_waitcnt vmcnt(8)
	v_fma_f64 v[15:16], v[34:35], v[42:43], v[15:16]
	v_fma_f64 v[9:10], v[36:37], v[42:43], v[9:10]
	s_waitcnt vmcnt(7)
	v_fma_f64 v[21:22], v[46:47], v[42:43], v[21:22]
	v_fma_f64 v[23:24], v[48:49], v[42:43], v[23:24]
	;; [unrolled: 3-line block ×4, first 2 shown]
	v_fma_f64 v[15:16], -v[36:37], v[44:45], v[15:16]
	v_fma_f64 v[9:10], v[34:35], v[44:45], v[9:10]
	v_fma_f64 v[21:22], -v[48:49], v[44:45], v[21:22]
	v_fma_f64 v[23:24], v[46:47], v[44:45], v[23:24]
	;; [unrolled: 2-line block ×4, first 2 shown]
	s_waitcnt vmcnt(3)
	v_fma_f64 v[15:16], v[58:59], v[62:63], v[15:16]
	v_fma_f64 v[9:10], v[60:61], v[62:63], v[9:10]
	s_waitcnt vmcnt(2)
	v_fma_f64 v[21:22], v[66:67], v[62:63], v[21:22]
	v_fma_f64 v[23:24], v[68:69], v[62:63], v[23:24]
	;; [unrolled: 3-line block ×4, first 2 shown]
	v_fma_f64 v[15:16], -v[60:61], v[64:65], v[15:16]
	v_fma_f64 v[9:10], v[58:59], v[64:65], v[9:10]
	v_fma_f64 v[21:22], -v[68:69], v[64:65], v[21:22]
	v_fma_f64 v[23:24], v[66:67], v[64:65], v[23:24]
	;; [unrolled: 2-line block ×4, first 2 shown]
	s_cbranch_scc0 .LBB143_20
; %bb.21:                               ;   in Loop: Header=BB143_19 Depth=1
	v_add_nc_u32_e32 v25, 16, v25
	v_add_nc_u32_e32 v27, 0x200, v27
	s_delay_alu instid0(VALU_DEP_2) | instskip(SKIP_1) | instid1(SALU_CYCLE_1)
	v_cmp_ge_i32_e32 vcc_lo, v25, v33
	s_or_b32 s5, vcc_lo, s5
	s_and_not1_b32 exec_lo, exec_lo, s5
	s_cbranch_execnz .LBB143_19
; %bb.22:
	s_or_b32 exec_lo, exec_lo, s5
.LBB143_23:
	s_delay_alu instid0(SALU_CYCLE_1)
	s_or_b32 exec_lo, exec_lo, s4
.LBB143_24:
	v_mbcnt_lo_u32_b32 v44, -1, 0
	s_delay_alu instid0(VALU_DEP_1) | instskip(NEXT) | instid1(VALU_DEP_1)
	v_xor_b32_e32 v25, 8, v44
	v_cmp_gt_i32_e32 vcc_lo, 32, v25
	v_cndmask_b32_e32 v25, v44, v25, vcc_lo
	s_delay_alu instid0(VALU_DEP_1)
	v_lshlrev_b32_e32 v40, 2, v25
	ds_bpermute_b32 v25, v40, v15
	ds_bpermute_b32 v26, v40, v16
	;; [unrolled: 1-line block ×16, first 2 shown]
	s_waitcnt lgkmcnt(14)
	v_add_f64 v[15:16], v[15:16], v[25:26]
	v_xor_b32_e32 v25, 4, v44
	s_waitcnt lgkmcnt(12)
	v_add_f64 v[9:10], v[9:10], v[27:28]
	s_waitcnt lgkmcnt(10)
	v_add_f64 v[21:22], v[21:22], v[29:30]
	;; [unrolled: 2-line block ×3, first 2 shown]
	v_cmp_gt_i32_e32 vcc_lo, 32, v25
	s_waitcnt lgkmcnt(6)
	v_add_f64 v[17:18], v[17:18], v[33:34]
	s_waitcnt lgkmcnt(4)
	v_add_f64 v[19:20], v[19:20], v[35:36]
	;; [unrolled: 2-line block ×3, first 2 shown]
	v_cndmask_b32_e32 v25, v44, v25, vcc_lo
	s_waitcnt lgkmcnt(0)
	v_add_f64 v[13:14], v[13:14], v[39:40]
	s_delay_alu instid0(VALU_DEP_2)
	v_lshlrev_b32_e32 v40, 2, v25
	ds_bpermute_b32 v25, v40, v15
	ds_bpermute_b32 v26, v40, v16
	;; [unrolled: 1-line block ×16, first 2 shown]
	s_waitcnt lgkmcnt(14)
	v_add_f64 v[15:16], v[15:16], v[25:26]
	s_waitcnt lgkmcnt(12)
	v_add_f64 v[25:26], v[9:10], v[27:28]
	v_xor_b32_e32 v9, 2, v44
	s_waitcnt lgkmcnt(10)
	v_add_f64 v[21:22], v[21:22], v[29:30]
	s_waitcnt lgkmcnt(8)
	v_add_f64 v[27:28], v[23:24], v[31:32]
	;; [unrolled: 2-line block ×3, first 2 shown]
	v_cmp_gt_i32_e32 vcc_lo, 32, v9
	s_waitcnt lgkmcnt(4)
	v_add_f64 v[19:20], v[19:20], v[35:36]
	s_waitcnt lgkmcnt(2)
	v_add_f64 v[29:30], v[11:12], v[37:38]
	;; [unrolled: 2-line block ×3, first 2 shown]
	v_cndmask_b32_e32 v9, v44, v9, vcc_lo
	s_delay_alu instid0(VALU_DEP_1)
	v_lshlrev_b32_e32 v23, 2, v9
	ds_bpermute_b32 v9, v23, v15
	ds_bpermute_b32 v10, v23, v16
	;; [unrolled: 1-line block ×16, first 2 shown]
	s_waitcnt lgkmcnt(14)
	v_add_f64 v[9:10], v[15:16], v[9:10]
	s_waitcnt lgkmcnt(12)
	v_add_f64 v[23:24], v[25:26], v[11:12]
	v_xor_b32_e32 v25, 1, v44
	s_waitcnt lgkmcnt(10)
	v_add_f64 v[11:12], v[21:22], v[13:14]
	s_waitcnt lgkmcnt(8)
	v_add_f64 v[21:22], v[27:28], v[33:34]
	;; [unrolled: 2-line block ×3, first 2 shown]
	v_cmp_gt_i32_e32 vcc_lo, 32, v25
	s_waitcnt lgkmcnt(4)
	v_add_f64 v[19:20], v[19:20], v[37:38]
	s_waitcnt lgkmcnt(2)
	v_add_f64 v[15:16], v[29:30], v[39:40]
	;; [unrolled: 2-line block ×3, first 2 shown]
	v_cndmask_b32_e32 v25, v44, v25, vcc_lo
	v_cmp_eq_u32_e32 vcc_lo, 15, v41
	s_delay_alu instid0(VALU_DEP_2)
	v_lshlrev_b32_e32 v28, 2, v25
	ds_bpermute_b32 v39, v28, v9
	ds_bpermute_b32 v40, v28, v10
	;; [unrolled: 1-line block ×16, first 2 shown]
	s_and_b32 exec_lo, exec_lo, vcc_lo
	s_cbranch_execz .LBB143_29
; %bb.25:
	v_cmp_eq_f64_e32 vcc_lo, 0, v[4:5]
	v_cmp_eq_f64_e64 s0, 0, v[6:7]
	s_waitcnt lgkmcnt(14)
	v_add_f64 v[9:10], v[9:10], v[39:40]
	s_waitcnt lgkmcnt(12)
	v_add_f64 v[23:24], v[23:24], v[37:38]
	;; [unrolled: 2-line block ×8, first 2 shown]
	s_load_b64 s[2:3], s[2:3], 0x48
	s_and_b32 s0, vcc_lo, s0
	s_delay_alu instid0(SALU_CYCLE_1) | instskip(NEXT) | instid1(SALU_CYCLE_1)
	s_and_saveexec_b32 s1, s0
	s_xor_b32 s0, exec_lo, s1
	s_cbranch_execz .LBB143_27
; %bb.26:
	v_mul_f64 v[4:5], v[23:24], -v[2:3]
	v_mul_f64 v[6:7], v[0:1], v[23:24]
	v_mul_f64 v[23:24], v[21:22], -v[2:3]
	v_mul_f64 v[21:22], v[0:1], v[21:22]
	;; [unrolled: 2-line block ×4, first 2 shown]
	v_fma_f64 v[4:5], v[0:1], v[9:10], v[4:5]
	v_fma_f64 v[6:7], v[2:3], v[9:10], v[6:7]
	;; [unrolled: 1-line block ×8, first 2 shown]
	v_lshlrev_b32_e32 v13, 2, v8
                                        ; implicit-def: $vgpr8
                                        ; implicit-def: $vgpr23_vgpr24
                                        ; implicit-def: $vgpr21_vgpr22
                                        ; implicit-def: $vgpr15_vgpr16
	s_delay_alu instid0(VALU_DEP_1) | instskip(NEXT) | instid1(VALU_DEP_1)
	v_ashrrev_i32_e32 v14, 31, v13
	v_lshlrev_b64 v[13:14], 4, v[13:14]
	s_waitcnt lgkmcnt(0)
	s_delay_alu instid0(VALU_DEP_1) | instskip(NEXT) | instid1(VALU_DEP_2)
	v_add_co_u32 v13, vcc_lo, s2, v13
	v_add_co_ci_u32_e32 v14, vcc_lo, s3, v14, vcc_lo
	s_clause 0x3
	global_store_b128 v[13:14], v[4:7], off
	global_store_b128 v[13:14], v[9:12], off offset:16
	global_store_b128 v[13:14], v[17:20], off offset:32
	;; [unrolled: 1-line block ×3, first 2 shown]
                                        ; implicit-def: $vgpr0_vgpr1
                                        ; implicit-def: $vgpr2_vgpr3
                                        ; implicit-def: $vgpr4_vgpr5
                                        ; implicit-def: $vgpr6_vgpr7
                                        ; implicit-def: $vgpr9_vgpr10
                                        ; implicit-def: $vgpr11_vgpr12
                                        ; implicit-def: $vgpr13_vgpr14
                                        ; implicit-def: $vgpr19_vgpr20
                                        ; implicit-def: $vgpr17_vgpr18
.LBB143_27:
	s_and_not1_saveexec_b32 s0, s0
	s_cbranch_execz .LBB143_29
; %bb.28:
	v_lshlrev_b32_e32 v25, 2, v8
	v_mul_f64 v[43:44], v[23:24], -v[2:3]
	v_mul_f64 v[23:24], v[0:1], v[23:24]
	v_mul_f64 v[45:46], v[21:22], -v[2:3]
	v_mul_f64 v[21:22], v[0:1], v[21:22]
	v_ashrrev_i32_e32 v26, 31, v25
	v_mul_f64 v[47:48], v[19:20], -v[2:3]
	v_mul_f64 v[19:20], v[0:1], v[19:20]
	v_mul_f64 v[49:50], v[17:18], -v[2:3]
	v_mul_f64 v[17:18], v[0:1], v[17:18]
	v_lshlrev_b64 v[25:26], 4, v[25:26]
	s_waitcnt lgkmcnt(0)
	s_delay_alu instid0(VALU_DEP_1) | instskip(NEXT) | instid1(VALU_DEP_2)
	v_add_co_u32 v41, vcc_lo, s2, v25
	v_add_co_ci_u32_e32 v42, vcc_lo, s3, v26, vcc_lo
	s_clause 0x3
	global_load_b128 v[25:28], v[41:42], off
	global_load_b128 v[29:32], v[41:42], off offset:16
	global_load_b128 v[33:36], v[41:42], off offset:32
	;; [unrolled: 1-line block ×3, first 2 shown]
	v_fma_f64 v[43:44], v[0:1], v[9:10], v[43:44]
	v_fma_f64 v[8:9], v[2:3], v[9:10], v[23:24]
	;; [unrolled: 1-line block ×8, first 2 shown]
	s_waitcnt vmcnt(3)
	v_fma_f64 v[14:15], v[4:5], v[25:26], v[43:44]
	v_fma_f64 v[8:9], v[6:7], v[25:26], v[8:9]
	s_waitcnt vmcnt(2)
	v_fma_f64 v[16:17], v[4:5], v[29:30], v[23:24]
	v_fma_f64 v[10:11], v[6:7], v[29:30], v[10:11]
	s_waitcnt vmcnt(1)
	v_fma_f64 v[18:19], v[4:5], v[33:34], v[21:22]
	v_fma_f64 v[20:21], v[6:7], v[33:34], v[12:13]
	s_waitcnt vmcnt(0)
	v_fma_f64 v[22:23], v[4:5], v[37:38], v[0:1]
	v_fma_f64 v[24:25], v[6:7], v[37:38], v[2:3]
	v_fma_f64 v[0:1], -v[6:7], v[27:28], v[14:15]
	v_fma_f64 v[2:3], v[4:5], v[27:28], v[8:9]
	v_fma_f64 v[8:9], -v[6:7], v[31:32], v[16:17]
	v_fma_f64 v[10:11], v[4:5], v[31:32], v[10:11]
	;; [unrolled: 2-line block ×4, first 2 shown]
	s_clause 0x3
	global_store_b128 v[41:42], v[0:3], off
	global_store_b128 v[41:42], v[8:11], off offset:16
	global_store_b128 v[41:42], v[12:15], off offset:32
	;; [unrolled: 1-line block ×3, first 2 shown]
.LBB143_29:
	s_nop 0
	s_sendmsg sendmsg(MSG_DEALLOC_VGPRS)
	s_endpgm
	.section	.rodata,"a",@progbits
	.p2align	6, 0x0
	.amdhsa_kernel _ZN9rocsparseL19gebsrmvn_4xn_kernelILj128ELj8ELj16E21rocsparse_complex_numIdEEEvi20rocsparse_direction_NS_24const_host_device_scalarIT2_EEPKiS8_PKS5_SA_S6_PS5_21rocsparse_index_base_b
		.amdhsa_group_segment_fixed_size 2048
		.amdhsa_private_segment_fixed_size 0
		.amdhsa_kernarg_size 88
		.amdhsa_user_sgpr_count 15
		.amdhsa_user_sgpr_dispatch_ptr 1
		.amdhsa_user_sgpr_queue_ptr 0
		.amdhsa_user_sgpr_kernarg_segment_ptr 1
		.amdhsa_user_sgpr_dispatch_id 0
		.amdhsa_user_sgpr_private_segment_size 0
		.amdhsa_wavefront_size32 1
		.amdhsa_uses_dynamic_stack 0
		.amdhsa_enable_private_segment 0
		.amdhsa_system_sgpr_workgroup_id_x 1
		.amdhsa_system_sgpr_workgroup_id_y 0
		.amdhsa_system_sgpr_workgroup_id_z 0
		.amdhsa_system_sgpr_workgroup_info 0
		.amdhsa_system_vgpr_workitem_id 2
		.amdhsa_next_free_vgpr 78
		.amdhsa_next_free_sgpr 18
		.amdhsa_reserve_vcc 1
		.amdhsa_float_round_mode_32 0
		.amdhsa_float_round_mode_16_64 0
		.amdhsa_float_denorm_mode_32 3
		.amdhsa_float_denorm_mode_16_64 3
		.amdhsa_dx10_clamp 1
		.amdhsa_ieee_mode 1
		.amdhsa_fp16_overflow 0
		.amdhsa_workgroup_processor_mode 1
		.amdhsa_memory_ordered 1
		.amdhsa_forward_progress 0
		.amdhsa_shared_vgpr_count 0
		.amdhsa_exception_fp_ieee_invalid_op 0
		.amdhsa_exception_fp_denorm_src 0
		.amdhsa_exception_fp_ieee_div_zero 0
		.amdhsa_exception_fp_ieee_overflow 0
		.amdhsa_exception_fp_ieee_underflow 0
		.amdhsa_exception_fp_ieee_inexact 0
		.amdhsa_exception_int_div_zero 0
	.end_amdhsa_kernel
	.section	.text._ZN9rocsparseL19gebsrmvn_4xn_kernelILj128ELj8ELj16E21rocsparse_complex_numIdEEEvi20rocsparse_direction_NS_24const_host_device_scalarIT2_EEPKiS8_PKS5_SA_S6_PS5_21rocsparse_index_base_b,"axG",@progbits,_ZN9rocsparseL19gebsrmvn_4xn_kernelILj128ELj8ELj16E21rocsparse_complex_numIdEEEvi20rocsparse_direction_NS_24const_host_device_scalarIT2_EEPKiS8_PKS5_SA_S6_PS5_21rocsparse_index_base_b,comdat
.Lfunc_end143:
	.size	_ZN9rocsparseL19gebsrmvn_4xn_kernelILj128ELj8ELj16E21rocsparse_complex_numIdEEEvi20rocsparse_direction_NS_24const_host_device_scalarIT2_EEPKiS8_PKS5_SA_S6_PS5_21rocsparse_index_base_b, .Lfunc_end143-_ZN9rocsparseL19gebsrmvn_4xn_kernelILj128ELj8ELj16E21rocsparse_complex_numIdEEEvi20rocsparse_direction_NS_24const_host_device_scalarIT2_EEPKiS8_PKS5_SA_S6_PS5_21rocsparse_index_base_b
                                        ; -- End function
	.section	.AMDGPU.csdata,"",@progbits
; Kernel info:
; codeLenInByte = 3644
; NumSgprs: 20
; NumVgprs: 78
; ScratchSize: 0
; MemoryBound: 0
; FloatMode: 240
; IeeeMode: 1
; LDSByteSize: 2048 bytes/workgroup (compile time only)
; SGPRBlocks: 2
; VGPRBlocks: 9
; NumSGPRsForWavesPerEU: 20
; NumVGPRsForWavesPerEU: 78
; Occupancy: 16
; WaveLimiterHint : 1
; COMPUTE_PGM_RSRC2:SCRATCH_EN: 0
; COMPUTE_PGM_RSRC2:USER_SGPR: 15
; COMPUTE_PGM_RSRC2:TRAP_HANDLER: 0
; COMPUTE_PGM_RSRC2:TGID_X_EN: 1
; COMPUTE_PGM_RSRC2:TGID_Y_EN: 0
; COMPUTE_PGM_RSRC2:TGID_Z_EN: 0
; COMPUTE_PGM_RSRC2:TIDIG_COMP_CNT: 2
	.section	.text._ZN9rocsparseL19gebsrmvn_4xn_kernelILj128ELj8ELj32E21rocsparse_complex_numIdEEEvi20rocsparse_direction_NS_24const_host_device_scalarIT2_EEPKiS8_PKS5_SA_S6_PS5_21rocsparse_index_base_b,"axG",@progbits,_ZN9rocsparseL19gebsrmvn_4xn_kernelILj128ELj8ELj32E21rocsparse_complex_numIdEEEvi20rocsparse_direction_NS_24const_host_device_scalarIT2_EEPKiS8_PKS5_SA_S6_PS5_21rocsparse_index_base_b,comdat
	.globl	_ZN9rocsparseL19gebsrmvn_4xn_kernelILj128ELj8ELj32E21rocsparse_complex_numIdEEEvi20rocsparse_direction_NS_24const_host_device_scalarIT2_EEPKiS8_PKS5_SA_S6_PS5_21rocsparse_index_base_b ; -- Begin function _ZN9rocsparseL19gebsrmvn_4xn_kernelILj128ELj8ELj32E21rocsparse_complex_numIdEEEvi20rocsparse_direction_NS_24const_host_device_scalarIT2_EEPKiS8_PKS5_SA_S6_PS5_21rocsparse_index_base_b
	.p2align	8
	.type	_ZN9rocsparseL19gebsrmvn_4xn_kernelILj128ELj8ELj32E21rocsparse_complex_numIdEEEvi20rocsparse_direction_NS_24const_host_device_scalarIT2_EEPKiS8_PKS5_SA_S6_PS5_21rocsparse_index_base_b,@function
_ZN9rocsparseL19gebsrmvn_4xn_kernelILj128ELj8ELj32E21rocsparse_complex_numIdEEEvi20rocsparse_direction_NS_24const_host_device_scalarIT2_EEPKiS8_PKS5_SA_S6_PS5_21rocsparse_index_base_b: ; @_ZN9rocsparseL19gebsrmvn_4xn_kernelILj128ELj8ELj32E21rocsparse_complex_numIdEEEvi20rocsparse_direction_NS_24const_host_device_scalarIT2_EEPKiS8_PKS5_SA_S6_PS5_21rocsparse_index_base_b
; %bb.0:
	s_load_b64 s[12:13], s[2:3], 0x50
	s_load_b64 s[16:17], s[0:1], 0x4
	s_load_b128 s[8:11], s[2:3], 0x8
	v_bfe_u32 v1, v0, 10, 10
	s_mov_b64 s[0:1], src_shared_base
	s_load_b128 s[4:7], s[2:3], 0x38
	v_and_b32_e32 v10, 0x3ff, v0
	v_bfe_u32 v0, v0, 20, 10
	s_waitcnt lgkmcnt(0)
	s_bitcmp1_b32 s13, 0
	v_mul_u32_u24_e32 v1, s17, v1
	s_cselect_b32 s0, -1, 0
	s_delay_alu instid0(SALU_CYCLE_1)
	s_and_b32 vcc_lo, s0, exec_lo
	s_cselect_b32 s13, s1, s9
	s_lshr_b32 s14, s16, 16
	v_dual_mov_b32 v2, s4 :: v_dual_mov_b32 v3, s5
	s_mul_i32 s14, s14, s17
	v_mov_b32_e32 v6, s13
	v_mad_u32_u24 v1, s14, v10, v1
	s_delay_alu instid0(VALU_DEP_1) | instskip(SKIP_1) | instid1(VALU_DEP_2)
	v_add_lshl_u32 v4, v1, v0, 3
	v_dual_mov_b32 v0, s8 :: v_dual_mov_b32 v1, s9
	v_add_nc_u32_e32 v5, 0x400, v4
	ds_store_2addr_stride64_b64 v4, v[2:3], v[0:1] offset1:2
	v_dual_mov_b32 v2, s10 :: v_dual_mov_b32 v3, s11
	v_cndmask_b32_e64 v5, s8, v5, s0
	s_xor_b32 s10, s0, -1
	flat_load_b64 v[0:1], v[5:6]
	s_cbranch_vccnz .LBB144_2
; %bb.1:
	v_dual_mov_b32 v2, s8 :: v_dual_mov_b32 v3, s9
	flat_load_b64 v[2:3], v[2:3] offset:8
.LBB144_2:
	s_and_b32 s8, s0, exec_lo
	s_cselect_b32 s1, s1, s5
	v_cndmask_b32_e64 v4, s4, v4, s0
	v_dual_mov_b32 v5, s1 :: v_dual_mov_b32 v6, s6
	v_mov_b32_e32 v7, s7
	s_and_not1_b32 vcc_lo, exec_lo, s10
	flat_load_b64 v[4:5], v[4:5]
	s_cbranch_vccnz .LBB144_4
; %bb.3:
	v_dual_mov_b32 v7, s5 :: v_dual_mov_b32 v6, s4
	flat_load_b64 v[6:7], v[6:7] offset:8
.LBB144_4:
	s_waitcnt vmcnt(1) lgkmcnt(1)
	v_cmp_eq_f64_e32 vcc_lo, 0, v[0:1]
	v_cmp_eq_f64_e64 s0, 0, v[2:3]
	s_delay_alu instid0(VALU_DEP_1)
	s_and_b32 s4, vcc_lo, s0
	s_mov_b32 s0, -1
	s_and_saveexec_b32 s1, s4
	s_cbranch_execz .LBB144_6
; %bb.5:
	s_waitcnt vmcnt(0) lgkmcnt(0)
	v_cmp_neq_f64_e32 vcc_lo, 1.0, v[4:5]
	v_cmp_neq_f64_e64 s0, 0, v[6:7]
	s_delay_alu instid0(VALU_DEP_1) | instskip(NEXT) | instid1(SALU_CYCLE_1)
	s_or_b32 s0, vcc_lo, s0
	s_or_not1_b32 s0, s0, exec_lo
.LBB144_6:
	s_or_b32 exec_lo, exec_lo, s1
	s_and_saveexec_b32 s1, s0
	s_cbranch_execz .LBB144_29
; %bb.7:
	s_load_b64 s[0:1], s[2:3], 0x0
	v_lshrrev_b32_e32 v8, 5, v10
	s_delay_alu instid0(VALU_DEP_1) | instskip(SKIP_1) | instid1(VALU_DEP_1)
	v_lshl_or_b32 v8, s15, 2, v8
	s_waitcnt lgkmcnt(0)
	v_cmp_gt_i32_e32 vcc_lo, s0, v8
	s_and_b32 exec_lo, exec_lo, vcc_lo
	s_cbranch_execz .LBB144_29
; %bb.8:
	s_load_b256 s[4:11], s[2:3], 0x18
	v_ashrrev_i32_e32 v9, 31, v8
	v_and_b32_e32 v41, 31, v10
	s_cmp_lg_u32 s1, 0
	s_delay_alu instid0(VALU_DEP_2) | instskip(SKIP_1) | instid1(VALU_DEP_1)
	v_lshlrev_b64 v[11:12], 2, v[8:9]
	s_waitcnt lgkmcnt(0)
	v_add_co_u32 v11, vcc_lo, s4, v11
	s_delay_alu instid0(VALU_DEP_2) | instskip(SKIP_4) | instid1(VALU_DEP_2)
	v_add_co_ci_u32_e32 v12, vcc_lo, s5, v12, vcc_lo
	global_load_b64 v[11:12], v[11:12], off
	s_waitcnt vmcnt(0)
	v_subrev_nc_u32_e32 v9, s12, v11
	v_subrev_nc_u32_e32 v33, s12, v12
	v_add_nc_u32_e32 v25, v9, v41
	s_delay_alu instid0(VALU_DEP_1)
	v_cmp_lt_i32_e64 s0, v25, v33
	s_cbranch_scc0 .LBB144_16
; %bb.9:
	v_mov_b32_e32 v9, 0
	v_mov_b32_e32 v10, 0
	s_delay_alu instid0(VALU_DEP_1)
	v_dual_mov_b32 v16, v10 :: v_dual_mov_b32 v15, v9
	v_dual_mov_b32 v12, v10 :: v_dual_mov_b32 v11, v9
	;; [unrolled: 1-line block ×7, first 2 shown]
	s_and_saveexec_b32 s1, s0
	s_cbranch_execz .LBB144_15
; %bb.10:
	v_dual_mov_b32 v9, 0 :: v_dual_lshlrev_b32 v26, 5, v25
	v_dual_mov_b32 v10, 0 :: v_dual_mov_b32 v29, 0
	v_mov_b32_e32 v30, v25
	s_delay_alu instid0(VALU_DEP_3) | instskip(SKIP_1) | instid1(VALU_DEP_3)
	v_or_b32_e32 v34, 4, v26
	s_add_u32 s13, s10, 16
	v_dual_mov_b32 v16, v10 :: v_dual_mov_b32 v15, v9
	v_dual_mov_b32 v12, v10 :: v_dual_mov_b32 v11, v9
	;; [unrolled: 1-line block ×7, first 2 shown]
	s_addc_u32 s15, s11, 0
	s_mov_b32 s14, 0
.LBB144_11:                             ; =>This Loop Header: Depth=1
                                        ;     Child Loop BB144_12 Depth 2
	v_ashrrev_i32_e32 v31, 31, v30
	s_mov_b64 s[4:5], 0
	s_delay_alu instid0(VALU_DEP_1) | instskip(NEXT) | instid1(VALU_DEP_1)
	v_lshlrev_b64 v[27:28], 2, v[30:31]
	v_add_co_u32 v27, vcc_lo, s6, v27
	s_delay_alu instid0(VALU_DEP_2) | instskip(SKIP_3) | instid1(VALU_DEP_1)
	v_add_co_ci_u32_e32 v28, vcc_lo, s7, v28, vcc_lo
	global_load_b32 v27, v[27:28], off
	s_waitcnt vmcnt(0)
	v_subrev_nc_u32_e32 v28, s12, v27
	v_dual_mov_b32 v27, v29 :: v_dual_lshlrev_b32 v28, 3, v28
	s_delay_alu instid0(VALU_DEP_1) | instskip(NEXT) | instid1(VALU_DEP_2)
	v_lshlrev_b64 v[31:32], 4, v[26:27]
	v_lshlrev_b64 v[36:37], 4, v[28:29]
	v_mov_b32_e32 v28, v34
	s_delay_alu instid0(VALU_DEP_3) | instskip(NEXT) | instid1(VALU_DEP_4)
	v_add_co_u32 v27, vcc_lo, s8, v31
	v_add_co_ci_u32_e32 v35, vcc_lo, s9, v32, vcc_lo
	s_delay_alu instid0(VALU_DEP_4)
	v_add_co_u32 v31, vcc_lo, s13, v36
	v_add_co_ci_u32_e32 v32, vcc_lo, s15, v37, vcc_lo
.LBB144_12:                             ;   Parent Loop BB144_11 Depth=1
                                        ; =>  This Inner Loop Header: Depth=2
	s_delay_alu instid0(VALU_DEP_4) | instskip(NEXT) | instid1(VALU_DEP_4)
	v_add_co_u32 v58, vcc_lo, v27, s4
	v_add_co_ci_u32_e32 v59, vcc_lo, s5, v35, vcc_lo
	v_lshlrev_b64 v[62:63], 4, v[28:29]
	s_clause 0x1
	global_load_b128 v[36:39], v[31:32], off
	global_load_b128 v[42:45], v[31:32], off offset:-16
	s_clause 0x3
	global_load_b128 v[46:49], v[58:59], off
	global_load_b128 v[50:53], v[58:59], off offset:16
	global_load_b128 v[54:57], v[58:59], off offset:32
	;; [unrolled: 1-line block ×3, first 2 shown]
	v_add_nc_u32_e32 v28, 8, v28
	s_add_u32 s4, s4, 0x80
	s_addc_u32 s5, s5, 0
	s_cmpk_eq_i32 s4, 0x200
	v_add_co_u32 v74, vcc_lo, s8, v62
	v_add_co_ci_u32_e32 v75, vcc_lo, s9, v63, vcc_lo
	s_clause 0x3
	global_load_b128 v[62:65], v[74:75], off
	global_load_b128 v[66:69], v[74:75], off offset:16
	global_load_b128 v[70:73], v[74:75], off offset:32
	;; [unrolled: 1-line block ×3, first 2 shown]
	v_add_co_u32 v31, vcc_lo, v31, 32
	v_add_co_ci_u32_e32 v32, vcc_lo, 0, v32, vcc_lo
	s_waitcnt vmcnt(7)
	v_fma_f64 v[15:16], v[46:47], v[42:43], v[15:16]
	v_fma_f64 v[9:10], v[48:49], v[42:43], v[9:10]
	s_waitcnt vmcnt(6)
	v_fma_f64 v[21:22], v[50:51], v[42:43], v[21:22]
	v_fma_f64 v[23:24], v[52:53], v[42:43], v[23:24]
	;; [unrolled: 3-line block ×4, first 2 shown]
	v_fma_f64 v[15:16], -v[48:49], v[44:45], v[15:16]
	v_fma_f64 v[9:10], v[46:47], v[44:45], v[9:10]
	v_fma_f64 v[21:22], -v[52:53], v[44:45], v[21:22]
	v_fma_f64 v[23:24], v[50:51], v[44:45], v[23:24]
	;; [unrolled: 2-line block ×4, first 2 shown]
	s_waitcnt vmcnt(3)
	v_fma_f64 v[15:16], v[62:63], v[36:37], v[15:16]
	v_fma_f64 v[9:10], v[64:65], v[36:37], v[9:10]
	s_waitcnt vmcnt(2)
	v_fma_f64 v[21:22], v[66:67], v[36:37], v[21:22]
	v_fma_f64 v[23:24], v[68:69], v[36:37], v[23:24]
	;; [unrolled: 3-line block ×4, first 2 shown]
	v_fma_f64 v[15:16], -v[64:65], v[38:39], v[15:16]
	v_fma_f64 v[9:10], v[62:63], v[38:39], v[9:10]
	v_fma_f64 v[21:22], -v[68:69], v[38:39], v[21:22]
	v_fma_f64 v[23:24], v[66:67], v[38:39], v[23:24]
	;; [unrolled: 2-line block ×4, first 2 shown]
	s_cbranch_scc0 .LBB144_12
; %bb.13:                               ;   in Loop: Header=BB144_11 Depth=1
	v_add_nc_u32_e32 v30, 32, v30
	v_add_nc_u32_e32 v34, 0x400, v34
	;; [unrolled: 1-line block ×3, first 2 shown]
	s_delay_alu instid0(VALU_DEP_3) | instskip(SKIP_1) | instid1(SALU_CYCLE_1)
	v_cmp_ge_i32_e32 vcc_lo, v30, v33
	s_or_b32 s14, vcc_lo, s14
	s_and_not1_b32 exec_lo, exec_lo, s14
	s_cbranch_execnz .LBB144_11
; %bb.14:
	s_or_b32 exec_lo, exec_lo, s14
.LBB144_15:
	s_delay_alu instid0(SALU_CYCLE_1)
	s_or_b32 exec_lo, exec_lo, s1
	s_cbranch_execz .LBB144_17
	s_branch .LBB144_24
.LBB144_16:
                                        ; implicit-def: $vgpr9_vgpr10
                                        ; implicit-def: $vgpr15_vgpr16
                                        ; implicit-def: $vgpr11_vgpr12
                                        ; implicit-def: $vgpr13_vgpr14
                                        ; implicit-def: $vgpr17_vgpr18
                                        ; implicit-def: $vgpr19_vgpr20
                                        ; implicit-def: $vgpr21_vgpr22
                                        ; implicit-def: $vgpr23_vgpr24
.LBB144_17:
	v_mov_b32_e32 v9, 0
	v_mov_b32_e32 v10, 0
	s_delay_alu instid0(VALU_DEP_1)
	v_dual_mov_b32 v16, v10 :: v_dual_mov_b32 v15, v9
	v_dual_mov_b32 v12, v10 :: v_dual_mov_b32 v11, v9
	;; [unrolled: 1-line block ×7, first 2 shown]
	s_and_saveexec_b32 s4, s0
	s_cbranch_execz .LBB144_23
; %bb.18:
	v_dual_mov_b32 v9, 0 :: v_dual_mov_b32 v28, 0
	v_dual_mov_b32 v10, 0 :: v_dual_lshlrev_b32 v27, 5, v25
	s_mov_b32 s5, 0
	s_delay_alu instid0(VALU_DEP_1)
	v_dual_mov_b32 v16, v10 :: v_dual_mov_b32 v15, v9
	v_dual_mov_b32 v12, v10 :: v_dual_mov_b32 v11, v9
	;; [unrolled: 1-line block ×7, first 2 shown]
.LBB144_19:                             ; =>This Loop Header: Depth=1
                                        ;     Child Loop BB144_20 Depth 2
	v_ashrrev_i32_e32 v26, 31, v25
	v_lshlrev_b64 v[31:32], 4, v[27:28]
	s_mov_b64 s[0:1], 0
	s_delay_alu instid0(VALU_DEP_2) | instskip(NEXT) | instid1(VALU_DEP_1)
	v_lshlrev_b64 v[29:30], 2, v[25:26]
	v_add_co_u32 v29, vcc_lo, s6, v29
	s_delay_alu instid0(VALU_DEP_2) | instskip(SKIP_3) | instid1(VALU_DEP_1)
	v_add_co_ci_u32_e32 v30, vcc_lo, s7, v30, vcc_lo
	global_load_b32 v26, v[29:30], off
	s_waitcnt vmcnt(0)
	v_subrev_nc_u32_e32 v26, s12, v26
	v_dual_mov_b32 v30, v28 :: v_dual_lshlrev_b32 v29, 3, v26
	v_add_co_u32 v26, vcc_lo, s8, v31
	s_delay_alu instid0(VALU_DEP_2) | instskip(SKIP_1) | instid1(VALU_DEP_2)
	v_lshlrev_b64 v[34:35], 4, v[29:30]
	v_add_co_ci_u32_e32 v29, vcc_lo, s9, v32, vcc_lo
	v_add_co_u32 v30, vcc_lo, s10, v34
	s_delay_alu instid0(VALU_DEP_3)
	v_add_co_ci_u32_e32 v31, vcc_lo, s11, v35, vcc_lo
.LBB144_20:                             ;   Parent Loop BB144_19 Depth=1
                                        ; =>  This Inner Loop Header: Depth=2
	v_add_co_u32 v38, vcc_lo, v26, s0
	s_delay_alu instid0(VALU_DEP_4) | instskip(NEXT) | instid1(VALU_DEP_4)
	v_add_co_ci_u32_e32 v39, vcc_lo, s1, v29, vcc_lo
	v_add_co_u32 v62, vcc_lo, v30, s0
	s_delay_alu instid0(VALU_DEP_4)
	v_add_co_ci_u32_e32 v63, vcc_lo, s1, v31, vcc_lo
	s_add_u32 s0, s0, 32
	global_load_b128 v[34:37], v[38:39], off
	global_load_b128 v[42:45], v[62:63], off
	s_clause 0x3
	global_load_b128 v[46:49], v[38:39], off offset:128
	global_load_b128 v[50:53], v[38:39], off offset:256
	;; [unrolled: 1-line block ×5, first 2 shown]
	s_clause 0x2
	global_load_b128 v[66:69], v[38:39], off offset:144
	global_load_b128 v[70:73], v[38:39], off offset:272
	;; [unrolled: 1-line block ×3, first 2 shown]
	s_addc_u32 s1, s1, 0
	s_cmpk_eq_i32 s0, 0x80
	s_waitcnt vmcnt(8)
	v_fma_f64 v[15:16], v[34:35], v[42:43], v[15:16]
	v_fma_f64 v[9:10], v[36:37], v[42:43], v[9:10]
	s_waitcnt vmcnt(7)
	v_fma_f64 v[21:22], v[46:47], v[42:43], v[21:22]
	v_fma_f64 v[23:24], v[48:49], v[42:43], v[23:24]
	s_waitcnt vmcnt(6)
	v_fma_f64 v[17:18], v[50:51], v[42:43], v[17:18]
	v_fma_f64 v[19:20], v[52:53], v[42:43], v[19:20]
	s_waitcnt vmcnt(5)
	v_fma_f64 v[11:12], v[54:55], v[42:43], v[11:12]
	v_fma_f64 v[13:14], v[56:57], v[42:43], v[13:14]
	v_fma_f64 v[15:16], -v[36:37], v[44:45], v[15:16]
	v_fma_f64 v[9:10], v[34:35], v[44:45], v[9:10]
	v_fma_f64 v[21:22], -v[48:49], v[44:45], v[21:22]
	v_fma_f64 v[23:24], v[46:47], v[44:45], v[23:24]
	;; [unrolled: 2-line block ×4, first 2 shown]
	s_waitcnt vmcnt(3)
	v_fma_f64 v[15:16], v[58:59], v[62:63], v[15:16]
	v_fma_f64 v[9:10], v[60:61], v[62:63], v[9:10]
	s_waitcnt vmcnt(2)
	v_fma_f64 v[21:22], v[66:67], v[62:63], v[21:22]
	v_fma_f64 v[23:24], v[68:69], v[62:63], v[23:24]
	;; [unrolled: 3-line block ×4, first 2 shown]
	v_fma_f64 v[15:16], -v[60:61], v[64:65], v[15:16]
	v_fma_f64 v[9:10], v[58:59], v[64:65], v[9:10]
	v_fma_f64 v[21:22], -v[68:69], v[64:65], v[21:22]
	v_fma_f64 v[23:24], v[66:67], v[64:65], v[23:24]
	;; [unrolled: 2-line block ×4, first 2 shown]
	s_cbranch_scc0 .LBB144_20
; %bb.21:                               ;   in Loop: Header=BB144_19 Depth=1
	v_add_nc_u32_e32 v25, 32, v25
	v_add_nc_u32_e32 v27, 0x400, v27
	s_delay_alu instid0(VALU_DEP_2) | instskip(SKIP_1) | instid1(SALU_CYCLE_1)
	v_cmp_ge_i32_e32 vcc_lo, v25, v33
	s_or_b32 s5, vcc_lo, s5
	s_and_not1_b32 exec_lo, exec_lo, s5
	s_cbranch_execnz .LBB144_19
; %bb.22:
	s_or_b32 exec_lo, exec_lo, s5
.LBB144_23:
	s_delay_alu instid0(SALU_CYCLE_1)
	s_or_b32 exec_lo, exec_lo, s4
.LBB144_24:
	v_mbcnt_lo_u32_b32 v44, -1, 0
	s_delay_alu instid0(VALU_DEP_1) | instskip(NEXT) | instid1(VALU_DEP_1)
	v_xor_b32_e32 v25, 16, v44
	v_cmp_gt_i32_e32 vcc_lo, 32, v25
	v_cndmask_b32_e32 v25, v44, v25, vcc_lo
	s_delay_alu instid0(VALU_DEP_1)
	v_lshlrev_b32_e32 v40, 2, v25
	ds_bpermute_b32 v25, v40, v15
	ds_bpermute_b32 v26, v40, v16
	;; [unrolled: 1-line block ×16, first 2 shown]
	s_waitcnt lgkmcnt(14)
	v_add_f64 v[15:16], v[15:16], v[25:26]
	v_xor_b32_e32 v25, 8, v44
	s_waitcnt lgkmcnt(12)
	v_add_f64 v[9:10], v[9:10], v[27:28]
	s_waitcnt lgkmcnt(10)
	v_add_f64 v[21:22], v[21:22], v[29:30]
	s_waitcnt lgkmcnt(8)
	v_add_f64 v[23:24], v[23:24], v[31:32]
	v_cmp_gt_i32_e32 vcc_lo, 32, v25
	s_waitcnt lgkmcnt(6)
	v_add_f64 v[17:18], v[17:18], v[33:34]
	s_waitcnt lgkmcnt(4)
	v_add_f64 v[19:20], v[19:20], v[35:36]
	s_waitcnt lgkmcnt(2)
	v_add_f64 v[11:12], v[11:12], v[37:38]
	v_cndmask_b32_e32 v25, v44, v25, vcc_lo
	s_waitcnt lgkmcnt(0)
	v_add_f64 v[13:14], v[13:14], v[39:40]
	s_delay_alu instid0(VALU_DEP_2)
	v_lshlrev_b32_e32 v40, 2, v25
	ds_bpermute_b32 v25, v40, v15
	ds_bpermute_b32 v26, v40, v16
	;; [unrolled: 1-line block ×16, first 2 shown]
	s_waitcnt lgkmcnt(14)
	v_add_f64 v[15:16], v[15:16], v[25:26]
	v_xor_b32_e32 v25, 4, v44
	s_waitcnt lgkmcnt(12)
	v_add_f64 v[9:10], v[9:10], v[27:28]
	s_waitcnt lgkmcnt(10)
	v_add_f64 v[21:22], v[21:22], v[29:30]
	;; [unrolled: 2-line block ×3, first 2 shown]
	v_cmp_gt_i32_e32 vcc_lo, 32, v25
	s_waitcnt lgkmcnt(6)
	v_add_f64 v[17:18], v[17:18], v[33:34]
	s_waitcnt lgkmcnt(4)
	v_add_f64 v[19:20], v[19:20], v[35:36]
	;; [unrolled: 2-line block ×3, first 2 shown]
	v_cndmask_b32_e32 v25, v44, v25, vcc_lo
	s_waitcnt lgkmcnt(0)
	v_add_f64 v[13:14], v[13:14], v[39:40]
	s_delay_alu instid0(VALU_DEP_2)
	v_lshlrev_b32_e32 v40, 2, v25
	ds_bpermute_b32 v25, v40, v15
	ds_bpermute_b32 v26, v40, v16
	;; [unrolled: 1-line block ×16, first 2 shown]
	s_waitcnt lgkmcnt(14)
	v_add_f64 v[15:16], v[15:16], v[25:26]
	s_waitcnt lgkmcnt(12)
	v_add_f64 v[25:26], v[9:10], v[27:28]
	v_xor_b32_e32 v9, 2, v44
	s_waitcnt lgkmcnt(10)
	v_add_f64 v[21:22], v[21:22], v[29:30]
	s_waitcnt lgkmcnt(8)
	v_add_f64 v[27:28], v[23:24], v[31:32]
	;; [unrolled: 2-line block ×3, first 2 shown]
	v_cmp_gt_i32_e32 vcc_lo, 32, v9
	s_waitcnt lgkmcnt(4)
	v_add_f64 v[19:20], v[19:20], v[35:36]
	s_waitcnt lgkmcnt(2)
	v_add_f64 v[29:30], v[11:12], v[37:38]
	;; [unrolled: 2-line block ×3, first 2 shown]
	v_cndmask_b32_e32 v9, v44, v9, vcc_lo
	s_delay_alu instid0(VALU_DEP_1)
	v_lshlrev_b32_e32 v23, 2, v9
	ds_bpermute_b32 v9, v23, v15
	ds_bpermute_b32 v10, v23, v16
	;; [unrolled: 1-line block ×16, first 2 shown]
	s_waitcnt lgkmcnt(14)
	v_add_f64 v[9:10], v[15:16], v[9:10]
	s_waitcnt lgkmcnt(12)
	v_add_f64 v[23:24], v[25:26], v[11:12]
	v_xor_b32_e32 v25, 1, v44
	s_waitcnt lgkmcnt(10)
	v_add_f64 v[11:12], v[21:22], v[13:14]
	s_waitcnt lgkmcnt(8)
	v_add_f64 v[21:22], v[27:28], v[33:34]
	;; [unrolled: 2-line block ×3, first 2 shown]
	v_cmp_gt_i32_e32 vcc_lo, 32, v25
	s_waitcnt lgkmcnt(4)
	v_add_f64 v[19:20], v[19:20], v[37:38]
	s_waitcnt lgkmcnt(2)
	v_add_f64 v[15:16], v[29:30], v[39:40]
	s_waitcnt lgkmcnt(0)
	v_add_f64 v[17:18], v[31:32], v[42:43]
	v_cndmask_b32_e32 v25, v44, v25, vcc_lo
	v_cmp_eq_u32_e32 vcc_lo, 31, v41
	s_delay_alu instid0(VALU_DEP_2)
	v_lshlrev_b32_e32 v28, 2, v25
	ds_bpermute_b32 v39, v28, v9
	ds_bpermute_b32 v40, v28, v10
	;; [unrolled: 1-line block ×16, first 2 shown]
	s_and_b32 exec_lo, exec_lo, vcc_lo
	s_cbranch_execz .LBB144_29
; %bb.25:
	v_cmp_eq_f64_e32 vcc_lo, 0, v[4:5]
	v_cmp_eq_f64_e64 s0, 0, v[6:7]
	s_waitcnt lgkmcnt(14)
	v_add_f64 v[9:10], v[9:10], v[39:40]
	s_waitcnt lgkmcnt(12)
	v_add_f64 v[23:24], v[23:24], v[37:38]
	;; [unrolled: 2-line block ×8, first 2 shown]
	s_load_b64 s[2:3], s[2:3], 0x48
	s_and_b32 s0, vcc_lo, s0
	s_delay_alu instid0(SALU_CYCLE_1) | instskip(NEXT) | instid1(SALU_CYCLE_1)
	s_and_saveexec_b32 s1, s0
	s_xor_b32 s0, exec_lo, s1
	s_cbranch_execz .LBB144_27
; %bb.26:
	v_mul_f64 v[4:5], v[23:24], -v[2:3]
	v_mul_f64 v[6:7], v[0:1], v[23:24]
	v_mul_f64 v[23:24], v[21:22], -v[2:3]
	v_mul_f64 v[21:22], v[0:1], v[21:22]
	;; [unrolled: 2-line block ×4, first 2 shown]
	v_fma_f64 v[4:5], v[0:1], v[9:10], v[4:5]
	v_fma_f64 v[6:7], v[2:3], v[9:10], v[6:7]
	v_fma_f64 v[9:10], v[0:1], v[11:12], v[23:24]
	v_fma_f64 v[11:12], v[2:3], v[11:12], v[21:22]
	v_fma_f64 v[17:18], v[0:1], v[13:14], v[25:26]
	v_fma_f64 v[19:20], v[2:3], v[13:14], v[19:20]
	v_fma_f64 v[0:1], v[0:1], v[15:16], v[27:28]
	v_fma_f64 v[2:3], v[2:3], v[15:16], v[29:30]
	v_lshlrev_b32_e32 v13, 2, v8
                                        ; implicit-def: $vgpr8
                                        ; implicit-def: $vgpr23_vgpr24
                                        ; implicit-def: $vgpr21_vgpr22
                                        ; implicit-def: $vgpr15_vgpr16
	s_delay_alu instid0(VALU_DEP_1) | instskip(NEXT) | instid1(VALU_DEP_1)
	v_ashrrev_i32_e32 v14, 31, v13
	v_lshlrev_b64 v[13:14], 4, v[13:14]
	s_waitcnt lgkmcnt(0)
	s_delay_alu instid0(VALU_DEP_1) | instskip(NEXT) | instid1(VALU_DEP_2)
	v_add_co_u32 v13, vcc_lo, s2, v13
	v_add_co_ci_u32_e32 v14, vcc_lo, s3, v14, vcc_lo
	s_clause 0x3
	global_store_b128 v[13:14], v[4:7], off
	global_store_b128 v[13:14], v[9:12], off offset:16
	global_store_b128 v[13:14], v[17:20], off offset:32
	;; [unrolled: 1-line block ×3, first 2 shown]
                                        ; implicit-def: $vgpr0_vgpr1
                                        ; implicit-def: $vgpr2_vgpr3
                                        ; implicit-def: $vgpr4_vgpr5
                                        ; implicit-def: $vgpr6_vgpr7
                                        ; implicit-def: $vgpr9_vgpr10
                                        ; implicit-def: $vgpr11_vgpr12
                                        ; implicit-def: $vgpr13_vgpr14
                                        ; implicit-def: $vgpr19_vgpr20
                                        ; implicit-def: $vgpr17_vgpr18
.LBB144_27:
	s_and_not1_saveexec_b32 s0, s0
	s_cbranch_execz .LBB144_29
; %bb.28:
	v_lshlrev_b32_e32 v25, 2, v8
	v_mul_f64 v[43:44], v[23:24], -v[2:3]
	v_mul_f64 v[23:24], v[0:1], v[23:24]
	v_mul_f64 v[45:46], v[21:22], -v[2:3]
	v_mul_f64 v[21:22], v[0:1], v[21:22]
	v_ashrrev_i32_e32 v26, 31, v25
	v_mul_f64 v[47:48], v[19:20], -v[2:3]
	v_mul_f64 v[19:20], v[0:1], v[19:20]
	v_mul_f64 v[49:50], v[17:18], -v[2:3]
	v_mul_f64 v[17:18], v[0:1], v[17:18]
	v_lshlrev_b64 v[25:26], 4, v[25:26]
	s_waitcnt lgkmcnt(0)
	s_delay_alu instid0(VALU_DEP_1) | instskip(NEXT) | instid1(VALU_DEP_2)
	v_add_co_u32 v41, vcc_lo, s2, v25
	v_add_co_ci_u32_e32 v42, vcc_lo, s3, v26, vcc_lo
	s_clause 0x3
	global_load_b128 v[25:28], v[41:42], off
	global_load_b128 v[29:32], v[41:42], off offset:16
	global_load_b128 v[33:36], v[41:42], off offset:32
	;; [unrolled: 1-line block ×3, first 2 shown]
	v_fma_f64 v[43:44], v[0:1], v[9:10], v[43:44]
	v_fma_f64 v[8:9], v[2:3], v[9:10], v[23:24]
	;; [unrolled: 1-line block ×8, first 2 shown]
	s_waitcnt vmcnt(3)
	v_fma_f64 v[14:15], v[4:5], v[25:26], v[43:44]
	v_fma_f64 v[8:9], v[6:7], v[25:26], v[8:9]
	s_waitcnt vmcnt(2)
	v_fma_f64 v[16:17], v[4:5], v[29:30], v[23:24]
	v_fma_f64 v[10:11], v[6:7], v[29:30], v[10:11]
	;; [unrolled: 3-line block ×4, first 2 shown]
	v_fma_f64 v[0:1], -v[6:7], v[27:28], v[14:15]
	v_fma_f64 v[2:3], v[4:5], v[27:28], v[8:9]
	v_fma_f64 v[8:9], -v[6:7], v[31:32], v[16:17]
	v_fma_f64 v[10:11], v[4:5], v[31:32], v[10:11]
	v_fma_f64 v[12:13], -v[6:7], v[35:36], v[18:19]
	v_fma_f64 v[14:15], v[4:5], v[35:36], v[20:21]
	v_fma_f64 v[16:17], -v[6:7], v[39:40], v[22:23]
	v_fma_f64 v[18:19], v[4:5], v[39:40], v[24:25]
	s_clause 0x3
	global_store_b128 v[41:42], v[0:3], off
	global_store_b128 v[41:42], v[8:11], off offset:16
	global_store_b128 v[41:42], v[12:15], off offset:32
	;; [unrolled: 1-line block ×3, first 2 shown]
.LBB144_29:
	s_nop 0
	s_sendmsg sendmsg(MSG_DEALLOC_VGPRS)
	s_endpgm
	.section	.rodata,"a",@progbits
	.p2align	6, 0x0
	.amdhsa_kernel _ZN9rocsparseL19gebsrmvn_4xn_kernelILj128ELj8ELj32E21rocsparse_complex_numIdEEEvi20rocsparse_direction_NS_24const_host_device_scalarIT2_EEPKiS8_PKS5_SA_S6_PS5_21rocsparse_index_base_b
		.amdhsa_group_segment_fixed_size 2048
		.amdhsa_private_segment_fixed_size 0
		.amdhsa_kernarg_size 88
		.amdhsa_user_sgpr_count 15
		.amdhsa_user_sgpr_dispatch_ptr 1
		.amdhsa_user_sgpr_queue_ptr 0
		.amdhsa_user_sgpr_kernarg_segment_ptr 1
		.amdhsa_user_sgpr_dispatch_id 0
		.amdhsa_user_sgpr_private_segment_size 0
		.amdhsa_wavefront_size32 1
		.amdhsa_uses_dynamic_stack 0
		.amdhsa_enable_private_segment 0
		.amdhsa_system_sgpr_workgroup_id_x 1
		.amdhsa_system_sgpr_workgroup_id_y 0
		.amdhsa_system_sgpr_workgroup_id_z 0
		.amdhsa_system_sgpr_workgroup_info 0
		.amdhsa_system_vgpr_workitem_id 2
		.amdhsa_next_free_vgpr 78
		.amdhsa_next_free_sgpr 18
		.amdhsa_reserve_vcc 1
		.amdhsa_float_round_mode_32 0
		.amdhsa_float_round_mode_16_64 0
		.amdhsa_float_denorm_mode_32 3
		.amdhsa_float_denorm_mode_16_64 3
		.amdhsa_dx10_clamp 1
		.amdhsa_ieee_mode 1
		.amdhsa_fp16_overflow 0
		.amdhsa_workgroup_processor_mode 1
		.amdhsa_memory_ordered 1
		.amdhsa_forward_progress 0
		.amdhsa_shared_vgpr_count 0
		.amdhsa_exception_fp_ieee_invalid_op 0
		.amdhsa_exception_fp_denorm_src 0
		.amdhsa_exception_fp_ieee_div_zero 0
		.amdhsa_exception_fp_ieee_overflow 0
		.amdhsa_exception_fp_ieee_underflow 0
		.amdhsa_exception_fp_ieee_inexact 0
		.amdhsa_exception_int_div_zero 0
	.end_amdhsa_kernel
	.section	.text._ZN9rocsparseL19gebsrmvn_4xn_kernelILj128ELj8ELj32E21rocsparse_complex_numIdEEEvi20rocsparse_direction_NS_24const_host_device_scalarIT2_EEPKiS8_PKS5_SA_S6_PS5_21rocsparse_index_base_b,"axG",@progbits,_ZN9rocsparseL19gebsrmvn_4xn_kernelILj128ELj8ELj32E21rocsparse_complex_numIdEEEvi20rocsparse_direction_NS_24const_host_device_scalarIT2_EEPKiS8_PKS5_SA_S6_PS5_21rocsparse_index_base_b,comdat
.Lfunc_end144:
	.size	_ZN9rocsparseL19gebsrmvn_4xn_kernelILj128ELj8ELj32E21rocsparse_complex_numIdEEEvi20rocsparse_direction_NS_24const_host_device_scalarIT2_EEPKiS8_PKS5_SA_S6_PS5_21rocsparse_index_base_b, .Lfunc_end144-_ZN9rocsparseL19gebsrmvn_4xn_kernelILj128ELj8ELj32E21rocsparse_complex_numIdEEEvi20rocsparse_direction_NS_24const_host_device_scalarIT2_EEPKiS8_PKS5_SA_S6_PS5_21rocsparse_index_base_b
                                        ; -- End function
	.section	.AMDGPU.csdata,"",@progbits
; Kernel info:
; codeLenInByte = 3888
; NumSgprs: 20
; NumVgprs: 78
; ScratchSize: 0
; MemoryBound: 0
; FloatMode: 240
; IeeeMode: 1
; LDSByteSize: 2048 bytes/workgroup (compile time only)
; SGPRBlocks: 2
; VGPRBlocks: 9
; NumSGPRsForWavesPerEU: 20
; NumVGPRsForWavesPerEU: 78
; Occupancy: 16
; WaveLimiterHint : 1
; COMPUTE_PGM_RSRC2:SCRATCH_EN: 0
; COMPUTE_PGM_RSRC2:USER_SGPR: 15
; COMPUTE_PGM_RSRC2:TRAP_HANDLER: 0
; COMPUTE_PGM_RSRC2:TGID_X_EN: 1
; COMPUTE_PGM_RSRC2:TGID_Y_EN: 0
; COMPUTE_PGM_RSRC2:TGID_Z_EN: 0
; COMPUTE_PGM_RSRC2:TIDIG_COMP_CNT: 2
	.section	.text._ZN9rocsparseL19gebsrmvn_4xn_kernelILj128ELj8ELj64E21rocsparse_complex_numIdEEEvi20rocsparse_direction_NS_24const_host_device_scalarIT2_EEPKiS8_PKS5_SA_S6_PS5_21rocsparse_index_base_b,"axG",@progbits,_ZN9rocsparseL19gebsrmvn_4xn_kernelILj128ELj8ELj64E21rocsparse_complex_numIdEEEvi20rocsparse_direction_NS_24const_host_device_scalarIT2_EEPKiS8_PKS5_SA_S6_PS5_21rocsparse_index_base_b,comdat
	.globl	_ZN9rocsparseL19gebsrmvn_4xn_kernelILj128ELj8ELj64E21rocsparse_complex_numIdEEEvi20rocsparse_direction_NS_24const_host_device_scalarIT2_EEPKiS8_PKS5_SA_S6_PS5_21rocsparse_index_base_b ; -- Begin function _ZN9rocsparseL19gebsrmvn_4xn_kernelILj128ELj8ELj64E21rocsparse_complex_numIdEEEvi20rocsparse_direction_NS_24const_host_device_scalarIT2_EEPKiS8_PKS5_SA_S6_PS5_21rocsparse_index_base_b
	.p2align	8
	.type	_ZN9rocsparseL19gebsrmvn_4xn_kernelILj128ELj8ELj64E21rocsparse_complex_numIdEEEvi20rocsparse_direction_NS_24const_host_device_scalarIT2_EEPKiS8_PKS5_SA_S6_PS5_21rocsparse_index_base_b,@function
_ZN9rocsparseL19gebsrmvn_4xn_kernelILj128ELj8ELj64E21rocsparse_complex_numIdEEEvi20rocsparse_direction_NS_24const_host_device_scalarIT2_EEPKiS8_PKS5_SA_S6_PS5_21rocsparse_index_base_b: ; @_ZN9rocsparseL19gebsrmvn_4xn_kernelILj128ELj8ELj64E21rocsparse_complex_numIdEEEvi20rocsparse_direction_NS_24const_host_device_scalarIT2_EEPKiS8_PKS5_SA_S6_PS5_21rocsparse_index_base_b
; %bb.0:
	s_load_b64 s[12:13], s[2:3], 0x50
	s_load_b64 s[16:17], s[0:1], 0x4
	s_load_b128 s[8:11], s[2:3], 0x8
	v_bfe_u32 v1, v0, 10, 10
	s_mov_b64 s[0:1], src_shared_base
	s_load_b128 s[4:7], s[2:3], 0x38
	v_and_b32_e32 v10, 0x3ff, v0
	v_bfe_u32 v0, v0, 20, 10
	s_waitcnt lgkmcnt(0)
	s_bitcmp1_b32 s13, 0
	v_mul_u32_u24_e32 v1, s17, v1
	s_cselect_b32 s0, -1, 0
	s_delay_alu instid0(SALU_CYCLE_1)
	s_and_b32 vcc_lo, s0, exec_lo
	s_cselect_b32 s13, s1, s9
	s_lshr_b32 s14, s16, 16
	v_dual_mov_b32 v2, s4 :: v_dual_mov_b32 v3, s5
	s_mul_i32 s14, s14, s17
	v_mov_b32_e32 v6, s13
	v_mad_u32_u24 v1, s14, v10, v1
	s_delay_alu instid0(VALU_DEP_1) | instskip(SKIP_1) | instid1(VALU_DEP_2)
	v_add_lshl_u32 v4, v1, v0, 3
	v_dual_mov_b32 v0, s8 :: v_dual_mov_b32 v1, s9
	v_add_nc_u32_e32 v5, 0x400, v4
	ds_store_2addr_stride64_b64 v4, v[2:3], v[0:1] offset1:2
	v_dual_mov_b32 v2, s10 :: v_dual_mov_b32 v3, s11
	v_cndmask_b32_e64 v5, s8, v5, s0
	s_xor_b32 s10, s0, -1
	flat_load_b64 v[0:1], v[5:6]
	s_cbranch_vccnz .LBB145_2
; %bb.1:
	v_dual_mov_b32 v2, s8 :: v_dual_mov_b32 v3, s9
	flat_load_b64 v[2:3], v[2:3] offset:8
.LBB145_2:
	s_and_b32 s8, s0, exec_lo
	s_cselect_b32 s1, s1, s5
	v_cndmask_b32_e64 v4, s4, v4, s0
	v_dual_mov_b32 v5, s1 :: v_dual_mov_b32 v6, s6
	v_mov_b32_e32 v7, s7
	s_and_not1_b32 vcc_lo, exec_lo, s10
	flat_load_b64 v[4:5], v[4:5]
	s_cbranch_vccnz .LBB145_4
; %bb.3:
	v_dual_mov_b32 v7, s5 :: v_dual_mov_b32 v6, s4
	flat_load_b64 v[6:7], v[6:7] offset:8
.LBB145_4:
	s_waitcnt vmcnt(1) lgkmcnt(1)
	v_cmp_eq_f64_e32 vcc_lo, 0, v[0:1]
	v_cmp_eq_f64_e64 s0, 0, v[2:3]
	s_delay_alu instid0(VALU_DEP_1)
	s_and_b32 s4, vcc_lo, s0
	s_mov_b32 s0, -1
	s_and_saveexec_b32 s1, s4
	s_cbranch_execz .LBB145_6
; %bb.5:
	s_waitcnt vmcnt(0) lgkmcnt(0)
	v_cmp_neq_f64_e32 vcc_lo, 1.0, v[4:5]
	v_cmp_neq_f64_e64 s0, 0, v[6:7]
	s_delay_alu instid0(VALU_DEP_1) | instskip(NEXT) | instid1(SALU_CYCLE_1)
	s_or_b32 s0, vcc_lo, s0
	s_or_not1_b32 s0, s0, exec_lo
.LBB145_6:
	s_or_b32 exec_lo, exec_lo, s1
	s_and_saveexec_b32 s1, s0
	s_cbranch_execz .LBB145_29
; %bb.7:
	s_load_b64 s[0:1], s[2:3], 0x0
	v_lshrrev_b32_e32 v8, 6, v10
	s_delay_alu instid0(VALU_DEP_1) | instskip(SKIP_1) | instid1(VALU_DEP_1)
	v_lshl_or_b32 v8, s15, 1, v8
	s_waitcnt lgkmcnt(0)
	v_cmp_gt_i32_e32 vcc_lo, s0, v8
	s_and_b32 exec_lo, exec_lo, vcc_lo
	s_cbranch_execz .LBB145_29
; %bb.8:
	s_load_b256 s[4:11], s[2:3], 0x18
	v_ashrrev_i32_e32 v9, 31, v8
	v_and_b32_e32 v41, 63, v10
	s_cmp_lg_u32 s1, 0
	s_delay_alu instid0(VALU_DEP_2) | instskip(SKIP_1) | instid1(VALU_DEP_1)
	v_lshlrev_b64 v[11:12], 2, v[8:9]
	s_waitcnt lgkmcnt(0)
	v_add_co_u32 v11, vcc_lo, s4, v11
	s_delay_alu instid0(VALU_DEP_2) | instskip(SKIP_4) | instid1(VALU_DEP_2)
	v_add_co_ci_u32_e32 v12, vcc_lo, s5, v12, vcc_lo
	global_load_b64 v[11:12], v[11:12], off
	s_waitcnt vmcnt(0)
	v_subrev_nc_u32_e32 v9, s12, v11
	v_subrev_nc_u32_e32 v33, s12, v12
	v_add_nc_u32_e32 v25, v9, v41
	s_delay_alu instid0(VALU_DEP_1)
	v_cmp_lt_i32_e64 s0, v25, v33
	s_cbranch_scc0 .LBB145_16
; %bb.9:
	v_mov_b32_e32 v9, 0
	v_mov_b32_e32 v10, 0
	s_delay_alu instid0(VALU_DEP_1)
	v_dual_mov_b32 v16, v10 :: v_dual_mov_b32 v15, v9
	v_dual_mov_b32 v12, v10 :: v_dual_mov_b32 v11, v9
	;; [unrolled: 1-line block ×7, first 2 shown]
	s_and_saveexec_b32 s1, s0
	s_cbranch_execz .LBB145_15
; %bb.10:
	v_dual_mov_b32 v9, 0 :: v_dual_lshlrev_b32 v26, 5, v25
	v_dual_mov_b32 v10, 0 :: v_dual_mov_b32 v29, 0
	v_mov_b32_e32 v30, v25
	s_delay_alu instid0(VALU_DEP_3) | instskip(SKIP_1) | instid1(VALU_DEP_3)
	v_or_b32_e32 v34, 4, v26
	s_add_u32 s13, s10, 16
	v_dual_mov_b32 v16, v10 :: v_dual_mov_b32 v15, v9
	v_dual_mov_b32 v12, v10 :: v_dual_mov_b32 v11, v9
	;; [unrolled: 1-line block ×7, first 2 shown]
	s_addc_u32 s15, s11, 0
	s_mov_b32 s14, 0
.LBB145_11:                             ; =>This Loop Header: Depth=1
                                        ;     Child Loop BB145_12 Depth 2
	v_ashrrev_i32_e32 v31, 31, v30
	s_mov_b64 s[4:5], 0
	s_delay_alu instid0(VALU_DEP_1) | instskip(NEXT) | instid1(VALU_DEP_1)
	v_lshlrev_b64 v[27:28], 2, v[30:31]
	v_add_co_u32 v27, vcc_lo, s6, v27
	s_delay_alu instid0(VALU_DEP_2) | instskip(SKIP_3) | instid1(VALU_DEP_1)
	v_add_co_ci_u32_e32 v28, vcc_lo, s7, v28, vcc_lo
	global_load_b32 v27, v[27:28], off
	s_waitcnt vmcnt(0)
	v_subrev_nc_u32_e32 v28, s12, v27
	v_dual_mov_b32 v27, v29 :: v_dual_lshlrev_b32 v28, 3, v28
	s_delay_alu instid0(VALU_DEP_1) | instskip(NEXT) | instid1(VALU_DEP_2)
	v_lshlrev_b64 v[31:32], 4, v[26:27]
	v_lshlrev_b64 v[36:37], 4, v[28:29]
	v_mov_b32_e32 v28, v34
	s_delay_alu instid0(VALU_DEP_3) | instskip(NEXT) | instid1(VALU_DEP_4)
	v_add_co_u32 v27, vcc_lo, s8, v31
	v_add_co_ci_u32_e32 v35, vcc_lo, s9, v32, vcc_lo
	s_delay_alu instid0(VALU_DEP_4)
	v_add_co_u32 v31, vcc_lo, s13, v36
	v_add_co_ci_u32_e32 v32, vcc_lo, s15, v37, vcc_lo
.LBB145_12:                             ;   Parent Loop BB145_11 Depth=1
                                        ; =>  This Inner Loop Header: Depth=2
	s_delay_alu instid0(VALU_DEP_4) | instskip(NEXT) | instid1(VALU_DEP_4)
	v_add_co_u32 v58, vcc_lo, v27, s4
	v_add_co_ci_u32_e32 v59, vcc_lo, s5, v35, vcc_lo
	v_lshlrev_b64 v[62:63], 4, v[28:29]
	s_clause 0x1
	global_load_b128 v[36:39], v[31:32], off
	global_load_b128 v[42:45], v[31:32], off offset:-16
	s_clause 0x3
	global_load_b128 v[46:49], v[58:59], off
	global_load_b128 v[50:53], v[58:59], off offset:16
	global_load_b128 v[54:57], v[58:59], off offset:32
	;; [unrolled: 1-line block ×3, first 2 shown]
	v_add_nc_u32_e32 v28, 8, v28
	s_add_u32 s4, s4, 0x80
	s_addc_u32 s5, s5, 0
	s_cmpk_eq_i32 s4, 0x200
	v_add_co_u32 v74, vcc_lo, s8, v62
	v_add_co_ci_u32_e32 v75, vcc_lo, s9, v63, vcc_lo
	s_clause 0x3
	global_load_b128 v[62:65], v[74:75], off
	global_load_b128 v[66:69], v[74:75], off offset:16
	global_load_b128 v[70:73], v[74:75], off offset:32
	;; [unrolled: 1-line block ×3, first 2 shown]
	v_add_co_u32 v31, vcc_lo, v31, 32
	v_add_co_ci_u32_e32 v32, vcc_lo, 0, v32, vcc_lo
	s_waitcnt vmcnt(7)
	v_fma_f64 v[15:16], v[46:47], v[42:43], v[15:16]
	v_fma_f64 v[9:10], v[48:49], v[42:43], v[9:10]
	s_waitcnt vmcnt(6)
	v_fma_f64 v[21:22], v[50:51], v[42:43], v[21:22]
	v_fma_f64 v[23:24], v[52:53], v[42:43], v[23:24]
	;; [unrolled: 3-line block ×4, first 2 shown]
	v_fma_f64 v[15:16], -v[48:49], v[44:45], v[15:16]
	v_fma_f64 v[9:10], v[46:47], v[44:45], v[9:10]
	v_fma_f64 v[21:22], -v[52:53], v[44:45], v[21:22]
	v_fma_f64 v[23:24], v[50:51], v[44:45], v[23:24]
	;; [unrolled: 2-line block ×4, first 2 shown]
	s_waitcnt vmcnt(3)
	v_fma_f64 v[15:16], v[62:63], v[36:37], v[15:16]
	v_fma_f64 v[9:10], v[64:65], v[36:37], v[9:10]
	s_waitcnt vmcnt(2)
	v_fma_f64 v[21:22], v[66:67], v[36:37], v[21:22]
	v_fma_f64 v[23:24], v[68:69], v[36:37], v[23:24]
	;; [unrolled: 3-line block ×4, first 2 shown]
	v_fma_f64 v[15:16], -v[64:65], v[38:39], v[15:16]
	v_fma_f64 v[9:10], v[62:63], v[38:39], v[9:10]
	v_fma_f64 v[21:22], -v[68:69], v[38:39], v[21:22]
	v_fma_f64 v[23:24], v[66:67], v[38:39], v[23:24]
	;; [unrolled: 2-line block ×4, first 2 shown]
	s_cbranch_scc0 .LBB145_12
; %bb.13:                               ;   in Loop: Header=BB145_11 Depth=1
	v_add_nc_u32_e32 v30, 64, v30
	v_add_nc_u32_e32 v34, 0x800, v34
	;; [unrolled: 1-line block ×3, first 2 shown]
	s_delay_alu instid0(VALU_DEP_3) | instskip(SKIP_1) | instid1(SALU_CYCLE_1)
	v_cmp_ge_i32_e32 vcc_lo, v30, v33
	s_or_b32 s14, vcc_lo, s14
	s_and_not1_b32 exec_lo, exec_lo, s14
	s_cbranch_execnz .LBB145_11
; %bb.14:
	s_or_b32 exec_lo, exec_lo, s14
.LBB145_15:
	s_delay_alu instid0(SALU_CYCLE_1)
	s_or_b32 exec_lo, exec_lo, s1
	s_cbranch_execz .LBB145_17
	s_branch .LBB145_24
.LBB145_16:
                                        ; implicit-def: $vgpr9_vgpr10
                                        ; implicit-def: $vgpr15_vgpr16
                                        ; implicit-def: $vgpr11_vgpr12
                                        ; implicit-def: $vgpr13_vgpr14
                                        ; implicit-def: $vgpr17_vgpr18
                                        ; implicit-def: $vgpr19_vgpr20
                                        ; implicit-def: $vgpr21_vgpr22
                                        ; implicit-def: $vgpr23_vgpr24
.LBB145_17:
	v_mov_b32_e32 v9, 0
	v_mov_b32_e32 v10, 0
	s_delay_alu instid0(VALU_DEP_1)
	v_dual_mov_b32 v16, v10 :: v_dual_mov_b32 v15, v9
	v_dual_mov_b32 v12, v10 :: v_dual_mov_b32 v11, v9
	;; [unrolled: 1-line block ×7, first 2 shown]
	s_and_saveexec_b32 s4, s0
	s_cbranch_execz .LBB145_23
; %bb.18:
	v_dual_mov_b32 v9, 0 :: v_dual_mov_b32 v28, 0
	v_dual_mov_b32 v10, 0 :: v_dual_lshlrev_b32 v27, 5, v25
	s_mov_b32 s5, 0
	s_delay_alu instid0(VALU_DEP_1)
	v_dual_mov_b32 v16, v10 :: v_dual_mov_b32 v15, v9
	v_dual_mov_b32 v12, v10 :: v_dual_mov_b32 v11, v9
	;; [unrolled: 1-line block ×7, first 2 shown]
.LBB145_19:                             ; =>This Loop Header: Depth=1
                                        ;     Child Loop BB145_20 Depth 2
	v_ashrrev_i32_e32 v26, 31, v25
	v_lshlrev_b64 v[31:32], 4, v[27:28]
	s_mov_b64 s[0:1], 0
	s_delay_alu instid0(VALU_DEP_2) | instskip(NEXT) | instid1(VALU_DEP_1)
	v_lshlrev_b64 v[29:30], 2, v[25:26]
	v_add_co_u32 v29, vcc_lo, s6, v29
	s_delay_alu instid0(VALU_DEP_2) | instskip(SKIP_3) | instid1(VALU_DEP_1)
	v_add_co_ci_u32_e32 v30, vcc_lo, s7, v30, vcc_lo
	global_load_b32 v26, v[29:30], off
	s_waitcnt vmcnt(0)
	v_subrev_nc_u32_e32 v26, s12, v26
	v_dual_mov_b32 v30, v28 :: v_dual_lshlrev_b32 v29, 3, v26
	v_add_co_u32 v26, vcc_lo, s8, v31
	s_delay_alu instid0(VALU_DEP_2) | instskip(SKIP_1) | instid1(VALU_DEP_2)
	v_lshlrev_b64 v[34:35], 4, v[29:30]
	v_add_co_ci_u32_e32 v29, vcc_lo, s9, v32, vcc_lo
	v_add_co_u32 v30, vcc_lo, s10, v34
	s_delay_alu instid0(VALU_DEP_3)
	v_add_co_ci_u32_e32 v31, vcc_lo, s11, v35, vcc_lo
.LBB145_20:                             ;   Parent Loop BB145_19 Depth=1
                                        ; =>  This Inner Loop Header: Depth=2
	v_add_co_u32 v38, vcc_lo, v26, s0
	s_delay_alu instid0(VALU_DEP_4) | instskip(NEXT) | instid1(VALU_DEP_4)
	v_add_co_ci_u32_e32 v39, vcc_lo, s1, v29, vcc_lo
	v_add_co_u32 v62, vcc_lo, v30, s0
	s_delay_alu instid0(VALU_DEP_4)
	v_add_co_ci_u32_e32 v63, vcc_lo, s1, v31, vcc_lo
	s_add_u32 s0, s0, 32
	global_load_b128 v[34:37], v[38:39], off
	global_load_b128 v[42:45], v[62:63], off
	s_clause 0x3
	global_load_b128 v[46:49], v[38:39], off offset:128
	global_load_b128 v[50:53], v[38:39], off offset:256
	;; [unrolled: 1-line block ×5, first 2 shown]
	s_clause 0x2
	global_load_b128 v[66:69], v[38:39], off offset:144
	global_load_b128 v[70:73], v[38:39], off offset:272
	;; [unrolled: 1-line block ×3, first 2 shown]
	s_addc_u32 s1, s1, 0
	s_cmpk_eq_i32 s0, 0x80
	s_waitcnt vmcnt(8)
	v_fma_f64 v[15:16], v[34:35], v[42:43], v[15:16]
	v_fma_f64 v[9:10], v[36:37], v[42:43], v[9:10]
	s_waitcnt vmcnt(7)
	v_fma_f64 v[21:22], v[46:47], v[42:43], v[21:22]
	v_fma_f64 v[23:24], v[48:49], v[42:43], v[23:24]
	;; [unrolled: 3-line block ×4, first 2 shown]
	v_fma_f64 v[15:16], -v[36:37], v[44:45], v[15:16]
	v_fma_f64 v[9:10], v[34:35], v[44:45], v[9:10]
	v_fma_f64 v[21:22], -v[48:49], v[44:45], v[21:22]
	v_fma_f64 v[23:24], v[46:47], v[44:45], v[23:24]
	;; [unrolled: 2-line block ×4, first 2 shown]
	s_waitcnt vmcnt(3)
	v_fma_f64 v[15:16], v[58:59], v[62:63], v[15:16]
	v_fma_f64 v[9:10], v[60:61], v[62:63], v[9:10]
	s_waitcnt vmcnt(2)
	v_fma_f64 v[21:22], v[66:67], v[62:63], v[21:22]
	v_fma_f64 v[23:24], v[68:69], v[62:63], v[23:24]
	;; [unrolled: 3-line block ×4, first 2 shown]
	v_fma_f64 v[15:16], -v[60:61], v[64:65], v[15:16]
	v_fma_f64 v[9:10], v[58:59], v[64:65], v[9:10]
	v_fma_f64 v[21:22], -v[68:69], v[64:65], v[21:22]
	v_fma_f64 v[23:24], v[66:67], v[64:65], v[23:24]
	;; [unrolled: 2-line block ×4, first 2 shown]
	s_cbranch_scc0 .LBB145_20
; %bb.21:                               ;   in Loop: Header=BB145_19 Depth=1
	v_add_nc_u32_e32 v25, 64, v25
	v_add_nc_u32_e32 v27, 0x800, v27
	s_delay_alu instid0(VALU_DEP_2) | instskip(SKIP_1) | instid1(SALU_CYCLE_1)
	v_cmp_ge_i32_e32 vcc_lo, v25, v33
	s_or_b32 s5, vcc_lo, s5
	s_and_not1_b32 exec_lo, exec_lo, s5
	s_cbranch_execnz .LBB145_19
; %bb.22:
	s_or_b32 exec_lo, exec_lo, s5
.LBB145_23:
	s_delay_alu instid0(SALU_CYCLE_1)
	s_or_b32 exec_lo, exec_lo, s4
.LBB145_24:
	v_mbcnt_lo_u32_b32 v44, -1, 0
	s_delay_alu instid0(VALU_DEP_1) | instskip(NEXT) | instid1(VALU_DEP_1)
	v_or_b32_e32 v25, 32, v44
	v_cmp_gt_i32_e32 vcc_lo, 32, v25
	v_cndmask_b32_e32 v25, v44, v25, vcc_lo
	s_delay_alu instid0(VALU_DEP_1)
	v_lshlrev_b32_e32 v40, 2, v25
	ds_bpermute_b32 v25, v40, v15
	ds_bpermute_b32 v26, v40, v16
	ds_bpermute_b32 v27, v40, v9
	ds_bpermute_b32 v28, v40, v10
	ds_bpermute_b32 v29, v40, v21
	ds_bpermute_b32 v30, v40, v22
	ds_bpermute_b32 v31, v40, v23
	ds_bpermute_b32 v32, v40, v24
	ds_bpermute_b32 v33, v40, v17
	ds_bpermute_b32 v34, v40, v18
	ds_bpermute_b32 v35, v40, v19
	ds_bpermute_b32 v36, v40, v20
	ds_bpermute_b32 v37, v40, v11
	ds_bpermute_b32 v38, v40, v12
	ds_bpermute_b32 v39, v40, v13
	ds_bpermute_b32 v40, v40, v14
	s_waitcnt lgkmcnt(14)
	v_add_f64 v[15:16], v[15:16], v[25:26]
	v_xor_b32_e32 v25, 16, v44
	s_waitcnt lgkmcnt(12)
	v_add_f64 v[9:10], v[9:10], v[27:28]
	s_waitcnt lgkmcnt(10)
	v_add_f64 v[21:22], v[21:22], v[29:30]
	s_waitcnt lgkmcnt(8)
	v_add_f64 v[23:24], v[23:24], v[31:32]
	v_cmp_gt_i32_e32 vcc_lo, 32, v25
	s_waitcnt lgkmcnt(6)
	v_add_f64 v[17:18], v[17:18], v[33:34]
	s_waitcnt lgkmcnt(4)
	v_add_f64 v[19:20], v[19:20], v[35:36]
	s_waitcnt lgkmcnt(2)
	v_add_f64 v[11:12], v[11:12], v[37:38]
	v_cndmask_b32_e32 v25, v44, v25, vcc_lo
	s_waitcnt lgkmcnt(0)
	v_add_f64 v[13:14], v[13:14], v[39:40]
	s_delay_alu instid0(VALU_DEP_2)
	v_lshlrev_b32_e32 v40, 2, v25
	ds_bpermute_b32 v25, v40, v15
	ds_bpermute_b32 v26, v40, v16
	ds_bpermute_b32 v27, v40, v9
	ds_bpermute_b32 v28, v40, v10
	ds_bpermute_b32 v29, v40, v21
	ds_bpermute_b32 v30, v40, v22
	ds_bpermute_b32 v31, v40, v23
	ds_bpermute_b32 v32, v40, v24
	ds_bpermute_b32 v33, v40, v17
	ds_bpermute_b32 v34, v40, v18
	ds_bpermute_b32 v35, v40, v19
	ds_bpermute_b32 v36, v40, v20
	ds_bpermute_b32 v37, v40, v11
	ds_bpermute_b32 v38, v40, v12
	ds_bpermute_b32 v39, v40, v13
	ds_bpermute_b32 v40, v40, v14
	s_waitcnt lgkmcnt(14)
	v_add_f64 v[15:16], v[15:16], v[25:26]
	v_xor_b32_e32 v25, 8, v44
	s_waitcnt lgkmcnt(12)
	v_add_f64 v[9:10], v[9:10], v[27:28]
	s_waitcnt lgkmcnt(10)
	v_add_f64 v[21:22], v[21:22], v[29:30]
	s_waitcnt lgkmcnt(8)
	v_add_f64 v[23:24], v[23:24], v[31:32]
	v_cmp_gt_i32_e32 vcc_lo, 32, v25
	s_waitcnt lgkmcnt(6)
	v_add_f64 v[17:18], v[17:18], v[33:34]
	s_waitcnt lgkmcnt(4)
	v_add_f64 v[19:20], v[19:20], v[35:36]
	s_waitcnt lgkmcnt(2)
	v_add_f64 v[11:12], v[11:12], v[37:38]
	v_cndmask_b32_e32 v25, v44, v25, vcc_lo
	s_waitcnt lgkmcnt(0)
	v_add_f64 v[13:14], v[13:14], v[39:40]
	s_delay_alu instid0(VALU_DEP_2)
	;; [unrolled: 37-line block ×3, first 2 shown]
	v_lshlrev_b32_e32 v40, 2, v25
	ds_bpermute_b32 v25, v40, v15
	ds_bpermute_b32 v26, v40, v16
	;; [unrolled: 1-line block ×16, first 2 shown]
	s_waitcnt lgkmcnt(14)
	v_add_f64 v[15:16], v[15:16], v[25:26]
	s_waitcnt lgkmcnt(12)
	v_add_f64 v[25:26], v[9:10], v[27:28]
	v_xor_b32_e32 v9, 2, v44
	s_waitcnt lgkmcnt(10)
	v_add_f64 v[21:22], v[21:22], v[29:30]
	s_waitcnt lgkmcnt(8)
	v_add_f64 v[27:28], v[23:24], v[31:32]
	;; [unrolled: 2-line block ×3, first 2 shown]
	v_cmp_gt_i32_e32 vcc_lo, 32, v9
	s_waitcnt lgkmcnt(4)
	v_add_f64 v[19:20], v[19:20], v[35:36]
	s_waitcnt lgkmcnt(2)
	v_add_f64 v[29:30], v[11:12], v[37:38]
	s_waitcnt lgkmcnt(0)
	v_add_f64 v[31:32], v[13:14], v[39:40]
	v_cndmask_b32_e32 v9, v44, v9, vcc_lo
	s_delay_alu instid0(VALU_DEP_1)
	v_lshlrev_b32_e32 v23, 2, v9
	ds_bpermute_b32 v9, v23, v15
	ds_bpermute_b32 v10, v23, v16
	ds_bpermute_b32 v11, v23, v25
	ds_bpermute_b32 v12, v23, v26
	ds_bpermute_b32 v13, v23, v21
	ds_bpermute_b32 v14, v23, v22
	ds_bpermute_b32 v33, v23, v27
	ds_bpermute_b32 v34, v23, v28
	ds_bpermute_b32 v35, v23, v17
	ds_bpermute_b32 v36, v23, v18
	ds_bpermute_b32 v37, v23, v19
	ds_bpermute_b32 v38, v23, v20
	ds_bpermute_b32 v39, v23, v29
	ds_bpermute_b32 v40, v23, v30
	ds_bpermute_b32 v42, v23, v31
	ds_bpermute_b32 v43, v23, v32
	s_waitcnt lgkmcnt(14)
	v_add_f64 v[9:10], v[15:16], v[9:10]
	s_waitcnt lgkmcnt(12)
	v_add_f64 v[23:24], v[25:26], v[11:12]
	v_xor_b32_e32 v25, 1, v44
	s_waitcnt lgkmcnt(10)
	v_add_f64 v[11:12], v[21:22], v[13:14]
	s_waitcnt lgkmcnt(8)
	v_add_f64 v[21:22], v[27:28], v[33:34]
	;; [unrolled: 2-line block ×3, first 2 shown]
	v_cmp_gt_i32_e32 vcc_lo, 32, v25
	s_waitcnt lgkmcnt(4)
	v_add_f64 v[19:20], v[19:20], v[37:38]
	s_waitcnt lgkmcnt(2)
	v_add_f64 v[15:16], v[29:30], v[39:40]
	;; [unrolled: 2-line block ×3, first 2 shown]
	v_cndmask_b32_e32 v25, v44, v25, vcc_lo
	v_cmp_eq_u32_e32 vcc_lo, 63, v41
	s_delay_alu instid0(VALU_DEP_2)
	v_lshlrev_b32_e32 v28, 2, v25
	ds_bpermute_b32 v39, v28, v9
	ds_bpermute_b32 v40, v28, v10
	;; [unrolled: 1-line block ×16, first 2 shown]
	s_and_b32 exec_lo, exec_lo, vcc_lo
	s_cbranch_execz .LBB145_29
; %bb.25:
	v_cmp_eq_f64_e32 vcc_lo, 0, v[4:5]
	v_cmp_eq_f64_e64 s0, 0, v[6:7]
	s_waitcnt lgkmcnt(14)
	v_add_f64 v[9:10], v[9:10], v[39:40]
	s_waitcnt lgkmcnt(12)
	v_add_f64 v[23:24], v[23:24], v[37:38]
	;; [unrolled: 2-line block ×8, first 2 shown]
	s_load_b64 s[2:3], s[2:3], 0x48
	s_and_b32 s0, vcc_lo, s0
	s_delay_alu instid0(SALU_CYCLE_1) | instskip(NEXT) | instid1(SALU_CYCLE_1)
	s_and_saveexec_b32 s1, s0
	s_xor_b32 s0, exec_lo, s1
	s_cbranch_execz .LBB145_27
; %bb.26:
	v_mul_f64 v[4:5], v[23:24], -v[2:3]
	v_mul_f64 v[6:7], v[0:1], v[23:24]
	v_mul_f64 v[23:24], v[21:22], -v[2:3]
	v_mul_f64 v[21:22], v[0:1], v[21:22]
	;; [unrolled: 2-line block ×4, first 2 shown]
	v_fma_f64 v[4:5], v[0:1], v[9:10], v[4:5]
	v_fma_f64 v[6:7], v[2:3], v[9:10], v[6:7]
	;; [unrolled: 1-line block ×8, first 2 shown]
	v_lshlrev_b32_e32 v13, 2, v8
                                        ; implicit-def: $vgpr8
                                        ; implicit-def: $vgpr23_vgpr24
                                        ; implicit-def: $vgpr21_vgpr22
                                        ; implicit-def: $vgpr15_vgpr16
	s_delay_alu instid0(VALU_DEP_1) | instskip(NEXT) | instid1(VALU_DEP_1)
	v_ashrrev_i32_e32 v14, 31, v13
	v_lshlrev_b64 v[13:14], 4, v[13:14]
	s_waitcnt lgkmcnt(0)
	s_delay_alu instid0(VALU_DEP_1) | instskip(NEXT) | instid1(VALU_DEP_2)
	v_add_co_u32 v13, vcc_lo, s2, v13
	v_add_co_ci_u32_e32 v14, vcc_lo, s3, v14, vcc_lo
	s_clause 0x3
	global_store_b128 v[13:14], v[4:7], off
	global_store_b128 v[13:14], v[9:12], off offset:16
	global_store_b128 v[13:14], v[17:20], off offset:32
	;; [unrolled: 1-line block ×3, first 2 shown]
                                        ; implicit-def: $vgpr0_vgpr1
                                        ; implicit-def: $vgpr2_vgpr3
                                        ; implicit-def: $vgpr4_vgpr5
                                        ; implicit-def: $vgpr6_vgpr7
                                        ; implicit-def: $vgpr9_vgpr10
                                        ; implicit-def: $vgpr11_vgpr12
                                        ; implicit-def: $vgpr13_vgpr14
                                        ; implicit-def: $vgpr19_vgpr20
                                        ; implicit-def: $vgpr17_vgpr18
.LBB145_27:
	s_and_not1_saveexec_b32 s0, s0
	s_cbranch_execz .LBB145_29
; %bb.28:
	v_lshlrev_b32_e32 v25, 2, v8
	v_mul_f64 v[43:44], v[23:24], -v[2:3]
	v_mul_f64 v[23:24], v[0:1], v[23:24]
	v_mul_f64 v[45:46], v[21:22], -v[2:3]
	v_mul_f64 v[21:22], v[0:1], v[21:22]
	v_ashrrev_i32_e32 v26, 31, v25
	v_mul_f64 v[47:48], v[19:20], -v[2:3]
	v_mul_f64 v[19:20], v[0:1], v[19:20]
	v_mul_f64 v[49:50], v[17:18], -v[2:3]
	v_mul_f64 v[17:18], v[0:1], v[17:18]
	v_lshlrev_b64 v[25:26], 4, v[25:26]
	s_waitcnt lgkmcnt(0)
	s_delay_alu instid0(VALU_DEP_1) | instskip(NEXT) | instid1(VALU_DEP_2)
	v_add_co_u32 v41, vcc_lo, s2, v25
	v_add_co_ci_u32_e32 v42, vcc_lo, s3, v26, vcc_lo
	s_clause 0x3
	global_load_b128 v[25:28], v[41:42], off
	global_load_b128 v[29:32], v[41:42], off offset:16
	global_load_b128 v[33:36], v[41:42], off offset:32
	;; [unrolled: 1-line block ×3, first 2 shown]
	v_fma_f64 v[43:44], v[0:1], v[9:10], v[43:44]
	v_fma_f64 v[8:9], v[2:3], v[9:10], v[23:24]
	;; [unrolled: 1-line block ×8, first 2 shown]
	s_waitcnt vmcnt(3)
	v_fma_f64 v[14:15], v[4:5], v[25:26], v[43:44]
	v_fma_f64 v[8:9], v[6:7], v[25:26], v[8:9]
	s_waitcnt vmcnt(2)
	v_fma_f64 v[16:17], v[4:5], v[29:30], v[23:24]
	v_fma_f64 v[10:11], v[6:7], v[29:30], v[10:11]
	;; [unrolled: 3-line block ×4, first 2 shown]
	v_fma_f64 v[0:1], -v[6:7], v[27:28], v[14:15]
	v_fma_f64 v[2:3], v[4:5], v[27:28], v[8:9]
	v_fma_f64 v[8:9], -v[6:7], v[31:32], v[16:17]
	v_fma_f64 v[10:11], v[4:5], v[31:32], v[10:11]
	;; [unrolled: 2-line block ×4, first 2 shown]
	s_clause 0x3
	global_store_b128 v[41:42], v[0:3], off
	global_store_b128 v[41:42], v[8:11], off offset:16
	global_store_b128 v[41:42], v[12:15], off offset:32
	;; [unrolled: 1-line block ×3, first 2 shown]
.LBB145_29:
	s_nop 0
	s_sendmsg sendmsg(MSG_DEALLOC_VGPRS)
	s_endpgm
	.section	.rodata,"a",@progbits
	.p2align	6, 0x0
	.amdhsa_kernel _ZN9rocsparseL19gebsrmvn_4xn_kernelILj128ELj8ELj64E21rocsparse_complex_numIdEEEvi20rocsparse_direction_NS_24const_host_device_scalarIT2_EEPKiS8_PKS5_SA_S6_PS5_21rocsparse_index_base_b
		.amdhsa_group_segment_fixed_size 2048
		.amdhsa_private_segment_fixed_size 0
		.amdhsa_kernarg_size 88
		.amdhsa_user_sgpr_count 15
		.amdhsa_user_sgpr_dispatch_ptr 1
		.amdhsa_user_sgpr_queue_ptr 0
		.amdhsa_user_sgpr_kernarg_segment_ptr 1
		.amdhsa_user_sgpr_dispatch_id 0
		.amdhsa_user_sgpr_private_segment_size 0
		.amdhsa_wavefront_size32 1
		.amdhsa_uses_dynamic_stack 0
		.amdhsa_enable_private_segment 0
		.amdhsa_system_sgpr_workgroup_id_x 1
		.amdhsa_system_sgpr_workgroup_id_y 0
		.amdhsa_system_sgpr_workgroup_id_z 0
		.amdhsa_system_sgpr_workgroup_info 0
		.amdhsa_system_vgpr_workitem_id 2
		.amdhsa_next_free_vgpr 78
		.amdhsa_next_free_sgpr 18
		.amdhsa_reserve_vcc 1
		.amdhsa_float_round_mode_32 0
		.amdhsa_float_round_mode_16_64 0
		.amdhsa_float_denorm_mode_32 3
		.amdhsa_float_denorm_mode_16_64 3
		.amdhsa_dx10_clamp 1
		.amdhsa_ieee_mode 1
		.amdhsa_fp16_overflow 0
		.amdhsa_workgroup_processor_mode 1
		.amdhsa_memory_ordered 1
		.amdhsa_forward_progress 0
		.amdhsa_shared_vgpr_count 0
		.amdhsa_exception_fp_ieee_invalid_op 0
		.amdhsa_exception_fp_denorm_src 0
		.amdhsa_exception_fp_ieee_div_zero 0
		.amdhsa_exception_fp_ieee_overflow 0
		.amdhsa_exception_fp_ieee_underflow 0
		.amdhsa_exception_fp_ieee_inexact 0
		.amdhsa_exception_int_div_zero 0
	.end_amdhsa_kernel
	.section	.text._ZN9rocsparseL19gebsrmvn_4xn_kernelILj128ELj8ELj64E21rocsparse_complex_numIdEEEvi20rocsparse_direction_NS_24const_host_device_scalarIT2_EEPKiS8_PKS5_SA_S6_PS5_21rocsparse_index_base_b,"axG",@progbits,_ZN9rocsparseL19gebsrmvn_4xn_kernelILj128ELj8ELj64E21rocsparse_complex_numIdEEEvi20rocsparse_direction_NS_24const_host_device_scalarIT2_EEPKiS8_PKS5_SA_S6_PS5_21rocsparse_index_base_b,comdat
.Lfunc_end145:
	.size	_ZN9rocsparseL19gebsrmvn_4xn_kernelILj128ELj8ELj64E21rocsparse_complex_numIdEEEvi20rocsparse_direction_NS_24const_host_device_scalarIT2_EEPKiS8_PKS5_SA_S6_PS5_21rocsparse_index_base_b, .Lfunc_end145-_ZN9rocsparseL19gebsrmvn_4xn_kernelILj128ELj8ELj64E21rocsparse_complex_numIdEEEvi20rocsparse_direction_NS_24const_host_device_scalarIT2_EEPKiS8_PKS5_SA_S6_PS5_21rocsparse_index_base_b
                                        ; -- End function
	.section	.AMDGPU.csdata,"",@progbits
; Kernel info:
; codeLenInByte = 4132
; NumSgprs: 20
; NumVgprs: 78
; ScratchSize: 0
; MemoryBound: 0
; FloatMode: 240
; IeeeMode: 1
; LDSByteSize: 2048 bytes/workgroup (compile time only)
; SGPRBlocks: 2
; VGPRBlocks: 9
; NumSGPRsForWavesPerEU: 20
; NumVGPRsForWavesPerEU: 78
; Occupancy: 16
; WaveLimiterHint : 1
; COMPUTE_PGM_RSRC2:SCRATCH_EN: 0
; COMPUTE_PGM_RSRC2:USER_SGPR: 15
; COMPUTE_PGM_RSRC2:TRAP_HANDLER: 0
; COMPUTE_PGM_RSRC2:TGID_X_EN: 1
; COMPUTE_PGM_RSRC2:TGID_Y_EN: 0
; COMPUTE_PGM_RSRC2:TGID_Z_EN: 0
; COMPUTE_PGM_RSRC2:TIDIG_COMP_CNT: 2
	.section	.text._ZN9rocsparseL23gebsrmvn_general_kernelILj64ELj16E21rocsparse_complex_numIdEEEvi20rocsparse_direction_NS_24const_host_device_scalarIT1_EEPKiS8_PKS5_iiSA_S6_PS5_21rocsparse_index_base_b,"axG",@progbits,_ZN9rocsparseL23gebsrmvn_general_kernelILj64ELj16E21rocsparse_complex_numIdEEEvi20rocsparse_direction_NS_24const_host_device_scalarIT1_EEPKiS8_PKS5_iiSA_S6_PS5_21rocsparse_index_base_b,comdat
	.globl	_ZN9rocsparseL23gebsrmvn_general_kernelILj64ELj16E21rocsparse_complex_numIdEEEvi20rocsparse_direction_NS_24const_host_device_scalarIT1_EEPKiS8_PKS5_iiSA_S6_PS5_21rocsparse_index_base_b ; -- Begin function _ZN9rocsparseL23gebsrmvn_general_kernelILj64ELj16E21rocsparse_complex_numIdEEEvi20rocsparse_direction_NS_24const_host_device_scalarIT1_EEPKiS8_PKS5_iiSA_S6_PS5_21rocsparse_index_base_b
	.p2align	8
	.type	_ZN9rocsparseL23gebsrmvn_general_kernelILj64ELj16E21rocsparse_complex_numIdEEEvi20rocsparse_direction_NS_24const_host_device_scalarIT1_EEPKiS8_PKS5_iiSA_S6_PS5_21rocsparse_index_base_b,@function
_ZN9rocsparseL23gebsrmvn_general_kernelILj64ELj16E21rocsparse_complex_numIdEEEvi20rocsparse_direction_NS_24const_host_device_scalarIT1_EEPKiS8_PKS5_iiSA_S6_PS5_21rocsparse_index_base_b: ; @_ZN9rocsparseL23gebsrmvn_general_kernelILj64ELj16E21rocsparse_complex_numIdEEEvi20rocsparse_direction_NS_24const_host_device_scalarIT1_EEPKiS8_PKS5_iiSA_S6_PS5_21rocsparse_index_base_b
; %bb.0:
	s_mov_b32 s16, s15
	s_load_b64 s[12:13], s[2:3], 0x58
	s_load_b64 s[14:15], s[0:1], 0x4
	s_load_b128 s[8:11], s[2:3], 0x8
	v_bfe_u32 v2, v0, 10, 10
	s_mov_b64 s[0:1], src_shared_base
	s_load_b128 s[4:7], s[2:3], 0x40
	v_and_b32_e32 v1, 0x3ff, v0
	v_bfe_u32 v0, v0, 20, 10
	s_waitcnt lgkmcnt(0)
	s_bitcmp1_b32 s13, 0
	v_mul_u32_u24_e32 v2, s15, v2
	s_cselect_b32 s0, -1, 0
	s_delay_alu instid0(SALU_CYCLE_1)
	s_and_b32 vcc_lo, s0, exec_lo
	s_cselect_b32 s13, s1, s9
	s_lshr_b32 s14, s14, 16
	v_dual_mov_b32 v4, s4 :: v_dual_mov_b32 v5, s5
	s_mul_i32 s14, s14, s15
	v_mov_b32_e32 v7, s13
	v_mad_u32_u24 v2, s14, v1, v2
	s_delay_alu instid0(VALU_DEP_1) | instskip(SKIP_1) | instid1(VALU_DEP_2)
	v_add_lshl_u32 v0, v2, v0, 3
	v_dual_mov_b32 v2, s8 :: v_dual_mov_b32 v3, s9
	v_add_nc_u32_e32 v6, 0x200, v0
	ds_store_2addr_stride64_b64 v0, v[4:5], v[2:3] offset1:1
	v_cndmask_b32_e64 v6, s8, v6, s0
	flat_load_b64 v[4:5], v[6:7]
	v_dual_mov_b32 v6, s10 :: v_dual_mov_b32 v7, s11
	s_xor_b32 s10, s0, -1
	s_cbranch_vccnz .LBB146_2
; %bb.1:
	v_dual_mov_b32 v2, s8 :: v_dual_mov_b32 v3, s9
	flat_load_b64 v[6:7], v[2:3] offset:8
.LBB146_2:
	s_and_b32 s8, s0, exec_lo
	s_cselect_b32 s1, s1, s5
	v_cndmask_b32_e64 v2, s4, v0, s0
	v_mov_b32_e32 v3, s1
	v_dual_mov_b32 v11, s7 :: v_dual_mov_b32 v10, s6
	s_and_not1_b32 vcc_lo, exec_lo, s10
	flat_load_b64 v[8:9], v[2:3]
	s_cbranch_vccnz .LBB146_4
; %bb.3:
	v_dual_mov_b32 v2, s4 :: v_dual_mov_b32 v3, s5
	flat_load_b64 v[10:11], v[2:3] offset:8
.LBB146_4:
	s_waitcnt vmcnt(1) lgkmcnt(1)
	v_cmp_eq_f64_e32 vcc_lo, 0, v[4:5]
	v_cmp_eq_f64_e64 s0, 0, v[6:7]
	s_delay_alu instid0(VALU_DEP_1)
	s_and_b32 s4, vcc_lo, s0
	s_mov_b32 s0, -1
	s_and_saveexec_b32 s1, s4
	s_cbranch_execz .LBB146_6
; %bb.5:
	s_waitcnt vmcnt(0) lgkmcnt(0)
	v_cmp_neq_f64_e32 vcc_lo, 1.0, v[8:9]
	v_cmp_neq_f64_e64 s0, 0, v[10:11]
	s_delay_alu instid0(VALU_DEP_1) | instskip(NEXT) | instid1(SALU_CYCLE_1)
	s_or_b32 s0, vcc_lo, s0
	s_or_not1_b32 s0, s0, exec_lo
.LBB146_6:
	s_or_b32 exec_lo, exec_lo, s1
	s_and_saveexec_b32 s1, s0
	s_cbranch_execz .LBB146_26
; %bb.7:
	s_load_b64 s[6:7], s[2:3], 0x30
	v_lshrrev_b32_e32 v12, 4, v1
	s_waitcnt lgkmcnt(0)
	s_delay_alu instid0(VALU_DEP_1)
	v_cmp_gt_i32_e32 vcc_lo, s6, v12
	s_and_b32 exec_lo, exec_lo, vcc_lo
	s_cbranch_execz .LBB146_26
; %bb.8:
	s_clause 0x1
	s_load_b128 s[8:11], s[2:3], 0x18
	s_load_b32 s5, s[2:3], 0x4
	s_ashr_i32 s17, s16, 31
	s_waitcnt vmcnt(0)
	v_cmp_eq_f64_e32 vcc_lo, 0, v[8:9]
	s_lshl_b64 s[0:1], s[16:17], 2
	v_cmp_eq_f64_e64 s4, 0, v[10:11]
	v_mbcnt_lo_u32_b32 v2, -1, 0
	v_and_b32_e32 v17, 15, v1
	s_mov_b32 s13, 0
	s_mul_i32 s16, s16, s6
	s_mul_i32 s23, s7, s6
	v_xor_b32_e32 v0, 8, v2
	v_xor_b32_e32 v1, 4, v2
	;; [unrolled: 1-line block ×4, first 2 shown]
	s_waitcnt lgkmcnt(0)
	s_add_u32 s0, s8, s0
	s_addc_u32 s1, s9, s1
	s_load_b64 s[20:21], s[0:1], 0x0
	s_load_b64 s[8:9], s[2:3], 0x28
	v_cmp_gt_i32_e64 s1, 32, v0
	s_clause 0x1
	s_load_b64 s[14:15], s[2:3], 0x50
	s_load_b64 s[2:3], s[2:3], 0x38
	v_cmp_gt_i32_e64 s0, s7, v17
	v_cndmask_b32_e64 v14, v2, v0, s1
	v_cmp_gt_i32_e64 s1, 32, v1
	s_delay_alu instid0(VALU_DEP_2) | instskip(NEXT) | instid1(VALU_DEP_2)
	v_lshlrev_b32_e32 v18, 2, v14
	v_cndmask_b32_e64 v15, v2, v1, s1
	v_cmp_gt_i32_e64 s1, 32, v3
	s_delay_alu instid0(VALU_DEP_2) | instskip(NEXT) | instid1(VALU_DEP_2)
	v_lshlrev_b32_e32 v19, 2, v15
	v_cndmask_b32_e64 v3, v2, v3, s1
	s_waitcnt lgkmcnt(0)
	s_sub_i32 s17, s20, s12
	v_cmp_gt_i32_e64 s1, 32, v13
	v_mad_u64_u32 v[0:1], null, s6, s17, v[12:13]
	s_sub_i32 s18, s21, s12
	s_cmp_lt_i32 s20, s21
	s_delay_alu instid0(VALU_DEP_2) | instskip(SKIP_3) | instid1(VALU_DEP_4)
	v_cndmask_b32_e64 v1, v2, v13, s1
	v_lshlrev_b32_e32 v20, 2, v3
	v_cmp_eq_u32_e64 s1, 15, v17
	s_cselect_b32 s19, -1, 0
	v_mul_lo_u32 v22, s7, v0
	v_lshlrev_b32_e32 v21, 2, v1
	s_cmp_lg_u32 s5, 0
	s_cselect_b32 s20, -1, 0
	s_and_b32 s21, vcc_lo, s4
	s_lshl_b32 s22, s7, 2
	s_branch .LBB146_10
.LBB146_9:                              ;   in Loop: Header=BB146_10 Depth=1
	s_or_b32 exec_lo, exec_lo, s4
	v_add_nc_u32_e32 v12, 4, v12
	v_add_nc_u32_e32 v22, s22, v22
	s_delay_alu instid0(VALU_DEP_2) | instskip(SKIP_1) | instid1(SALU_CYCLE_1)
	v_cmp_le_i32_e32 vcc_lo, s6, v12
	s_or_b32 s13, vcc_lo, s13
	s_and_not1_b32 exec_lo, exec_lo, s13
	s_cbranch_execz .LBB146_26
.LBB146_10:                             ; =>This Loop Header: Depth=1
                                        ;     Child Loop BB146_14 Depth 2
                                        ;       Child Loop BB146_17 Depth 3
	v_mov_b32_e32 v0, 0
	v_mov_b32_e32 v1, 0
	s_and_not1_b32 vcc_lo, exec_lo, s19
	s_delay_alu instid0(VALU_DEP_1)
	v_dual_mov_b32 v3, v1 :: v_dual_mov_b32 v2, v0
	s_cbranch_vccnz .LBB146_21
; %bb.11:                               ;   in Loop: Header=BB146_10 Depth=1
	s_waitcnt lgkmcnt(1)
	v_dual_mov_b32 v0, 0 :: v_dual_mov_b32 v15, v22
	v_mov_b32_e32 v1, 0
	s_mov_b32 s4, s17
	s_delay_alu instid0(VALU_DEP_1)
	v_dual_mov_b32 v3, v1 :: v_dual_mov_b32 v2, v0
	s_branch .LBB146_14
.LBB146_12:                             ;   in Loop: Header=BB146_14 Depth=2
	s_set_inst_prefetch_distance 0x2
	s_or_b32 exec_lo, exec_lo, s25
.LBB146_13:                             ;   in Loop: Header=BB146_14 Depth=2
	s_delay_alu instid0(SALU_CYCLE_1) | instskip(SKIP_2) | instid1(SALU_CYCLE_1)
	s_or_b32 exec_lo, exec_lo, s24
	v_add_nc_u32_e32 v15, s23, v15
	s_add_i32 s4, s4, 1
	s_cmp_ge_i32 s4, s18
	s_cbranch_scc1 .LBB146_21
.LBB146_14:                             ;   Parent Loop BB146_10 Depth=1
                                        ; =>  This Loop Header: Depth=2
                                        ;       Child Loop BB146_17 Depth 3
	s_and_saveexec_b32 s24, s0
	s_cbranch_execz .LBB146_13
; %bb.15:                               ;   in Loop: Header=BB146_14 Depth=2
	s_ashr_i32 s5, s4, 31
	s_waitcnt lgkmcnt(0)
	v_mov_b32_e32 v16, v17
	s_lshl_b64 s[26:27], s[4:5], 2
	s_mov_b32 s25, 0
	s_add_u32 s26, s10, s26
	s_addc_u32 s27, s11, s27
	s_load_b32 s5, s[26:27], 0x0
	s_waitcnt lgkmcnt(0)
	s_sub_i32 s26, s5, s12
	s_mul_i32 s5, s4, s7
	s_mul_i32 s26, s26, s7
	s_set_inst_prefetch_distance 0x1
	s_branch .LBB146_17
	.p2align	6
.LBB146_16:                             ;   in Loop: Header=BB146_17 Depth=3
	v_add_nc_u32_e32 v23, s26, v16
	s_delay_alu instid0(VALU_DEP_2) | instskip(SKIP_1) | instid1(VALU_DEP_3)
	v_ashrrev_i32_e32 v14, 31, v13
	v_add_nc_u32_e32 v16, 16, v16
	v_ashrrev_i32_e32 v24, 31, v23
	s_delay_alu instid0(VALU_DEP_3) | instskip(NEXT) | instid1(VALU_DEP_2)
	v_lshlrev_b64 v[13:14], 4, v[13:14]
	v_lshlrev_b64 v[23:24], 4, v[23:24]
	s_delay_alu instid0(VALU_DEP_2) | instskip(NEXT) | instid1(VALU_DEP_3)
	v_add_co_u32 v13, vcc_lo, s8, v13
	v_add_co_ci_u32_e32 v14, vcc_lo, s9, v14, vcc_lo
	s_delay_alu instid0(VALU_DEP_3) | instskip(NEXT) | instid1(VALU_DEP_4)
	v_add_co_u32 v27, vcc_lo, s2, v23
	v_add_co_ci_u32_e32 v28, vcc_lo, s3, v24, vcc_lo
	v_cmp_le_i32_e32 vcc_lo, s7, v16
	global_load_b128 v[23:26], v[13:14], off
	global_load_b128 v[27:30], v[27:28], off
	s_or_b32 s25, vcc_lo, s25
	s_waitcnt vmcnt(0)
	v_fma_f64 v[2:3], v[23:24], v[27:28], v[2:3]
	v_fma_f64 v[0:1], v[25:26], v[27:28], v[0:1]
	s_delay_alu instid0(VALU_DEP_2) | instskip(NEXT) | instid1(VALU_DEP_2)
	v_fma_f64 v[2:3], -v[25:26], v[29:30], v[2:3]
	v_fma_f64 v[0:1], v[23:24], v[29:30], v[0:1]
	s_and_not1_b32 exec_lo, exec_lo, s25
	s_cbranch_execz .LBB146_12
.LBB146_17:                             ;   Parent Loop BB146_10 Depth=1
                                        ;     Parent Loop BB146_14 Depth=2
                                        ; =>    This Inner Loop Header: Depth=3
	s_and_b32 vcc_lo, exec_lo, s20
	s_cbranch_vccz .LBB146_19
; %bb.18:                               ;   in Loop: Header=BB146_17 Depth=3
	v_add_nc_u32_e32 v23, s5, v16
	s_delay_alu instid0(VALU_DEP_1)
	v_mad_u64_u32 v[13:14], null, v23, s6, v[12:13]
	s_cbranch_execnz .LBB146_16
	s_branch .LBB146_20
.LBB146_19:                             ;   in Loop: Header=BB146_17 Depth=3
                                        ; implicit-def: $vgpr13
.LBB146_20:                             ;   in Loop: Header=BB146_17 Depth=3
	v_add_nc_u32_e32 v13, v15, v16
	s_branch .LBB146_16
.LBB146_21:                             ;   in Loop: Header=BB146_10 Depth=1
	s_waitcnt lgkmcnt(3)
	ds_bpermute_b32 v13, v18, v2
	s_waitcnt lgkmcnt(3)
	ds_bpermute_b32 v14, v18, v3
	s_waitcnt lgkmcnt(3)
	ds_bpermute_b32 v15, v18, v0
	s_waitcnt lgkmcnt(3)
	ds_bpermute_b32 v16, v18, v1
	s_waitcnt lgkmcnt(2)
	v_add_f64 v[2:3], v[2:3], v[13:14]
	s_waitcnt lgkmcnt(0)
	v_add_f64 v[0:1], v[0:1], v[15:16]
	ds_bpermute_b32 v13, v19, v2
	ds_bpermute_b32 v14, v19, v3
	ds_bpermute_b32 v15, v19, v0
	ds_bpermute_b32 v16, v19, v1
	s_waitcnt lgkmcnt(2)
	v_add_f64 v[2:3], v[2:3], v[13:14]
	s_waitcnt lgkmcnt(0)
	v_add_f64 v[13:14], v[0:1], v[15:16]
	ds_bpermute_b32 v0, v20, v2
	ds_bpermute_b32 v1, v20, v3
	ds_bpermute_b32 v15, v20, v13
	ds_bpermute_b32 v16, v20, v14
	;; [unrolled: 8-line block ×3, first 2 shown]
	s_and_saveexec_b32 s4, s1
	s_cbranch_execz .LBB146_9
; %bb.22:                               ;   in Loop: Header=BB146_10 Depth=1
	s_waitcnt lgkmcnt(0)
	v_add_f64 v[2:3], v[2:3], v[15:16]
	v_add_f64 v[13:14], v[0:1], v[13:14]
	s_delay_alu instid0(VALU_DEP_2) | instskip(SKIP_1) | instid1(VALU_DEP_2)
	v_mul_f64 v[0:1], v[2:3], -v[6:7]
	v_mul_f64 v[2:3], v[4:5], v[2:3]
	v_fma_f64 v[0:1], v[4:5], v[13:14], v[0:1]
	s_delay_alu instid0(VALU_DEP_2) | instskip(SKIP_1) | instid1(VALU_DEP_1)
	v_fma_f64 v[2:3], v[6:7], v[13:14], v[2:3]
	v_add_nc_u32_e32 v13, s16, v12
	v_ashrrev_i32_e32 v14, 31, v13
	s_and_saveexec_b32 s5, s21
	s_delay_alu instid0(SALU_CYCLE_1)
	s_xor_b32 s5, exec_lo, s5
	s_cbranch_execz .LBB146_24
; %bb.23:                               ;   in Loop: Header=BB146_10 Depth=1
	s_delay_alu instid0(VALU_DEP_1) | instskip(NEXT) | instid1(VALU_DEP_1)
	v_lshlrev_b64 v[13:14], 4, v[13:14]
	v_add_co_u32 v13, vcc_lo, s14, v13
	s_delay_alu instid0(VALU_DEP_2)
	v_add_co_ci_u32_e32 v14, vcc_lo, s15, v14, vcc_lo
	global_store_b128 v[13:14], v[0:3], off
                                        ; implicit-def: $vgpr13
                                        ; implicit-def: $vgpr0_vgpr1
.LBB146_24:                             ;   in Loop: Header=BB146_10 Depth=1
	s_and_not1_saveexec_b32 s5, s5
	s_cbranch_execz .LBB146_9
; %bb.25:                               ;   in Loop: Header=BB146_10 Depth=1
	v_lshlrev_b64 v[13:14], 4, v[13:14]
	s_delay_alu instid0(VALU_DEP_1) | instskip(NEXT) | instid1(VALU_DEP_2)
	v_add_co_u32 v23, vcc_lo, s14, v13
	v_add_co_ci_u32_e32 v24, vcc_lo, s15, v14, vcc_lo
	global_load_b128 v[13:16], v[23:24], off
	s_waitcnt vmcnt(0)
	v_fma_f64 v[0:1], v[8:9], v[13:14], v[0:1]
	v_fma_f64 v[2:3], v[10:11], v[13:14], v[2:3]
	s_delay_alu instid0(VALU_DEP_2) | instskip(NEXT) | instid1(VALU_DEP_2)
	v_fma_f64 v[0:1], -v[10:11], v[15:16], v[0:1]
	v_fma_f64 v[2:3], v[8:9], v[15:16], v[2:3]
	global_store_b128 v[23:24], v[0:3], off
	s_branch .LBB146_9
.LBB146_26:
	s_nop 0
	s_sendmsg sendmsg(MSG_DEALLOC_VGPRS)
	s_endpgm
	.section	.rodata,"a",@progbits
	.p2align	6, 0x0
	.amdhsa_kernel _ZN9rocsparseL23gebsrmvn_general_kernelILj64ELj16E21rocsparse_complex_numIdEEEvi20rocsparse_direction_NS_24const_host_device_scalarIT1_EEPKiS8_PKS5_iiSA_S6_PS5_21rocsparse_index_base_b
		.amdhsa_group_segment_fixed_size 1024
		.amdhsa_private_segment_fixed_size 0
		.amdhsa_kernarg_size 96
		.amdhsa_user_sgpr_count 15
		.amdhsa_user_sgpr_dispatch_ptr 1
		.amdhsa_user_sgpr_queue_ptr 0
		.amdhsa_user_sgpr_kernarg_segment_ptr 1
		.amdhsa_user_sgpr_dispatch_id 0
		.amdhsa_user_sgpr_private_segment_size 0
		.amdhsa_wavefront_size32 1
		.amdhsa_uses_dynamic_stack 0
		.amdhsa_enable_private_segment 0
		.amdhsa_system_sgpr_workgroup_id_x 1
		.amdhsa_system_sgpr_workgroup_id_y 0
		.amdhsa_system_sgpr_workgroup_id_z 0
		.amdhsa_system_sgpr_workgroup_info 0
		.amdhsa_system_vgpr_workitem_id 2
		.amdhsa_next_free_vgpr 31
		.amdhsa_next_free_sgpr 28
		.amdhsa_reserve_vcc 1
		.amdhsa_float_round_mode_32 0
		.amdhsa_float_round_mode_16_64 0
		.amdhsa_float_denorm_mode_32 3
		.amdhsa_float_denorm_mode_16_64 3
		.amdhsa_dx10_clamp 1
		.amdhsa_ieee_mode 1
		.amdhsa_fp16_overflow 0
		.amdhsa_workgroup_processor_mode 1
		.amdhsa_memory_ordered 1
		.amdhsa_forward_progress 0
		.amdhsa_shared_vgpr_count 0
		.amdhsa_exception_fp_ieee_invalid_op 0
		.amdhsa_exception_fp_denorm_src 0
		.amdhsa_exception_fp_ieee_div_zero 0
		.amdhsa_exception_fp_ieee_overflow 0
		.amdhsa_exception_fp_ieee_underflow 0
		.amdhsa_exception_fp_ieee_inexact 0
		.amdhsa_exception_int_div_zero 0
	.end_amdhsa_kernel
	.section	.text._ZN9rocsparseL23gebsrmvn_general_kernelILj64ELj16E21rocsparse_complex_numIdEEEvi20rocsparse_direction_NS_24const_host_device_scalarIT1_EEPKiS8_PKS5_iiSA_S6_PS5_21rocsparse_index_base_b,"axG",@progbits,_ZN9rocsparseL23gebsrmvn_general_kernelILj64ELj16E21rocsparse_complex_numIdEEEvi20rocsparse_direction_NS_24const_host_device_scalarIT1_EEPKiS8_PKS5_iiSA_S6_PS5_21rocsparse_index_base_b,comdat
.Lfunc_end146:
	.size	_ZN9rocsparseL23gebsrmvn_general_kernelILj64ELj16E21rocsparse_complex_numIdEEEvi20rocsparse_direction_NS_24const_host_device_scalarIT1_EEPKiS8_PKS5_iiSA_S6_PS5_21rocsparse_index_base_b, .Lfunc_end146-_ZN9rocsparseL23gebsrmvn_general_kernelILj64ELj16E21rocsparse_complex_numIdEEEvi20rocsparse_direction_NS_24const_host_device_scalarIT1_EEPKiS8_PKS5_iiSA_S6_PS5_21rocsparse_index_base_b
                                        ; -- End function
	.section	.AMDGPU.csdata,"",@progbits
; Kernel info:
; codeLenInByte = 1496
; NumSgprs: 30
; NumVgprs: 31
; ScratchSize: 0
; MemoryBound: 0
; FloatMode: 240
; IeeeMode: 1
; LDSByteSize: 1024 bytes/workgroup (compile time only)
; SGPRBlocks: 3
; VGPRBlocks: 3
; NumSGPRsForWavesPerEU: 30
; NumVGPRsForWavesPerEU: 31
; Occupancy: 16
; WaveLimiterHint : 1
; COMPUTE_PGM_RSRC2:SCRATCH_EN: 0
; COMPUTE_PGM_RSRC2:USER_SGPR: 15
; COMPUTE_PGM_RSRC2:TRAP_HANDLER: 0
; COMPUTE_PGM_RSRC2:TGID_X_EN: 1
; COMPUTE_PGM_RSRC2:TGID_Y_EN: 0
; COMPUTE_PGM_RSRC2:TGID_Z_EN: 0
; COMPUTE_PGM_RSRC2:TIDIG_COMP_CNT: 2
	.section	.text._ZN9rocsparseL23gebsrmvn_general_kernelILj128ELj32E21rocsparse_complex_numIdEEEvi20rocsparse_direction_NS_24const_host_device_scalarIT1_EEPKiS8_PKS5_iiSA_S6_PS5_21rocsparse_index_base_b,"axG",@progbits,_ZN9rocsparseL23gebsrmvn_general_kernelILj128ELj32E21rocsparse_complex_numIdEEEvi20rocsparse_direction_NS_24const_host_device_scalarIT1_EEPKiS8_PKS5_iiSA_S6_PS5_21rocsparse_index_base_b,comdat
	.globl	_ZN9rocsparseL23gebsrmvn_general_kernelILj128ELj32E21rocsparse_complex_numIdEEEvi20rocsparse_direction_NS_24const_host_device_scalarIT1_EEPKiS8_PKS5_iiSA_S6_PS5_21rocsparse_index_base_b ; -- Begin function _ZN9rocsparseL23gebsrmvn_general_kernelILj128ELj32E21rocsparse_complex_numIdEEEvi20rocsparse_direction_NS_24const_host_device_scalarIT1_EEPKiS8_PKS5_iiSA_S6_PS5_21rocsparse_index_base_b
	.p2align	8
	.type	_ZN9rocsparseL23gebsrmvn_general_kernelILj128ELj32E21rocsparse_complex_numIdEEEvi20rocsparse_direction_NS_24const_host_device_scalarIT1_EEPKiS8_PKS5_iiSA_S6_PS5_21rocsparse_index_base_b,@function
_ZN9rocsparseL23gebsrmvn_general_kernelILj128ELj32E21rocsparse_complex_numIdEEEvi20rocsparse_direction_NS_24const_host_device_scalarIT1_EEPKiS8_PKS5_iiSA_S6_PS5_21rocsparse_index_base_b: ; @_ZN9rocsparseL23gebsrmvn_general_kernelILj128ELj32E21rocsparse_complex_numIdEEEvi20rocsparse_direction_NS_24const_host_device_scalarIT1_EEPKiS8_PKS5_iiSA_S6_PS5_21rocsparse_index_base_b
; %bb.0:
	s_mov_b32 s16, s15
	s_load_b64 s[12:13], s[2:3], 0x58
	s_load_b64 s[14:15], s[0:1], 0x4
	s_load_b128 s[8:11], s[2:3], 0x8
	v_bfe_u32 v2, v0, 10, 10
	s_mov_b64 s[0:1], src_shared_base
	s_load_b128 s[4:7], s[2:3], 0x40
	v_and_b32_e32 v1, 0x3ff, v0
	v_bfe_u32 v0, v0, 20, 10
	s_waitcnt lgkmcnt(0)
	s_bitcmp1_b32 s13, 0
	v_mul_u32_u24_e32 v2, s15, v2
	s_cselect_b32 s0, -1, 0
	s_delay_alu instid0(SALU_CYCLE_1)
	s_and_b32 vcc_lo, s0, exec_lo
	s_cselect_b32 s13, s1, s9
	s_lshr_b32 s14, s14, 16
	v_dual_mov_b32 v4, s4 :: v_dual_mov_b32 v5, s5
	s_mul_i32 s14, s14, s15
	v_mov_b32_e32 v7, s13
	v_mad_u32_u24 v2, s14, v1, v2
	s_delay_alu instid0(VALU_DEP_1) | instskip(SKIP_1) | instid1(VALU_DEP_2)
	v_add_lshl_u32 v0, v2, v0, 3
	v_dual_mov_b32 v2, s8 :: v_dual_mov_b32 v3, s9
	v_add_nc_u32_e32 v6, 0x400, v0
	ds_store_2addr_stride64_b64 v0, v[4:5], v[2:3] offset1:2
	v_cndmask_b32_e64 v6, s8, v6, s0
	flat_load_b64 v[4:5], v[6:7]
	v_dual_mov_b32 v6, s10 :: v_dual_mov_b32 v7, s11
	s_xor_b32 s10, s0, -1
	s_cbranch_vccnz .LBB147_2
; %bb.1:
	v_dual_mov_b32 v2, s8 :: v_dual_mov_b32 v3, s9
	flat_load_b64 v[6:7], v[2:3] offset:8
.LBB147_2:
	s_and_b32 s8, s0, exec_lo
	s_cselect_b32 s1, s1, s5
	v_cndmask_b32_e64 v2, s4, v0, s0
	v_mov_b32_e32 v3, s1
	v_dual_mov_b32 v11, s7 :: v_dual_mov_b32 v10, s6
	s_and_not1_b32 vcc_lo, exec_lo, s10
	flat_load_b64 v[8:9], v[2:3]
	s_cbranch_vccnz .LBB147_4
; %bb.3:
	v_dual_mov_b32 v2, s4 :: v_dual_mov_b32 v3, s5
	flat_load_b64 v[10:11], v[2:3] offset:8
.LBB147_4:
	s_waitcnt vmcnt(1) lgkmcnt(1)
	v_cmp_eq_f64_e32 vcc_lo, 0, v[4:5]
	v_cmp_eq_f64_e64 s0, 0, v[6:7]
	s_delay_alu instid0(VALU_DEP_1)
	s_and_b32 s4, vcc_lo, s0
	s_mov_b32 s0, -1
	s_and_saveexec_b32 s1, s4
	s_cbranch_execz .LBB147_6
; %bb.5:
	s_waitcnt vmcnt(0) lgkmcnt(0)
	v_cmp_neq_f64_e32 vcc_lo, 1.0, v[8:9]
	v_cmp_neq_f64_e64 s0, 0, v[10:11]
	s_delay_alu instid0(VALU_DEP_1) | instskip(NEXT) | instid1(SALU_CYCLE_1)
	s_or_b32 s0, vcc_lo, s0
	s_or_not1_b32 s0, s0, exec_lo
.LBB147_6:
	s_or_b32 exec_lo, exec_lo, s1
	s_and_saveexec_b32 s1, s0
	s_cbranch_execz .LBB147_26
; %bb.7:
	s_load_b64 s[8:9], s[2:3], 0x30
	v_lshrrev_b32_e32 v12, 5, v1
	s_waitcnt lgkmcnt(0)
	s_delay_alu instid0(VALU_DEP_1)
	v_cmp_gt_i32_e32 vcc_lo, s8, v12
	s_and_b32 exec_lo, exec_lo, vcc_lo
	s_cbranch_execz .LBB147_26
; %bb.8:
	s_clause 0x1
	s_load_b128 s[4:7], s[2:3], 0x18
	s_load_b64 s[10:11], s[2:3], 0x28
	v_mbcnt_lo_u32_b32 v2, -1, 0
	s_ashr_i32 s17, s16, 31
	v_and_b32_e32 v17, 31, v1
	s_lshl_b64 s[0:1], s[16:17], 2
	s_waitcnt vmcnt(0)
	v_cmp_eq_f64_e32 vcc_lo, 0, v[8:9]
	v_xor_b32_e32 v0, 16, v2
	v_xor_b32_e32 v1, 8, v2
	;; [unrolled: 1-line block ×4, first 2 shown]
	s_load_b32 s22, s[2:3], 0x4
	v_xor_b32_e32 v14, 1, v2
	s_mov_b32 s13, 0
	s_mul_i32 s16, s16, s8
	s_mul_i32 s23, s9, s8
	s_waitcnt lgkmcnt(0)
	s_add_u32 s0, s4, s0
	s_addc_u32 s1, s5, s1
	v_cmp_eq_f64_e64 s4, 0, v[10:11]
	s_load_b64 s[20:21], s[0:1], 0x0
	v_cmp_gt_i32_e64 s1, 32, v0
	s_clause 0x1
	s_load_b64 s[14:15], s[2:3], 0x50
	s_load_b64 s[2:3], s[2:3], 0x38
	v_cmp_gt_i32_e64 s0, s9, v17
	v_cndmask_b32_e64 v15, v2, v0, s1
	v_cmp_gt_i32_e64 s1, 32, v1
	s_delay_alu instid0(VALU_DEP_2) | instskip(NEXT) | instid1(VALU_DEP_2)
	v_lshlrev_b32_e32 v18, 2, v15
	v_cndmask_b32_e64 v16, v2, v1, s1
	v_cmp_gt_i32_e64 s1, 32, v3
	s_delay_alu instid0(VALU_DEP_2) | instskip(NEXT) | instid1(VALU_DEP_2)
	v_lshlrev_b32_e32 v19, 2, v16
	v_cndmask_b32_e64 v3, v2, v3, s1
	v_cmp_gt_i32_e64 s1, 32, v13
	s_waitcnt lgkmcnt(0)
	s_sub_i32 s17, s20, s12
	s_sub_i32 s18, s21, s12
	s_cmp_lt_i32 s20, s21
	v_lshlrev_b32_e32 v20, 2, v3
	v_cndmask_b32_e64 v13, v2, v13, s1
	v_cmp_gt_i32_e64 s1, 32, v14
	s_cselect_b32 s19, -1, 0
	s_cmp_lg_u32 s22, 0
	s_delay_alu instid0(VALU_DEP_2) | instskip(NEXT) | instid1(VALU_DEP_2)
	v_mad_u64_u32 v[0:1], null, s8, s17, v[12:13]
	v_cndmask_b32_e64 v1, v2, v14, s1
	v_lshlrev_b32_e32 v21, 2, v13
	v_cmp_eq_u32_e64 s1, 31, v17
	s_cselect_b32 s20, -1, 0
	s_lshl_b32 s22, s9, 2
	v_lshlrev_b32_e32 v22, 2, v1
	v_mul_lo_u32 v23, s9, v0
	s_and_b32 s21, vcc_lo, s4
	s_branch .LBB147_10
.LBB147_9:                              ;   in Loop: Header=BB147_10 Depth=1
	s_or_b32 exec_lo, exec_lo, s4
	v_add_nc_u32_e32 v12, 4, v12
	v_add_nc_u32_e32 v23, s22, v23
	s_delay_alu instid0(VALU_DEP_2) | instskip(SKIP_1) | instid1(SALU_CYCLE_1)
	v_cmp_le_i32_e32 vcc_lo, s8, v12
	s_or_b32 s13, vcc_lo, s13
	s_and_not1_b32 exec_lo, exec_lo, s13
	s_cbranch_execz .LBB147_26
.LBB147_10:                             ; =>This Loop Header: Depth=1
                                        ;     Child Loop BB147_14 Depth 2
                                        ;       Child Loop BB147_17 Depth 3
	v_mov_b32_e32 v0, 0
	v_mov_b32_e32 v1, 0
	s_and_not1_b32 vcc_lo, exec_lo, s19
	s_delay_alu instid0(VALU_DEP_1)
	v_dual_mov_b32 v3, v1 :: v_dual_mov_b32 v2, v0
	s_cbranch_vccnz .LBB147_21
; %bb.11:                               ;   in Loop: Header=BB147_10 Depth=1
	s_waitcnt lgkmcnt(1)
	v_dual_mov_b32 v0, 0 :: v_dual_mov_b32 v15, v23
	v_mov_b32_e32 v1, 0
	s_mov_b32 s4, s17
	s_delay_alu instid0(VALU_DEP_1)
	v_dual_mov_b32 v3, v1 :: v_dual_mov_b32 v2, v0
	s_branch .LBB147_14
.LBB147_12:                             ;   in Loop: Header=BB147_14 Depth=2
	s_set_inst_prefetch_distance 0x2
	s_or_b32 exec_lo, exec_lo, s25
.LBB147_13:                             ;   in Loop: Header=BB147_14 Depth=2
	s_delay_alu instid0(SALU_CYCLE_1) | instskip(SKIP_2) | instid1(SALU_CYCLE_1)
	s_or_b32 exec_lo, exec_lo, s24
	v_add_nc_u32_e32 v15, s23, v15
	s_add_i32 s4, s4, 1
	s_cmp_ge_i32 s4, s18
	s_cbranch_scc1 .LBB147_21
.LBB147_14:                             ;   Parent Loop BB147_10 Depth=1
                                        ; =>  This Loop Header: Depth=2
                                        ;       Child Loop BB147_17 Depth 3
	s_and_saveexec_b32 s24, s0
	s_cbranch_execz .LBB147_13
; %bb.15:                               ;   in Loop: Header=BB147_14 Depth=2
	s_ashr_i32 s5, s4, 31
	s_waitcnt lgkmcnt(0)
	v_mov_b32_e32 v16, v17
	s_lshl_b64 s[26:27], s[4:5], 2
	s_mov_b32 s25, 0
	s_add_u32 s26, s6, s26
	s_addc_u32 s27, s7, s27
	s_load_b32 s5, s[26:27], 0x0
	s_waitcnt lgkmcnt(0)
	s_sub_i32 s26, s5, s12
	s_mul_i32 s5, s4, s9
	s_mul_i32 s26, s26, s9
	s_set_inst_prefetch_distance 0x1
	s_branch .LBB147_17
	.p2align	6
.LBB147_16:                             ;   in Loop: Header=BB147_17 Depth=3
	v_add_nc_u32_e32 v24, s26, v16
	s_delay_alu instid0(VALU_DEP_2) | instskip(SKIP_1) | instid1(VALU_DEP_3)
	v_ashrrev_i32_e32 v14, 31, v13
	v_add_nc_u32_e32 v16, 32, v16
	v_ashrrev_i32_e32 v25, 31, v24
	s_delay_alu instid0(VALU_DEP_3) | instskip(NEXT) | instid1(VALU_DEP_2)
	v_lshlrev_b64 v[13:14], 4, v[13:14]
	v_lshlrev_b64 v[24:25], 4, v[24:25]
	s_delay_alu instid0(VALU_DEP_2) | instskip(NEXT) | instid1(VALU_DEP_3)
	v_add_co_u32 v13, vcc_lo, s10, v13
	v_add_co_ci_u32_e32 v14, vcc_lo, s11, v14, vcc_lo
	s_delay_alu instid0(VALU_DEP_3) | instskip(NEXT) | instid1(VALU_DEP_4)
	v_add_co_u32 v28, vcc_lo, s2, v24
	v_add_co_ci_u32_e32 v29, vcc_lo, s3, v25, vcc_lo
	v_cmp_le_i32_e32 vcc_lo, s9, v16
	global_load_b128 v[24:27], v[13:14], off
	global_load_b128 v[28:31], v[28:29], off
	s_or_b32 s25, vcc_lo, s25
	s_waitcnt vmcnt(0)
	v_fma_f64 v[2:3], v[24:25], v[28:29], v[2:3]
	v_fma_f64 v[0:1], v[26:27], v[28:29], v[0:1]
	s_delay_alu instid0(VALU_DEP_2) | instskip(NEXT) | instid1(VALU_DEP_2)
	v_fma_f64 v[2:3], -v[26:27], v[30:31], v[2:3]
	v_fma_f64 v[0:1], v[24:25], v[30:31], v[0:1]
	s_and_not1_b32 exec_lo, exec_lo, s25
	s_cbranch_execz .LBB147_12
.LBB147_17:                             ;   Parent Loop BB147_10 Depth=1
                                        ;     Parent Loop BB147_14 Depth=2
                                        ; =>    This Inner Loop Header: Depth=3
	s_and_b32 vcc_lo, exec_lo, s20
	s_cbranch_vccz .LBB147_19
; %bb.18:                               ;   in Loop: Header=BB147_17 Depth=3
	v_add_nc_u32_e32 v24, s5, v16
	s_delay_alu instid0(VALU_DEP_1)
	v_mad_u64_u32 v[13:14], null, v24, s8, v[12:13]
	s_cbranch_execnz .LBB147_16
	s_branch .LBB147_20
.LBB147_19:                             ;   in Loop: Header=BB147_17 Depth=3
                                        ; implicit-def: $vgpr13
.LBB147_20:                             ;   in Loop: Header=BB147_17 Depth=3
	v_add_nc_u32_e32 v13, v15, v16
	s_branch .LBB147_16
.LBB147_21:                             ;   in Loop: Header=BB147_10 Depth=1
	s_waitcnt lgkmcnt(3)
	ds_bpermute_b32 v13, v18, v2
	s_waitcnt lgkmcnt(3)
	ds_bpermute_b32 v14, v18, v3
	;; [unrolled: 2-line block ×4, first 2 shown]
	s_waitcnt lgkmcnt(2)
	v_add_f64 v[2:3], v[2:3], v[13:14]
	s_waitcnt lgkmcnt(0)
	v_add_f64 v[0:1], v[0:1], v[15:16]
	ds_bpermute_b32 v13, v19, v2
	ds_bpermute_b32 v14, v19, v3
	ds_bpermute_b32 v15, v19, v0
	ds_bpermute_b32 v16, v19, v1
	s_waitcnt lgkmcnt(2)
	v_add_f64 v[2:3], v[2:3], v[13:14]
	s_waitcnt lgkmcnt(0)
	v_add_f64 v[0:1], v[0:1], v[15:16]
	ds_bpermute_b32 v13, v20, v2
	ds_bpermute_b32 v14, v20, v3
	ds_bpermute_b32 v15, v20, v0
	ds_bpermute_b32 v16, v20, v1
	;; [unrolled: 8-line block ×4, first 2 shown]
	s_and_saveexec_b32 s4, s1
	s_cbranch_execz .LBB147_9
; %bb.22:                               ;   in Loop: Header=BB147_10 Depth=1
	s_waitcnt lgkmcnt(0)
	v_add_f64 v[2:3], v[2:3], v[15:16]
	v_add_f64 v[13:14], v[0:1], v[13:14]
	s_delay_alu instid0(VALU_DEP_2) | instskip(SKIP_1) | instid1(VALU_DEP_2)
	v_mul_f64 v[0:1], v[2:3], -v[6:7]
	v_mul_f64 v[2:3], v[4:5], v[2:3]
	v_fma_f64 v[0:1], v[4:5], v[13:14], v[0:1]
	s_delay_alu instid0(VALU_DEP_2) | instskip(SKIP_1) | instid1(VALU_DEP_1)
	v_fma_f64 v[2:3], v[6:7], v[13:14], v[2:3]
	v_add_nc_u32_e32 v13, s16, v12
	v_ashrrev_i32_e32 v14, 31, v13
	s_and_saveexec_b32 s5, s21
	s_delay_alu instid0(SALU_CYCLE_1)
	s_xor_b32 s5, exec_lo, s5
	s_cbranch_execz .LBB147_24
; %bb.23:                               ;   in Loop: Header=BB147_10 Depth=1
	s_delay_alu instid0(VALU_DEP_1) | instskip(NEXT) | instid1(VALU_DEP_1)
	v_lshlrev_b64 v[13:14], 4, v[13:14]
	v_add_co_u32 v13, vcc_lo, s14, v13
	s_delay_alu instid0(VALU_DEP_2)
	v_add_co_ci_u32_e32 v14, vcc_lo, s15, v14, vcc_lo
	global_store_b128 v[13:14], v[0:3], off
                                        ; implicit-def: $vgpr13
                                        ; implicit-def: $vgpr0_vgpr1
.LBB147_24:                             ;   in Loop: Header=BB147_10 Depth=1
	s_and_not1_saveexec_b32 s5, s5
	s_cbranch_execz .LBB147_9
; %bb.25:                               ;   in Loop: Header=BB147_10 Depth=1
	v_lshlrev_b64 v[13:14], 4, v[13:14]
	s_delay_alu instid0(VALU_DEP_1) | instskip(NEXT) | instid1(VALU_DEP_2)
	v_add_co_u32 v24, vcc_lo, s14, v13
	v_add_co_ci_u32_e32 v25, vcc_lo, s15, v14, vcc_lo
	global_load_b128 v[13:16], v[24:25], off
	s_waitcnt vmcnt(0)
	v_fma_f64 v[0:1], v[8:9], v[13:14], v[0:1]
	v_fma_f64 v[2:3], v[10:11], v[13:14], v[2:3]
	s_delay_alu instid0(VALU_DEP_2) | instskip(NEXT) | instid1(VALU_DEP_2)
	v_fma_f64 v[0:1], -v[10:11], v[15:16], v[0:1]
	v_fma_f64 v[2:3], v[8:9], v[15:16], v[2:3]
	global_store_b128 v[24:25], v[0:3], off
	s_branch .LBB147_9
.LBB147_26:
	s_nop 0
	s_sendmsg sendmsg(MSG_DEALLOC_VGPRS)
	s_endpgm
	.section	.rodata,"a",@progbits
	.p2align	6, 0x0
	.amdhsa_kernel _ZN9rocsparseL23gebsrmvn_general_kernelILj128ELj32E21rocsparse_complex_numIdEEEvi20rocsparse_direction_NS_24const_host_device_scalarIT1_EEPKiS8_PKS5_iiSA_S6_PS5_21rocsparse_index_base_b
		.amdhsa_group_segment_fixed_size 2048
		.amdhsa_private_segment_fixed_size 0
		.amdhsa_kernarg_size 96
		.amdhsa_user_sgpr_count 15
		.amdhsa_user_sgpr_dispatch_ptr 1
		.amdhsa_user_sgpr_queue_ptr 0
		.amdhsa_user_sgpr_kernarg_segment_ptr 1
		.amdhsa_user_sgpr_dispatch_id 0
		.amdhsa_user_sgpr_private_segment_size 0
		.amdhsa_wavefront_size32 1
		.amdhsa_uses_dynamic_stack 0
		.amdhsa_enable_private_segment 0
		.amdhsa_system_sgpr_workgroup_id_x 1
		.amdhsa_system_sgpr_workgroup_id_y 0
		.amdhsa_system_sgpr_workgroup_id_z 0
		.amdhsa_system_sgpr_workgroup_info 0
		.amdhsa_system_vgpr_workitem_id 2
		.amdhsa_next_free_vgpr 32
		.amdhsa_next_free_sgpr 28
		.amdhsa_reserve_vcc 1
		.amdhsa_float_round_mode_32 0
		.amdhsa_float_round_mode_16_64 0
		.amdhsa_float_denorm_mode_32 3
		.amdhsa_float_denorm_mode_16_64 3
		.amdhsa_dx10_clamp 1
		.amdhsa_ieee_mode 1
		.amdhsa_fp16_overflow 0
		.amdhsa_workgroup_processor_mode 1
		.amdhsa_memory_ordered 1
		.amdhsa_forward_progress 0
		.amdhsa_shared_vgpr_count 0
		.amdhsa_exception_fp_ieee_invalid_op 0
		.amdhsa_exception_fp_denorm_src 0
		.amdhsa_exception_fp_ieee_div_zero 0
		.amdhsa_exception_fp_ieee_overflow 0
		.amdhsa_exception_fp_ieee_underflow 0
		.amdhsa_exception_fp_ieee_inexact 0
		.amdhsa_exception_int_div_zero 0
	.end_amdhsa_kernel
	.section	.text._ZN9rocsparseL23gebsrmvn_general_kernelILj128ELj32E21rocsparse_complex_numIdEEEvi20rocsparse_direction_NS_24const_host_device_scalarIT1_EEPKiS8_PKS5_iiSA_S6_PS5_21rocsparse_index_base_b,"axG",@progbits,_ZN9rocsparseL23gebsrmvn_general_kernelILj128ELj32E21rocsparse_complex_numIdEEEvi20rocsparse_direction_NS_24const_host_device_scalarIT1_EEPKiS8_PKS5_iiSA_S6_PS5_21rocsparse_index_base_b,comdat
.Lfunc_end147:
	.size	_ZN9rocsparseL23gebsrmvn_general_kernelILj128ELj32E21rocsparse_complex_numIdEEEvi20rocsparse_direction_NS_24const_host_device_scalarIT1_EEPKiS8_PKS5_iiSA_S6_PS5_21rocsparse_index_base_b, .Lfunc_end147-_ZN9rocsparseL23gebsrmvn_general_kernelILj128ELj32E21rocsparse_complex_numIdEEEvi20rocsparse_direction_NS_24const_host_device_scalarIT1_EEPKiS8_PKS5_iiSA_S6_PS5_21rocsparse_index_base_b
                                        ; -- End function
	.section	.AMDGPU.csdata,"",@progbits
; Kernel info:
; codeLenInByte = 1576
; NumSgprs: 30
; NumVgprs: 32
; ScratchSize: 0
; MemoryBound: 0
; FloatMode: 240
; IeeeMode: 1
; LDSByteSize: 2048 bytes/workgroup (compile time only)
; SGPRBlocks: 3
; VGPRBlocks: 3
; NumSGPRsForWavesPerEU: 30
; NumVGPRsForWavesPerEU: 32
; Occupancy: 16
; WaveLimiterHint : 1
; COMPUTE_PGM_RSRC2:SCRATCH_EN: 0
; COMPUTE_PGM_RSRC2:USER_SGPR: 15
; COMPUTE_PGM_RSRC2:TRAP_HANDLER: 0
; COMPUTE_PGM_RSRC2:TGID_X_EN: 1
; COMPUTE_PGM_RSRC2:TGID_Y_EN: 0
; COMPUTE_PGM_RSRC2:TGID_Z_EN: 0
; COMPUTE_PGM_RSRC2:TIDIG_COMP_CNT: 2
	.text
	.p2alignl 7, 3214868480
	.fill 96, 4, 3214868480
	.type	__hip_cuid_609213a70480d04a,@object ; @__hip_cuid_609213a70480d04a
	.section	.bss,"aw",@nobits
	.globl	__hip_cuid_609213a70480d04a
__hip_cuid_609213a70480d04a:
	.byte	0                               ; 0x0
	.size	__hip_cuid_609213a70480d04a, 1

	.ident	"AMD clang version 19.0.0git (https://github.com/RadeonOpenCompute/llvm-project roc-6.4.0 25133 c7fe45cf4b819c5991fe208aaa96edf142730f1d)"
	.section	".note.GNU-stack","",@progbits
	.addrsig
	.addrsig_sym __hip_cuid_609213a70480d04a
	.amdgpu_metadata
---
amdhsa.kernels:
  - .args:
      - .offset:         0
        .size:           4
        .value_kind:     by_value
      - .offset:         4
        .size:           4
        .value_kind:     by_value
      - .offset:         8
        .size:           8
        .value_kind:     by_value
      - .actual_access:  read_only
        .address_space:  global
        .offset:         16
        .size:           8
        .value_kind:     global_buffer
      - .actual_access:  read_only
        .address_space:  global
        .offset:         24
        .size:           8
        .value_kind:     global_buffer
      - .actual_access:  read_only
        .address_space:  global
        .offset:         32
        .size:           8
        .value_kind:     global_buffer
      - .actual_access:  read_only
        .address_space:  global
        .offset:         40
        .size:           8
        .value_kind:     global_buffer
      - .offset:         48
        .size:           8
        .value_kind:     by_value
      - .address_space:  global
        .offset:         56
        .size:           8
        .value_kind:     global_buffer
      - .offset:         64
        .size:           4
        .value_kind:     by_value
      - .offset:         68
        .size:           1
        .value_kind:     by_value
    .group_segment_fixed_size: 0
    .kernarg_segment_align: 8
    .kernarg_segment_size: 72
    .language:       OpenCL C
    .language_version:
      - 2
      - 0
    .max_flat_workgroup_size: 128
    .name:           _ZN9rocsparseL19gebsrmvn_4xn_kernelILj128ELj1ELj4EfEEvi20rocsparse_direction_NS_24const_host_device_scalarIT2_EEPKiS6_PKS3_S8_S4_PS3_21rocsparse_index_base_b
    .private_segment_fixed_size: 0
    .sgpr_count:     22
    .sgpr_spill_count: 0
    .symbol:         _ZN9rocsparseL19gebsrmvn_4xn_kernelILj128ELj1ELj4EfEEvi20rocsparse_direction_NS_24const_host_device_scalarIT2_EEPKiS6_PKS3_S8_S4_PS3_21rocsparse_index_base_b.kd
    .uniform_work_group_size: 1
    .uses_dynamic_stack: false
    .vgpr_count:     20
    .vgpr_spill_count: 0
    .wavefront_size: 32
    .workgroup_processor_mode: 1
  - .args:
      - .offset:         0
        .size:           4
        .value_kind:     by_value
      - .offset:         4
        .size:           4
        .value_kind:     by_value
      - .offset:         8
        .size:           8
        .value_kind:     by_value
      - .actual_access:  read_only
        .address_space:  global
        .offset:         16
        .size:           8
        .value_kind:     global_buffer
      - .actual_access:  read_only
        .address_space:  global
        .offset:         24
        .size:           8
        .value_kind:     global_buffer
      - .actual_access:  read_only
        .address_space:  global
        .offset:         32
        .size:           8
        .value_kind:     global_buffer
      - .actual_access:  read_only
        .address_space:  global
        .offset:         40
        .size:           8
        .value_kind:     global_buffer
      - .offset:         48
        .size:           8
        .value_kind:     by_value
      - .address_space:  global
        .offset:         56
        .size:           8
        .value_kind:     global_buffer
      - .offset:         64
        .size:           4
        .value_kind:     by_value
      - .offset:         68
        .size:           1
        .value_kind:     by_value
    .group_segment_fixed_size: 0
    .kernarg_segment_align: 8
    .kernarg_segment_size: 72
    .language:       OpenCL C
    .language_version:
      - 2
      - 0
    .max_flat_workgroup_size: 128
    .name:           _ZN9rocsparseL19gebsrmvn_4xn_kernelILj128ELj1ELj8EfEEvi20rocsparse_direction_NS_24const_host_device_scalarIT2_EEPKiS6_PKS3_S8_S4_PS3_21rocsparse_index_base_b
    .private_segment_fixed_size: 0
    .sgpr_count:     22
    .sgpr_spill_count: 0
    .symbol:         _ZN9rocsparseL19gebsrmvn_4xn_kernelILj128ELj1ELj8EfEEvi20rocsparse_direction_NS_24const_host_device_scalarIT2_EEPKiS6_PKS3_S8_S4_PS3_21rocsparse_index_base_b.kd
    .uniform_work_group_size: 1
    .uses_dynamic_stack: false
    .vgpr_count:     20
    .vgpr_spill_count: 0
    .wavefront_size: 32
    .workgroup_processor_mode: 1
  - .args:
      - .offset:         0
        .size:           4
        .value_kind:     by_value
      - .offset:         4
        .size:           4
        .value_kind:     by_value
      - .offset:         8
        .size:           8
        .value_kind:     by_value
      - .actual_access:  read_only
        .address_space:  global
        .offset:         16
        .size:           8
        .value_kind:     global_buffer
      - .actual_access:  read_only
        .address_space:  global
        .offset:         24
        .size:           8
        .value_kind:     global_buffer
      - .actual_access:  read_only
        .address_space:  global
        .offset:         32
        .size:           8
        .value_kind:     global_buffer
      - .actual_access:  read_only
        .address_space:  global
        .offset:         40
        .size:           8
        .value_kind:     global_buffer
      - .offset:         48
        .size:           8
        .value_kind:     by_value
      - .address_space:  global
        .offset:         56
        .size:           8
        .value_kind:     global_buffer
      - .offset:         64
        .size:           4
        .value_kind:     by_value
      - .offset:         68
        .size:           1
        .value_kind:     by_value
    .group_segment_fixed_size: 0
    .kernarg_segment_align: 8
    .kernarg_segment_size: 72
    .language:       OpenCL C
    .language_version:
      - 2
      - 0
    .max_flat_workgroup_size: 128
    .name:           _ZN9rocsparseL19gebsrmvn_4xn_kernelILj128ELj1ELj16EfEEvi20rocsparse_direction_NS_24const_host_device_scalarIT2_EEPKiS6_PKS3_S8_S4_PS3_21rocsparse_index_base_b
    .private_segment_fixed_size: 0
    .sgpr_count:     22
    .sgpr_spill_count: 0
    .symbol:         _ZN9rocsparseL19gebsrmvn_4xn_kernelILj128ELj1ELj16EfEEvi20rocsparse_direction_NS_24const_host_device_scalarIT2_EEPKiS6_PKS3_S8_S4_PS3_21rocsparse_index_base_b.kd
    .uniform_work_group_size: 1
    .uses_dynamic_stack: false
    .vgpr_count:     20
    .vgpr_spill_count: 0
    .wavefront_size: 32
    .workgroup_processor_mode: 1
  - .args:
      - .offset:         0
        .size:           4
        .value_kind:     by_value
      - .offset:         4
        .size:           4
        .value_kind:     by_value
      - .offset:         8
        .size:           8
        .value_kind:     by_value
      - .actual_access:  read_only
        .address_space:  global
        .offset:         16
        .size:           8
        .value_kind:     global_buffer
      - .actual_access:  read_only
        .address_space:  global
        .offset:         24
        .size:           8
        .value_kind:     global_buffer
      - .actual_access:  read_only
        .address_space:  global
        .offset:         32
        .size:           8
        .value_kind:     global_buffer
      - .actual_access:  read_only
        .address_space:  global
        .offset:         40
        .size:           8
        .value_kind:     global_buffer
      - .offset:         48
        .size:           8
        .value_kind:     by_value
      - .address_space:  global
        .offset:         56
        .size:           8
        .value_kind:     global_buffer
      - .offset:         64
        .size:           4
        .value_kind:     by_value
      - .offset:         68
        .size:           1
        .value_kind:     by_value
    .group_segment_fixed_size: 0
    .kernarg_segment_align: 8
    .kernarg_segment_size: 72
    .language:       OpenCL C
    .language_version:
      - 2
      - 0
    .max_flat_workgroup_size: 128
    .name:           _ZN9rocsparseL19gebsrmvn_4xn_kernelILj128ELj1ELj32EfEEvi20rocsparse_direction_NS_24const_host_device_scalarIT2_EEPKiS6_PKS3_S8_S4_PS3_21rocsparse_index_base_b
    .private_segment_fixed_size: 0
    .sgpr_count:     22
    .sgpr_spill_count: 0
    .symbol:         _ZN9rocsparseL19gebsrmvn_4xn_kernelILj128ELj1ELj32EfEEvi20rocsparse_direction_NS_24const_host_device_scalarIT2_EEPKiS6_PKS3_S8_S4_PS3_21rocsparse_index_base_b.kd
    .uniform_work_group_size: 1
    .uses_dynamic_stack: false
    .vgpr_count:     20
    .vgpr_spill_count: 0
    .wavefront_size: 32
    .workgroup_processor_mode: 1
  - .args:
      - .offset:         0
        .size:           4
        .value_kind:     by_value
      - .offset:         4
        .size:           4
        .value_kind:     by_value
      - .offset:         8
        .size:           8
        .value_kind:     by_value
      - .actual_access:  read_only
        .address_space:  global
        .offset:         16
        .size:           8
        .value_kind:     global_buffer
      - .actual_access:  read_only
        .address_space:  global
        .offset:         24
        .size:           8
        .value_kind:     global_buffer
      - .actual_access:  read_only
        .address_space:  global
        .offset:         32
        .size:           8
        .value_kind:     global_buffer
      - .actual_access:  read_only
        .address_space:  global
        .offset:         40
        .size:           8
        .value_kind:     global_buffer
      - .offset:         48
        .size:           8
        .value_kind:     by_value
      - .address_space:  global
        .offset:         56
        .size:           8
        .value_kind:     global_buffer
      - .offset:         64
        .size:           4
        .value_kind:     by_value
      - .offset:         68
        .size:           1
        .value_kind:     by_value
    .group_segment_fixed_size: 0
    .kernarg_segment_align: 8
    .kernarg_segment_size: 72
    .language:       OpenCL C
    .language_version:
      - 2
      - 0
    .max_flat_workgroup_size: 128
    .name:           _ZN9rocsparseL19gebsrmvn_4xn_kernelILj128ELj1ELj64EfEEvi20rocsparse_direction_NS_24const_host_device_scalarIT2_EEPKiS6_PKS3_S8_S4_PS3_21rocsparse_index_base_b
    .private_segment_fixed_size: 0
    .sgpr_count:     22
    .sgpr_spill_count: 0
    .symbol:         _ZN9rocsparseL19gebsrmvn_4xn_kernelILj128ELj1ELj64EfEEvi20rocsparse_direction_NS_24const_host_device_scalarIT2_EEPKiS6_PKS3_S8_S4_PS3_21rocsparse_index_base_b.kd
    .uniform_work_group_size: 1
    .uses_dynamic_stack: false
    .vgpr_count:     20
    .vgpr_spill_count: 0
    .wavefront_size: 32
    .workgroup_processor_mode: 1
  - .args:
      - .offset:         0
        .size:           4
        .value_kind:     by_value
      - .offset:         4
        .size:           4
        .value_kind:     by_value
      - .offset:         8
        .size:           8
        .value_kind:     by_value
      - .actual_access:  read_only
        .address_space:  global
        .offset:         16
        .size:           8
        .value_kind:     global_buffer
      - .actual_access:  read_only
        .address_space:  global
        .offset:         24
        .size:           8
        .value_kind:     global_buffer
      - .actual_access:  read_only
        .address_space:  global
        .offset:         32
        .size:           8
        .value_kind:     global_buffer
      - .actual_access:  read_only
        .address_space:  global
        .offset:         40
        .size:           8
        .value_kind:     global_buffer
      - .offset:         48
        .size:           8
        .value_kind:     by_value
      - .address_space:  global
        .offset:         56
        .size:           8
        .value_kind:     global_buffer
      - .offset:         64
        .size:           4
        .value_kind:     by_value
      - .offset:         68
        .size:           1
        .value_kind:     by_value
    .group_segment_fixed_size: 0
    .kernarg_segment_align: 8
    .kernarg_segment_size: 72
    .language:       OpenCL C
    .language_version:
      - 2
      - 0
    .max_flat_workgroup_size: 128
    .name:           _ZN9rocsparseL19gebsrmvn_4xn_kernelILj128ELj2ELj4EfEEvi20rocsparse_direction_NS_24const_host_device_scalarIT2_EEPKiS6_PKS3_S8_S4_PS3_21rocsparse_index_base_b
    .private_segment_fixed_size: 0
    .sgpr_count:     22
    .sgpr_spill_count: 0
    .symbol:         _ZN9rocsparseL19gebsrmvn_4xn_kernelILj128ELj2ELj4EfEEvi20rocsparse_direction_NS_24const_host_device_scalarIT2_EEPKiS6_PKS3_S8_S4_PS3_21rocsparse_index_base_b.kd
    .uniform_work_group_size: 1
    .uses_dynamic_stack: false
    .vgpr_count:     23
    .vgpr_spill_count: 0
    .wavefront_size: 32
    .workgroup_processor_mode: 1
  - .args:
      - .offset:         0
        .size:           4
        .value_kind:     by_value
      - .offset:         4
        .size:           4
        .value_kind:     by_value
      - .offset:         8
        .size:           8
        .value_kind:     by_value
      - .actual_access:  read_only
        .address_space:  global
        .offset:         16
        .size:           8
        .value_kind:     global_buffer
      - .actual_access:  read_only
        .address_space:  global
        .offset:         24
        .size:           8
        .value_kind:     global_buffer
      - .actual_access:  read_only
        .address_space:  global
        .offset:         32
        .size:           8
        .value_kind:     global_buffer
      - .actual_access:  read_only
        .address_space:  global
        .offset:         40
        .size:           8
        .value_kind:     global_buffer
      - .offset:         48
        .size:           8
        .value_kind:     by_value
      - .address_space:  global
        .offset:         56
        .size:           8
        .value_kind:     global_buffer
      - .offset:         64
        .size:           4
        .value_kind:     by_value
      - .offset:         68
        .size:           1
        .value_kind:     by_value
    .group_segment_fixed_size: 0
    .kernarg_segment_align: 8
    .kernarg_segment_size: 72
    .language:       OpenCL C
    .language_version:
      - 2
      - 0
    .max_flat_workgroup_size: 128
    .name:           _ZN9rocsparseL19gebsrmvn_4xn_kernelILj128ELj2ELj8EfEEvi20rocsparse_direction_NS_24const_host_device_scalarIT2_EEPKiS6_PKS3_S8_S4_PS3_21rocsparse_index_base_b
    .private_segment_fixed_size: 0
    .sgpr_count:     22
    .sgpr_spill_count: 0
    .symbol:         _ZN9rocsparseL19gebsrmvn_4xn_kernelILj128ELj2ELj8EfEEvi20rocsparse_direction_NS_24const_host_device_scalarIT2_EEPKiS6_PKS3_S8_S4_PS3_21rocsparse_index_base_b.kd
    .uniform_work_group_size: 1
    .uses_dynamic_stack: false
    .vgpr_count:     23
    .vgpr_spill_count: 0
    .wavefront_size: 32
    .workgroup_processor_mode: 1
  - .args:
      - .offset:         0
        .size:           4
        .value_kind:     by_value
      - .offset:         4
        .size:           4
        .value_kind:     by_value
      - .offset:         8
        .size:           8
        .value_kind:     by_value
      - .actual_access:  read_only
        .address_space:  global
        .offset:         16
        .size:           8
        .value_kind:     global_buffer
      - .actual_access:  read_only
        .address_space:  global
        .offset:         24
        .size:           8
        .value_kind:     global_buffer
      - .actual_access:  read_only
        .address_space:  global
        .offset:         32
        .size:           8
        .value_kind:     global_buffer
      - .actual_access:  read_only
        .address_space:  global
        .offset:         40
        .size:           8
        .value_kind:     global_buffer
      - .offset:         48
        .size:           8
        .value_kind:     by_value
      - .address_space:  global
        .offset:         56
        .size:           8
        .value_kind:     global_buffer
      - .offset:         64
        .size:           4
        .value_kind:     by_value
      - .offset:         68
        .size:           1
        .value_kind:     by_value
    .group_segment_fixed_size: 0
    .kernarg_segment_align: 8
    .kernarg_segment_size: 72
    .language:       OpenCL C
    .language_version:
      - 2
      - 0
    .max_flat_workgroup_size: 128
    .name:           _ZN9rocsparseL19gebsrmvn_4xn_kernelILj128ELj2ELj16EfEEvi20rocsparse_direction_NS_24const_host_device_scalarIT2_EEPKiS6_PKS3_S8_S4_PS3_21rocsparse_index_base_b
    .private_segment_fixed_size: 0
    .sgpr_count:     22
    .sgpr_spill_count: 0
    .symbol:         _ZN9rocsparseL19gebsrmvn_4xn_kernelILj128ELj2ELj16EfEEvi20rocsparse_direction_NS_24const_host_device_scalarIT2_EEPKiS6_PKS3_S8_S4_PS3_21rocsparse_index_base_b.kd
    .uniform_work_group_size: 1
    .uses_dynamic_stack: false
    .vgpr_count:     23
    .vgpr_spill_count: 0
    .wavefront_size: 32
    .workgroup_processor_mode: 1
  - .args:
      - .offset:         0
        .size:           4
        .value_kind:     by_value
      - .offset:         4
        .size:           4
        .value_kind:     by_value
      - .offset:         8
        .size:           8
        .value_kind:     by_value
      - .actual_access:  read_only
        .address_space:  global
        .offset:         16
        .size:           8
        .value_kind:     global_buffer
      - .actual_access:  read_only
        .address_space:  global
        .offset:         24
        .size:           8
        .value_kind:     global_buffer
      - .actual_access:  read_only
        .address_space:  global
        .offset:         32
        .size:           8
        .value_kind:     global_buffer
      - .actual_access:  read_only
        .address_space:  global
        .offset:         40
        .size:           8
        .value_kind:     global_buffer
      - .offset:         48
        .size:           8
        .value_kind:     by_value
      - .address_space:  global
        .offset:         56
        .size:           8
        .value_kind:     global_buffer
      - .offset:         64
        .size:           4
        .value_kind:     by_value
      - .offset:         68
        .size:           1
        .value_kind:     by_value
    .group_segment_fixed_size: 0
    .kernarg_segment_align: 8
    .kernarg_segment_size: 72
    .language:       OpenCL C
    .language_version:
      - 2
      - 0
    .max_flat_workgroup_size: 128
    .name:           _ZN9rocsparseL19gebsrmvn_4xn_kernelILj128ELj2ELj32EfEEvi20rocsparse_direction_NS_24const_host_device_scalarIT2_EEPKiS6_PKS3_S8_S4_PS3_21rocsparse_index_base_b
    .private_segment_fixed_size: 0
    .sgpr_count:     22
    .sgpr_spill_count: 0
    .symbol:         _ZN9rocsparseL19gebsrmvn_4xn_kernelILj128ELj2ELj32EfEEvi20rocsparse_direction_NS_24const_host_device_scalarIT2_EEPKiS6_PKS3_S8_S4_PS3_21rocsparse_index_base_b.kd
    .uniform_work_group_size: 1
    .uses_dynamic_stack: false
    .vgpr_count:     23
    .vgpr_spill_count: 0
    .wavefront_size: 32
    .workgroup_processor_mode: 1
  - .args:
      - .offset:         0
        .size:           4
        .value_kind:     by_value
      - .offset:         4
        .size:           4
        .value_kind:     by_value
      - .offset:         8
        .size:           8
        .value_kind:     by_value
      - .actual_access:  read_only
        .address_space:  global
        .offset:         16
        .size:           8
        .value_kind:     global_buffer
      - .actual_access:  read_only
        .address_space:  global
        .offset:         24
        .size:           8
        .value_kind:     global_buffer
      - .actual_access:  read_only
        .address_space:  global
        .offset:         32
        .size:           8
        .value_kind:     global_buffer
      - .actual_access:  read_only
        .address_space:  global
        .offset:         40
        .size:           8
        .value_kind:     global_buffer
      - .offset:         48
        .size:           8
        .value_kind:     by_value
      - .address_space:  global
        .offset:         56
        .size:           8
        .value_kind:     global_buffer
      - .offset:         64
        .size:           4
        .value_kind:     by_value
      - .offset:         68
        .size:           1
        .value_kind:     by_value
    .group_segment_fixed_size: 0
    .kernarg_segment_align: 8
    .kernarg_segment_size: 72
    .language:       OpenCL C
    .language_version:
      - 2
      - 0
    .max_flat_workgroup_size: 128
    .name:           _ZN9rocsparseL19gebsrmvn_4xn_kernelILj128ELj2ELj64EfEEvi20rocsparse_direction_NS_24const_host_device_scalarIT2_EEPKiS6_PKS3_S8_S4_PS3_21rocsparse_index_base_b
    .private_segment_fixed_size: 0
    .sgpr_count:     22
    .sgpr_spill_count: 0
    .symbol:         _ZN9rocsparseL19gebsrmvn_4xn_kernelILj128ELj2ELj64EfEEvi20rocsparse_direction_NS_24const_host_device_scalarIT2_EEPKiS6_PKS3_S8_S4_PS3_21rocsparse_index_base_b.kd
    .uniform_work_group_size: 1
    .uses_dynamic_stack: false
    .vgpr_count:     23
    .vgpr_spill_count: 0
    .wavefront_size: 32
    .workgroup_processor_mode: 1
  - .args:
      - .offset:         0
        .size:           4
        .value_kind:     by_value
      - .offset:         4
        .size:           4
        .value_kind:     by_value
      - .offset:         8
        .size:           8
        .value_kind:     by_value
      - .actual_access:  read_only
        .address_space:  global
        .offset:         16
        .size:           8
        .value_kind:     global_buffer
      - .actual_access:  read_only
        .address_space:  global
        .offset:         24
        .size:           8
        .value_kind:     global_buffer
      - .actual_access:  read_only
        .address_space:  global
        .offset:         32
        .size:           8
        .value_kind:     global_buffer
      - .actual_access:  read_only
        .address_space:  global
        .offset:         40
        .size:           8
        .value_kind:     global_buffer
      - .offset:         48
        .size:           8
        .value_kind:     by_value
      - .address_space:  global
        .offset:         56
        .size:           8
        .value_kind:     global_buffer
      - .offset:         64
        .size:           4
        .value_kind:     by_value
      - .offset:         68
        .size:           1
        .value_kind:     by_value
    .group_segment_fixed_size: 0
    .kernarg_segment_align: 8
    .kernarg_segment_size: 72
    .language:       OpenCL C
    .language_version:
      - 2
      - 0
    .max_flat_workgroup_size: 128
    .name:           _ZN9rocsparseL19gebsrmvn_4xn_kernelILj128ELj3ELj4EfEEvi20rocsparse_direction_NS_24const_host_device_scalarIT2_EEPKiS6_PKS3_S8_S4_PS3_21rocsparse_index_base_b
    .private_segment_fixed_size: 0
    .sgpr_count:     22
    .sgpr_spill_count: 0
    .symbol:         _ZN9rocsparseL19gebsrmvn_4xn_kernelILj128ELj3ELj4EfEEvi20rocsparse_direction_NS_24const_host_device_scalarIT2_EEPKiS6_PKS3_S8_S4_PS3_21rocsparse_index_base_b.kd
    .uniform_work_group_size: 1
    .uses_dynamic_stack: false
    .vgpr_count:     32
    .vgpr_spill_count: 0
    .wavefront_size: 32
    .workgroup_processor_mode: 1
  - .args:
      - .offset:         0
        .size:           4
        .value_kind:     by_value
      - .offset:         4
        .size:           4
        .value_kind:     by_value
      - .offset:         8
        .size:           8
        .value_kind:     by_value
      - .actual_access:  read_only
        .address_space:  global
        .offset:         16
        .size:           8
        .value_kind:     global_buffer
      - .actual_access:  read_only
        .address_space:  global
        .offset:         24
        .size:           8
        .value_kind:     global_buffer
      - .actual_access:  read_only
        .address_space:  global
        .offset:         32
        .size:           8
        .value_kind:     global_buffer
      - .actual_access:  read_only
        .address_space:  global
        .offset:         40
        .size:           8
        .value_kind:     global_buffer
      - .offset:         48
        .size:           8
        .value_kind:     by_value
      - .address_space:  global
        .offset:         56
        .size:           8
        .value_kind:     global_buffer
      - .offset:         64
        .size:           4
        .value_kind:     by_value
      - .offset:         68
        .size:           1
        .value_kind:     by_value
    .group_segment_fixed_size: 0
    .kernarg_segment_align: 8
    .kernarg_segment_size: 72
    .language:       OpenCL C
    .language_version:
      - 2
      - 0
    .max_flat_workgroup_size: 128
    .name:           _ZN9rocsparseL19gebsrmvn_4xn_kernelILj128ELj3ELj8EfEEvi20rocsparse_direction_NS_24const_host_device_scalarIT2_EEPKiS6_PKS3_S8_S4_PS3_21rocsparse_index_base_b
    .private_segment_fixed_size: 0
    .sgpr_count:     22
    .sgpr_spill_count: 0
    .symbol:         _ZN9rocsparseL19gebsrmvn_4xn_kernelILj128ELj3ELj8EfEEvi20rocsparse_direction_NS_24const_host_device_scalarIT2_EEPKiS6_PKS3_S8_S4_PS3_21rocsparse_index_base_b.kd
    .uniform_work_group_size: 1
    .uses_dynamic_stack: false
    .vgpr_count:     32
    .vgpr_spill_count: 0
    .wavefront_size: 32
    .workgroup_processor_mode: 1
  - .args:
      - .offset:         0
        .size:           4
        .value_kind:     by_value
      - .offset:         4
        .size:           4
        .value_kind:     by_value
      - .offset:         8
        .size:           8
        .value_kind:     by_value
      - .actual_access:  read_only
        .address_space:  global
        .offset:         16
        .size:           8
        .value_kind:     global_buffer
      - .actual_access:  read_only
        .address_space:  global
        .offset:         24
        .size:           8
        .value_kind:     global_buffer
      - .actual_access:  read_only
        .address_space:  global
        .offset:         32
        .size:           8
        .value_kind:     global_buffer
      - .actual_access:  read_only
        .address_space:  global
        .offset:         40
        .size:           8
        .value_kind:     global_buffer
      - .offset:         48
        .size:           8
        .value_kind:     by_value
      - .address_space:  global
        .offset:         56
        .size:           8
        .value_kind:     global_buffer
      - .offset:         64
        .size:           4
        .value_kind:     by_value
      - .offset:         68
        .size:           1
        .value_kind:     by_value
    .group_segment_fixed_size: 0
    .kernarg_segment_align: 8
    .kernarg_segment_size: 72
    .language:       OpenCL C
    .language_version:
      - 2
      - 0
    .max_flat_workgroup_size: 128
    .name:           _ZN9rocsparseL19gebsrmvn_4xn_kernelILj128ELj3ELj16EfEEvi20rocsparse_direction_NS_24const_host_device_scalarIT2_EEPKiS6_PKS3_S8_S4_PS3_21rocsparse_index_base_b
    .private_segment_fixed_size: 0
    .sgpr_count:     22
    .sgpr_spill_count: 0
    .symbol:         _ZN9rocsparseL19gebsrmvn_4xn_kernelILj128ELj3ELj16EfEEvi20rocsparse_direction_NS_24const_host_device_scalarIT2_EEPKiS6_PKS3_S8_S4_PS3_21rocsparse_index_base_b.kd
    .uniform_work_group_size: 1
    .uses_dynamic_stack: false
    .vgpr_count:     32
    .vgpr_spill_count: 0
    .wavefront_size: 32
    .workgroup_processor_mode: 1
  - .args:
      - .offset:         0
        .size:           4
        .value_kind:     by_value
      - .offset:         4
        .size:           4
        .value_kind:     by_value
      - .offset:         8
        .size:           8
        .value_kind:     by_value
      - .actual_access:  read_only
        .address_space:  global
        .offset:         16
        .size:           8
        .value_kind:     global_buffer
      - .actual_access:  read_only
        .address_space:  global
        .offset:         24
        .size:           8
        .value_kind:     global_buffer
      - .actual_access:  read_only
        .address_space:  global
        .offset:         32
        .size:           8
        .value_kind:     global_buffer
      - .actual_access:  read_only
        .address_space:  global
        .offset:         40
        .size:           8
        .value_kind:     global_buffer
      - .offset:         48
        .size:           8
        .value_kind:     by_value
      - .address_space:  global
        .offset:         56
        .size:           8
        .value_kind:     global_buffer
      - .offset:         64
        .size:           4
        .value_kind:     by_value
      - .offset:         68
        .size:           1
        .value_kind:     by_value
    .group_segment_fixed_size: 0
    .kernarg_segment_align: 8
    .kernarg_segment_size: 72
    .language:       OpenCL C
    .language_version:
      - 2
      - 0
    .max_flat_workgroup_size: 128
    .name:           _ZN9rocsparseL19gebsrmvn_4xn_kernelILj128ELj3ELj32EfEEvi20rocsparse_direction_NS_24const_host_device_scalarIT2_EEPKiS6_PKS3_S8_S4_PS3_21rocsparse_index_base_b
    .private_segment_fixed_size: 0
    .sgpr_count:     22
    .sgpr_spill_count: 0
    .symbol:         _ZN9rocsparseL19gebsrmvn_4xn_kernelILj128ELj3ELj32EfEEvi20rocsparse_direction_NS_24const_host_device_scalarIT2_EEPKiS6_PKS3_S8_S4_PS3_21rocsparse_index_base_b.kd
    .uniform_work_group_size: 1
    .uses_dynamic_stack: false
    .vgpr_count:     32
    .vgpr_spill_count: 0
    .wavefront_size: 32
    .workgroup_processor_mode: 1
  - .args:
      - .offset:         0
        .size:           4
        .value_kind:     by_value
      - .offset:         4
        .size:           4
        .value_kind:     by_value
      - .offset:         8
        .size:           8
        .value_kind:     by_value
      - .actual_access:  read_only
        .address_space:  global
        .offset:         16
        .size:           8
        .value_kind:     global_buffer
      - .actual_access:  read_only
        .address_space:  global
        .offset:         24
        .size:           8
        .value_kind:     global_buffer
      - .actual_access:  read_only
        .address_space:  global
        .offset:         32
        .size:           8
        .value_kind:     global_buffer
      - .actual_access:  read_only
        .address_space:  global
        .offset:         40
        .size:           8
        .value_kind:     global_buffer
      - .offset:         48
        .size:           8
        .value_kind:     by_value
      - .address_space:  global
        .offset:         56
        .size:           8
        .value_kind:     global_buffer
      - .offset:         64
        .size:           4
        .value_kind:     by_value
      - .offset:         68
        .size:           1
        .value_kind:     by_value
    .group_segment_fixed_size: 0
    .kernarg_segment_align: 8
    .kernarg_segment_size: 72
    .language:       OpenCL C
    .language_version:
      - 2
      - 0
    .max_flat_workgroup_size: 128
    .name:           _ZN9rocsparseL19gebsrmvn_4xn_kernelILj128ELj3ELj64EfEEvi20rocsparse_direction_NS_24const_host_device_scalarIT2_EEPKiS6_PKS3_S8_S4_PS3_21rocsparse_index_base_b
    .private_segment_fixed_size: 0
    .sgpr_count:     22
    .sgpr_spill_count: 0
    .symbol:         _ZN9rocsparseL19gebsrmvn_4xn_kernelILj128ELj3ELj64EfEEvi20rocsparse_direction_NS_24const_host_device_scalarIT2_EEPKiS6_PKS3_S8_S4_PS3_21rocsparse_index_base_b.kd
    .uniform_work_group_size: 1
    .uses_dynamic_stack: false
    .vgpr_count:     32
    .vgpr_spill_count: 0
    .wavefront_size: 32
    .workgroup_processor_mode: 1
  - .args:
      - .offset:         0
        .size:           4
        .value_kind:     by_value
      - .offset:         4
        .size:           4
        .value_kind:     by_value
      - .offset:         8
        .size:           8
        .value_kind:     by_value
      - .actual_access:  read_only
        .address_space:  global
        .offset:         16
        .size:           8
        .value_kind:     global_buffer
      - .actual_access:  read_only
        .address_space:  global
        .offset:         24
        .size:           8
        .value_kind:     global_buffer
      - .actual_access:  read_only
        .address_space:  global
        .offset:         32
        .size:           8
        .value_kind:     global_buffer
      - .actual_access:  read_only
        .address_space:  global
        .offset:         40
        .size:           8
        .value_kind:     global_buffer
      - .offset:         48
        .size:           8
        .value_kind:     by_value
      - .address_space:  global
        .offset:         56
        .size:           8
        .value_kind:     global_buffer
      - .offset:         64
        .size:           4
        .value_kind:     by_value
      - .offset:         68
        .size:           1
        .value_kind:     by_value
    .group_segment_fixed_size: 0
    .kernarg_segment_align: 8
    .kernarg_segment_size: 72
    .language:       OpenCL C
    .language_version:
      - 2
      - 0
    .max_flat_workgroup_size: 128
    .name:           _ZN9rocsparseL19gebsrmvn_4xn_kernelILj128ELj5ELj4EfEEvi20rocsparse_direction_NS_24const_host_device_scalarIT2_EEPKiS6_PKS3_S8_S4_PS3_21rocsparse_index_base_b
    .private_segment_fixed_size: 0
    .sgpr_count:     22
    .sgpr_spill_count: 0
    .symbol:         _ZN9rocsparseL19gebsrmvn_4xn_kernelILj128ELj5ELj4EfEEvi20rocsparse_direction_NS_24const_host_device_scalarIT2_EEPKiS6_PKS3_S8_S4_PS3_21rocsparse_index_base_b.kd
    .uniform_work_group_size: 1
    .uses_dynamic_stack: false
    .vgpr_count:     41
    .vgpr_spill_count: 0
    .wavefront_size: 32
    .workgroup_processor_mode: 1
  - .args:
      - .offset:         0
        .size:           4
        .value_kind:     by_value
      - .offset:         4
        .size:           4
        .value_kind:     by_value
      - .offset:         8
        .size:           8
        .value_kind:     by_value
      - .actual_access:  read_only
        .address_space:  global
        .offset:         16
        .size:           8
        .value_kind:     global_buffer
      - .actual_access:  read_only
        .address_space:  global
        .offset:         24
        .size:           8
        .value_kind:     global_buffer
      - .actual_access:  read_only
        .address_space:  global
        .offset:         32
        .size:           8
        .value_kind:     global_buffer
      - .actual_access:  read_only
        .address_space:  global
        .offset:         40
        .size:           8
        .value_kind:     global_buffer
      - .offset:         48
        .size:           8
        .value_kind:     by_value
      - .address_space:  global
        .offset:         56
        .size:           8
        .value_kind:     global_buffer
      - .offset:         64
        .size:           4
        .value_kind:     by_value
      - .offset:         68
        .size:           1
        .value_kind:     by_value
    .group_segment_fixed_size: 0
    .kernarg_segment_align: 8
    .kernarg_segment_size: 72
    .language:       OpenCL C
    .language_version:
      - 2
      - 0
    .max_flat_workgroup_size: 128
    .name:           _ZN9rocsparseL19gebsrmvn_4xn_kernelILj128ELj5ELj8EfEEvi20rocsparse_direction_NS_24const_host_device_scalarIT2_EEPKiS6_PKS3_S8_S4_PS3_21rocsparse_index_base_b
    .private_segment_fixed_size: 0
    .sgpr_count:     22
    .sgpr_spill_count: 0
    .symbol:         _ZN9rocsparseL19gebsrmvn_4xn_kernelILj128ELj5ELj8EfEEvi20rocsparse_direction_NS_24const_host_device_scalarIT2_EEPKiS6_PKS3_S8_S4_PS3_21rocsparse_index_base_b.kd
    .uniform_work_group_size: 1
    .uses_dynamic_stack: false
    .vgpr_count:     41
    .vgpr_spill_count: 0
    .wavefront_size: 32
    .workgroup_processor_mode: 1
  - .args:
      - .offset:         0
        .size:           4
        .value_kind:     by_value
      - .offset:         4
        .size:           4
        .value_kind:     by_value
      - .offset:         8
        .size:           8
        .value_kind:     by_value
      - .actual_access:  read_only
        .address_space:  global
        .offset:         16
        .size:           8
        .value_kind:     global_buffer
      - .actual_access:  read_only
        .address_space:  global
        .offset:         24
        .size:           8
        .value_kind:     global_buffer
      - .actual_access:  read_only
        .address_space:  global
        .offset:         32
        .size:           8
        .value_kind:     global_buffer
      - .actual_access:  read_only
        .address_space:  global
        .offset:         40
        .size:           8
        .value_kind:     global_buffer
      - .offset:         48
        .size:           8
        .value_kind:     by_value
      - .address_space:  global
        .offset:         56
        .size:           8
        .value_kind:     global_buffer
      - .offset:         64
        .size:           4
        .value_kind:     by_value
      - .offset:         68
        .size:           1
        .value_kind:     by_value
    .group_segment_fixed_size: 0
    .kernarg_segment_align: 8
    .kernarg_segment_size: 72
    .language:       OpenCL C
    .language_version:
      - 2
      - 0
    .max_flat_workgroup_size: 128
    .name:           _ZN9rocsparseL19gebsrmvn_4xn_kernelILj128ELj5ELj16EfEEvi20rocsparse_direction_NS_24const_host_device_scalarIT2_EEPKiS6_PKS3_S8_S4_PS3_21rocsparse_index_base_b
    .private_segment_fixed_size: 0
    .sgpr_count:     22
    .sgpr_spill_count: 0
    .symbol:         _ZN9rocsparseL19gebsrmvn_4xn_kernelILj128ELj5ELj16EfEEvi20rocsparse_direction_NS_24const_host_device_scalarIT2_EEPKiS6_PKS3_S8_S4_PS3_21rocsparse_index_base_b.kd
    .uniform_work_group_size: 1
    .uses_dynamic_stack: false
    .vgpr_count:     41
    .vgpr_spill_count: 0
    .wavefront_size: 32
    .workgroup_processor_mode: 1
  - .args:
      - .offset:         0
        .size:           4
        .value_kind:     by_value
      - .offset:         4
        .size:           4
        .value_kind:     by_value
      - .offset:         8
        .size:           8
        .value_kind:     by_value
      - .actual_access:  read_only
        .address_space:  global
        .offset:         16
        .size:           8
        .value_kind:     global_buffer
      - .actual_access:  read_only
        .address_space:  global
        .offset:         24
        .size:           8
        .value_kind:     global_buffer
      - .actual_access:  read_only
        .address_space:  global
        .offset:         32
        .size:           8
        .value_kind:     global_buffer
      - .actual_access:  read_only
        .address_space:  global
        .offset:         40
        .size:           8
        .value_kind:     global_buffer
      - .offset:         48
        .size:           8
        .value_kind:     by_value
      - .address_space:  global
        .offset:         56
        .size:           8
        .value_kind:     global_buffer
      - .offset:         64
        .size:           4
        .value_kind:     by_value
      - .offset:         68
        .size:           1
        .value_kind:     by_value
    .group_segment_fixed_size: 0
    .kernarg_segment_align: 8
    .kernarg_segment_size: 72
    .language:       OpenCL C
    .language_version:
      - 2
      - 0
    .max_flat_workgroup_size: 128
    .name:           _ZN9rocsparseL19gebsrmvn_4xn_kernelILj128ELj5ELj32EfEEvi20rocsparse_direction_NS_24const_host_device_scalarIT2_EEPKiS6_PKS3_S8_S4_PS3_21rocsparse_index_base_b
    .private_segment_fixed_size: 0
    .sgpr_count:     22
    .sgpr_spill_count: 0
    .symbol:         _ZN9rocsparseL19gebsrmvn_4xn_kernelILj128ELj5ELj32EfEEvi20rocsparse_direction_NS_24const_host_device_scalarIT2_EEPKiS6_PKS3_S8_S4_PS3_21rocsparse_index_base_b.kd
    .uniform_work_group_size: 1
    .uses_dynamic_stack: false
    .vgpr_count:     41
    .vgpr_spill_count: 0
    .wavefront_size: 32
    .workgroup_processor_mode: 1
  - .args:
      - .offset:         0
        .size:           4
        .value_kind:     by_value
      - .offset:         4
        .size:           4
        .value_kind:     by_value
      - .offset:         8
        .size:           8
        .value_kind:     by_value
      - .actual_access:  read_only
        .address_space:  global
        .offset:         16
        .size:           8
        .value_kind:     global_buffer
      - .actual_access:  read_only
        .address_space:  global
        .offset:         24
        .size:           8
        .value_kind:     global_buffer
      - .actual_access:  read_only
        .address_space:  global
        .offset:         32
        .size:           8
        .value_kind:     global_buffer
      - .actual_access:  read_only
        .address_space:  global
        .offset:         40
        .size:           8
        .value_kind:     global_buffer
      - .offset:         48
        .size:           8
        .value_kind:     by_value
      - .address_space:  global
        .offset:         56
        .size:           8
        .value_kind:     global_buffer
      - .offset:         64
        .size:           4
        .value_kind:     by_value
      - .offset:         68
        .size:           1
        .value_kind:     by_value
    .group_segment_fixed_size: 0
    .kernarg_segment_align: 8
    .kernarg_segment_size: 72
    .language:       OpenCL C
    .language_version:
      - 2
      - 0
    .max_flat_workgroup_size: 128
    .name:           _ZN9rocsparseL19gebsrmvn_4xn_kernelILj128ELj5ELj64EfEEvi20rocsparse_direction_NS_24const_host_device_scalarIT2_EEPKiS6_PKS3_S8_S4_PS3_21rocsparse_index_base_b
    .private_segment_fixed_size: 0
    .sgpr_count:     22
    .sgpr_spill_count: 0
    .symbol:         _ZN9rocsparseL19gebsrmvn_4xn_kernelILj128ELj5ELj64EfEEvi20rocsparse_direction_NS_24const_host_device_scalarIT2_EEPKiS6_PKS3_S8_S4_PS3_21rocsparse_index_base_b.kd
    .uniform_work_group_size: 1
    .uses_dynamic_stack: false
    .vgpr_count:     41
    .vgpr_spill_count: 0
    .wavefront_size: 32
    .workgroup_processor_mode: 1
  - .args:
      - .offset:         0
        .size:           4
        .value_kind:     by_value
      - .offset:         4
        .size:           4
        .value_kind:     by_value
      - .offset:         8
        .size:           8
        .value_kind:     by_value
      - .actual_access:  read_only
        .address_space:  global
        .offset:         16
        .size:           8
        .value_kind:     global_buffer
      - .actual_access:  read_only
        .address_space:  global
        .offset:         24
        .size:           8
        .value_kind:     global_buffer
      - .actual_access:  read_only
        .address_space:  global
        .offset:         32
        .size:           8
        .value_kind:     global_buffer
      - .actual_access:  read_only
        .address_space:  global
        .offset:         40
        .size:           8
        .value_kind:     global_buffer
      - .offset:         48
        .size:           8
        .value_kind:     by_value
      - .address_space:  global
        .offset:         56
        .size:           8
        .value_kind:     global_buffer
      - .offset:         64
        .size:           4
        .value_kind:     by_value
      - .offset:         68
        .size:           1
        .value_kind:     by_value
    .group_segment_fixed_size: 0
    .kernarg_segment_align: 8
    .kernarg_segment_size: 72
    .language:       OpenCL C
    .language_version:
      - 2
      - 0
    .max_flat_workgroup_size: 128
    .name:           _ZN9rocsparseL19gebsrmvn_4xn_kernelILj128ELj6ELj4EfEEvi20rocsparse_direction_NS_24const_host_device_scalarIT2_EEPKiS6_PKS3_S8_S4_PS3_21rocsparse_index_base_b
    .private_segment_fixed_size: 0
    .sgpr_count:     22
    .sgpr_spill_count: 0
    .symbol:         _ZN9rocsparseL19gebsrmvn_4xn_kernelILj128ELj6ELj4EfEEvi20rocsparse_direction_NS_24const_host_device_scalarIT2_EEPKiS6_PKS3_S8_S4_PS3_21rocsparse_index_base_b.kd
    .uniform_work_group_size: 1
    .uses_dynamic_stack: false
    .vgpr_count:     45
    .vgpr_spill_count: 0
    .wavefront_size: 32
    .workgroup_processor_mode: 1
  - .args:
      - .offset:         0
        .size:           4
        .value_kind:     by_value
      - .offset:         4
        .size:           4
        .value_kind:     by_value
      - .offset:         8
        .size:           8
        .value_kind:     by_value
      - .actual_access:  read_only
        .address_space:  global
        .offset:         16
        .size:           8
        .value_kind:     global_buffer
      - .actual_access:  read_only
        .address_space:  global
        .offset:         24
        .size:           8
        .value_kind:     global_buffer
      - .actual_access:  read_only
        .address_space:  global
        .offset:         32
        .size:           8
        .value_kind:     global_buffer
      - .actual_access:  read_only
        .address_space:  global
        .offset:         40
        .size:           8
        .value_kind:     global_buffer
      - .offset:         48
        .size:           8
        .value_kind:     by_value
      - .address_space:  global
        .offset:         56
        .size:           8
        .value_kind:     global_buffer
      - .offset:         64
        .size:           4
        .value_kind:     by_value
      - .offset:         68
        .size:           1
        .value_kind:     by_value
    .group_segment_fixed_size: 0
    .kernarg_segment_align: 8
    .kernarg_segment_size: 72
    .language:       OpenCL C
    .language_version:
      - 2
      - 0
    .max_flat_workgroup_size: 128
    .name:           _ZN9rocsparseL19gebsrmvn_4xn_kernelILj128ELj6ELj8EfEEvi20rocsparse_direction_NS_24const_host_device_scalarIT2_EEPKiS6_PKS3_S8_S4_PS3_21rocsparse_index_base_b
    .private_segment_fixed_size: 0
    .sgpr_count:     22
    .sgpr_spill_count: 0
    .symbol:         _ZN9rocsparseL19gebsrmvn_4xn_kernelILj128ELj6ELj8EfEEvi20rocsparse_direction_NS_24const_host_device_scalarIT2_EEPKiS6_PKS3_S8_S4_PS3_21rocsparse_index_base_b.kd
    .uniform_work_group_size: 1
    .uses_dynamic_stack: false
    .vgpr_count:     45
    .vgpr_spill_count: 0
    .wavefront_size: 32
    .workgroup_processor_mode: 1
  - .args:
      - .offset:         0
        .size:           4
        .value_kind:     by_value
      - .offset:         4
        .size:           4
        .value_kind:     by_value
      - .offset:         8
        .size:           8
        .value_kind:     by_value
      - .actual_access:  read_only
        .address_space:  global
        .offset:         16
        .size:           8
        .value_kind:     global_buffer
      - .actual_access:  read_only
        .address_space:  global
        .offset:         24
        .size:           8
        .value_kind:     global_buffer
      - .actual_access:  read_only
        .address_space:  global
        .offset:         32
        .size:           8
        .value_kind:     global_buffer
      - .actual_access:  read_only
        .address_space:  global
        .offset:         40
        .size:           8
        .value_kind:     global_buffer
      - .offset:         48
        .size:           8
        .value_kind:     by_value
      - .address_space:  global
        .offset:         56
        .size:           8
        .value_kind:     global_buffer
      - .offset:         64
        .size:           4
        .value_kind:     by_value
      - .offset:         68
        .size:           1
        .value_kind:     by_value
    .group_segment_fixed_size: 0
    .kernarg_segment_align: 8
    .kernarg_segment_size: 72
    .language:       OpenCL C
    .language_version:
      - 2
      - 0
    .max_flat_workgroup_size: 128
    .name:           _ZN9rocsparseL19gebsrmvn_4xn_kernelILj128ELj6ELj16EfEEvi20rocsparse_direction_NS_24const_host_device_scalarIT2_EEPKiS6_PKS3_S8_S4_PS3_21rocsparse_index_base_b
    .private_segment_fixed_size: 0
    .sgpr_count:     22
    .sgpr_spill_count: 0
    .symbol:         _ZN9rocsparseL19gebsrmvn_4xn_kernelILj128ELj6ELj16EfEEvi20rocsparse_direction_NS_24const_host_device_scalarIT2_EEPKiS6_PKS3_S8_S4_PS3_21rocsparse_index_base_b.kd
    .uniform_work_group_size: 1
    .uses_dynamic_stack: false
    .vgpr_count:     45
    .vgpr_spill_count: 0
    .wavefront_size: 32
    .workgroup_processor_mode: 1
  - .args:
      - .offset:         0
        .size:           4
        .value_kind:     by_value
      - .offset:         4
        .size:           4
        .value_kind:     by_value
      - .offset:         8
        .size:           8
        .value_kind:     by_value
      - .actual_access:  read_only
        .address_space:  global
        .offset:         16
        .size:           8
        .value_kind:     global_buffer
      - .actual_access:  read_only
        .address_space:  global
        .offset:         24
        .size:           8
        .value_kind:     global_buffer
      - .actual_access:  read_only
        .address_space:  global
        .offset:         32
        .size:           8
        .value_kind:     global_buffer
      - .actual_access:  read_only
        .address_space:  global
        .offset:         40
        .size:           8
        .value_kind:     global_buffer
      - .offset:         48
        .size:           8
        .value_kind:     by_value
      - .address_space:  global
        .offset:         56
        .size:           8
        .value_kind:     global_buffer
      - .offset:         64
        .size:           4
        .value_kind:     by_value
      - .offset:         68
        .size:           1
        .value_kind:     by_value
    .group_segment_fixed_size: 0
    .kernarg_segment_align: 8
    .kernarg_segment_size: 72
    .language:       OpenCL C
    .language_version:
      - 2
      - 0
    .max_flat_workgroup_size: 128
    .name:           _ZN9rocsparseL19gebsrmvn_4xn_kernelILj128ELj6ELj32EfEEvi20rocsparse_direction_NS_24const_host_device_scalarIT2_EEPKiS6_PKS3_S8_S4_PS3_21rocsparse_index_base_b
    .private_segment_fixed_size: 0
    .sgpr_count:     22
    .sgpr_spill_count: 0
    .symbol:         _ZN9rocsparseL19gebsrmvn_4xn_kernelILj128ELj6ELj32EfEEvi20rocsparse_direction_NS_24const_host_device_scalarIT2_EEPKiS6_PKS3_S8_S4_PS3_21rocsparse_index_base_b.kd
    .uniform_work_group_size: 1
    .uses_dynamic_stack: false
    .vgpr_count:     45
    .vgpr_spill_count: 0
    .wavefront_size: 32
    .workgroup_processor_mode: 1
  - .args:
      - .offset:         0
        .size:           4
        .value_kind:     by_value
      - .offset:         4
        .size:           4
        .value_kind:     by_value
      - .offset:         8
        .size:           8
        .value_kind:     by_value
      - .actual_access:  read_only
        .address_space:  global
        .offset:         16
        .size:           8
        .value_kind:     global_buffer
      - .actual_access:  read_only
        .address_space:  global
        .offset:         24
        .size:           8
        .value_kind:     global_buffer
      - .actual_access:  read_only
        .address_space:  global
        .offset:         32
        .size:           8
        .value_kind:     global_buffer
      - .actual_access:  read_only
        .address_space:  global
        .offset:         40
        .size:           8
        .value_kind:     global_buffer
      - .offset:         48
        .size:           8
        .value_kind:     by_value
      - .address_space:  global
        .offset:         56
        .size:           8
        .value_kind:     global_buffer
      - .offset:         64
        .size:           4
        .value_kind:     by_value
      - .offset:         68
        .size:           1
        .value_kind:     by_value
    .group_segment_fixed_size: 0
    .kernarg_segment_align: 8
    .kernarg_segment_size: 72
    .language:       OpenCL C
    .language_version:
      - 2
      - 0
    .max_flat_workgroup_size: 128
    .name:           _ZN9rocsparseL19gebsrmvn_4xn_kernelILj128ELj6ELj64EfEEvi20rocsparse_direction_NS_24const_host_device_scalarIT2_EEPKiS6_PKS3_S8_S4_PS3_21rocsparse_index_base_b
    .private_segment_fixed_size: 0
    .sgpr_count:     22
    .sgpr_spill_count: 0
    .symbol:         _ZN9rocsparseL19gebsrmvn_4xn_kernelILj128ELj6ELj64EfEEvi20rocsparse_direction_NS_24const_host_device_scalarIT2_EEPKiS6_PKS3_S8_S4_PS3_21rocsparse_index_base_b.kd
    .uniform_work_group_size: 1
    .uses_dynamic_stack: false
    .vgpr_count:     45
    .vgpr_spill_count: 0
    .wavefront_size: 32
    .workgroup_processor_mode: 1
  - .args:
      - .offset:         0
        .size:           4
        .value_kind:     by_value
      - .offset:         4
        .size:           4
        .value_kind:     by_value
      - .offset:         8
        .size:           8
        .value_kind:     by_value
      - .actual_access:  read_only
        .address_space:  global
        .offset:         16
        .size:           8
        .value_kind:     global_buffer
      - .actual_access:  read_only
        .address_space:  global
        .offset:         24
        .size:           8
        .value_kind:     global_buffer
      - .actual_access:  read_only
        .address_space:  global
        .offset:         32
        .size:           8
        .value_kind:     global_buffer
      - .actual_access:  read_only
        .address_space:  global
        .offset:         40
        .size:           8
        .value_kind:     global_buffer
      - .offset:         48
        .size:           8
        .value_kind:     by_value
      - .address_space:  global
        .offset:         56
        .size:           8
        .value_kind:     global_buffer
      - .offset:         64
        .size:           4
        .value_kind:     by_value
      - .offset:         68
        .size:           1
        .value_kind:     by_value
    .group_segment_fixed_size: 0
    .kernarg_segment_align: 8
    .kernarg_segment_size: 72
    .language:       OpenCL C
    .language_version:
      - 2
      - 0
    .max_flat_workgroup_size: 128
    .name:           _ZN9rocsparseL19gebsrmvn_4xn_kernelILj128ELj7ELj4EfEEvi20rocsparse_direction_NS_24const_host_device_scalarIT2_EEPKiS6_PKS3_S8_S4_PS3_21rocsparse_index_base_b
    .private_segment_fixed_size: 0
    .sgpr_count:     22
    .sgpr_spill_count: 0
    .symbol:         _ZN9rocsparseL19gebsrmvn_4xn_kernelILj128ELj7ELj4EfEEvi20rocsparse_direction_NS_24const_host_device_scalarIT2_EEPKiS6_PKS3_S8_S4_PS3_21rocsparse_index_base_b.kd
    .uniform_work_group_size: 1
    .uses_dynamic_stack: false
    .vgpr_count:     51
    .vgpr_spill_count: 0
    .wavefront_size: 32
    .workgroup_processor_mode: 1
  - .args:
      - .offset:         0
        .size:           4
        .value_kind:     by_value
      - .offset:         4
        .size:           4
        .value_kind:     by_value
      - .offset:         8
        .size:           8
        .value_kind:     by_value
      - .actual_access:  read_only
        .address_space:  global
        .offset:         16
        .size:           8
        .value_kind:     global_buffer
      - .actual_access:  read_only
        .address_space:  global
        .offset:         24
        .size:           8
        .value_kind:     global_buffer
      - .actual_access:  read_only
        .address_space:  global
        .offset:         32
        .size:           8
        .value_kind:     global_buffer
      - .actual_access:  read_only
        .address_space:  global
        .offset:         40
        .size:           8
        .value_kind:     global_buffer
      - .offset:         48
        .size:           8
        .value_kind:     by_value
      - .address_space:  global
        .offset:         56
        .size:           8
        .value_kind:     global_buffer
      - .offset:         64
        .size:           4
        .value_kind:     by_value
      - .offset:         68
        .size:           1
        .value_kind:     by_value
    .group_segment_fixed_size: 0
    .kernarg_segment_align: 8
    .kernarg_segment_size: 72
    .language:       OpenCL C
    .language_version:
      - 2
      - 0
    .max_flat_workgroup_size: 128
    .name:           _ZN9rocsparseL19gebsrmvn_4xn_kernelILj128ELj7ELj8EfEEvi20rocsparse_direction_NS_24const_host_device_scalarIT2_EEPKiS6_PKS3_S8_S4_PS3_21rocsparse_index_base_b
    .private_segment_fixed_size: 0
    .sgpr_count:     22
    .sgpr_spill_count: 0
    .symbol:         _ZN9rocsparseL19gebsrmvn_4xn_kernelILj128ELj7ELj8EfEEvi20rocsparse_direction_NS_24const_host_device_scalarIT2_EEPKiS6_PKS3_S8_S4_PS3_21rocsparse_index_base_b.kd
    .uniform_work_group_size: 1
    .uses_dynamic_stack: false
    .vgpr_count:     51
    .vgpr_spill_count: 0
    .wavefront_size: 32
    .workgroup_processor_mode: 1
  - .args:
      - .offset:         0
        .size:           4
        .value_kind:     by_value
      - .offset:         4
        .size:           4
        .value_kind:     by_value
      - .offset:         8
        .size:           8
        .value_kind:     by_value
      - .actual_access:  read_only
        .address_space:  global
        .offset:         16
        .size:           8
        .value_kind:     global_buffer
      - .actual_access:  read_only
        .address_space:  global
        .offset:         24
        .size:           8
        .value_kind:     global_buffer
      - .actual_access:  read_only
        .address_space:  global
        .offset:         32
        .size:           8
        .value_kind:     global_buffer
      - .actual_access:  read_only
        .address_space:  global
        .offset:         40
        .size:           8
        .value_kind:     global_buffer
      - .offset:         48
        .size:           8
        .value_kind:     by_value
      - .address_space:  global
        .offset:         56
        .size:           8
        .value_kind:     global_buffer
      - .offset:         64
        .size:           4
        .value_kind:     by_value
      - .offset:         68
        .size:           1
        .value_kind:     by_value
    .group_segment_fixed_size: 0
    .kernarg_segment_align: 8
    .kernarg_segment_size: 72
    .language:       OpenCL C
    .language_version:
      - 2
      - 0
    .max_flat_workgroup_size: 128
    .name:           _ZN9rocsparseL19gebsrmvn_4xn_kernelILj128ELj7ELj16EfEEvi20rocsparse_direction_NS_24const_host_device_scalarIT2_EEPKiS6_PKS3_S8_S4_PS3_21rocsparse_index_base_b
    .private_segment_fixed_size: 0
    .sgpr_count:     22
    .sgpr_spill_count: 0
    .symbol:         _ZN9rocsparseL19gebsrmvn_4xn_kernelILj128ELj7ELj16EfEEvi20rocsparse_direction_NS_24const_host_device_scalarIT2_EEPKiS6_PKS3_S8_S4_PS3_21rocsparse_index_base_b.kd
    .uniform_work_group_size: 1
    .uses_dynamic_stack: false
    .vgpr_count:     51
    .vgpr_spill_count: 0
    .wavefront_size: 32
    .workgroup_processor_mode: 1
  - .args:
      - .offset:         0
        .size:           4
        .value_kind:     by_value
      - .offset:         4
        .size:           4
        .value_kind:     by_value
      - .offset:         8
        .size:           8
        .value_kind:     by_value
      - .actual_access:  read_only
        .address_space:  global
        .offset:         16
        .size:           8
        .value_kind:     global_buffer
      - .actual_access:  read_only
        .address_space:  global
        .offset:         24
        .size:           8
        .value_kind:     global_buffer
      - .actual_access:  read_only
        .address_space:  global
        .offset:         32
        .size:           8
        .value_kind:     global_buffer
      - .actual_access:  read_only
        .address_space:  global
        .offset:         40
        .size:           8
        .value_kind:     global_buffer
      - .offset:         48
        .size:           8
        .value_kind:     by_value
      - .address_space:  global
        .offset:         56
        .size:           8
        .value_kind:     global_buffer
      - .offset:         64
        .size:           4
        .value_kind:     by_value
      - .offset:         68
        .size:           1
        .value_kind:     by_value
    .group_segment_fixed_size: 0
    .kernarg_segment_align: 8
    .kernarg_segment_size: 72
    .language:       OpenCL C
    .language_version:
      - 2
      - 0
    .max_flat_workgroup_size: 128
    .name:           _ZN9rocsparseL19gebsrmvn_4xn_kernelILj128ELj7ELj32EfEEvi20rocsparse_direction_NS_24const_host_device_scalarIT2_EEPKiS6_PKS3_S8_S4_PS3_21rocsparse_index_base_b
    .private_segment_fixed_size: 0
    .sgpr_count:     22
    .sgpr_spill_count: 0
    .symbol:         _ZN9rocsparseL19gebsrmvn_4xn_kernelILj128ELj7ELj32EfEEvi20rocsparse_direction_NS_24const_host_device_scalarIT2_EEPKiS6_PKS3_S8_S4_PS3_21rocsparse_index_base_b.kd
    .uniform_work_group_size: 1
    .uses_dynamic_stack: false
    .vgpr_count:     51
    .vgpr_spill_count: 0
    .wavefront_size: 32
    .workgroup_processor_mode: 1
  - .args:
      - .offset:         0
        .size:           4
        .value_kind:     by_value
      - .offset:         4
        .size:           4
        .value_kind:     by_value
      - .offset:         8
        .size:           8
        .value_kind:     by_value
      - .actual_access:  read_only
        .address_space:  global
        .offset:         16
        .size:           8
        .value_kind:     global_buffer
      - .actual_access:  read_only
        .address_space:  global
        .offset:         24
        .size:           8
        .value_kind:     global_buffer
      - .actual_access:  read_only
        .address_space:  global
        .offset:         32
        .size:           8
        .value_kind:     global_buffer
      - .actual_access:  read_only
        .address_space:  global
        .offset:         40
        .size:           8
        .value_kind:     global_buffer
      - .offset:         48
        .size:           8
        .value_kind:     by_value
      - .address_space:  global
        .offset:         56
        .size:           8
        .value_kind:     global_buffer
      - .offset:         64
        .size:           4
        .value_kind:     by_value
      - .offset:         68
        .size:           1
        .value_kind:     by_value
    .group_segment_fixed_size: 0
    .kernarg_segment_align: 8
    .kernarg_segment_size: 72
    .language:       OpenCL C
    .language_version:
      - 2
      - 0
    .max_flat_workgroup_size: 128
    .name:           _ZN9rocsparseL19gebsrmvn_4xn_kernelILj128ELj7ELj64EfEEvi20rocsparse_direction_NS_24const_host_device_scalarIT2_EEPKiS6_PKS3_S8_S4_PS3_21rocsparse_index_base_b
    .private_segment_fixed_size: 0
    .sgpr_count:     22
    .sgpr_spill_count: 0
    .symbol:         _ZN9rocsparseL19gebsrmvn_4xn_kernelILj128ELj7ELj64EfEEvi20rocsparse_direction_NS_24const_host_device_scalarIT2_EEPKiS6_PKS3_S8_S4_PS3_21rocsparse_index_base_b.kd
    .uniform_work_group_size: 1
    .uses_dynamic_stack: false
    .vgpr_count:     51
    .vgpr_spill_count: 0
    .wavefront_size: 32
    .workgroup_processor_mode: 1
  - .args:
      - .offset:         0
        .size:           4
        .value_kind:     by_value
      - .offset:         4
        .size:           4
        .value_kind:     by_value
      - .offset:         8
        .size:           8
        .value_kind:     by_value
      - .actual_access:  read_only
        .address_space:  global
        .offset:         16
        .size:           8
        .value_kind:     global_buffer
      - .actual_access:  read_only
        .address_space:  global
        .offset:         24
        .size:           8
        .value_kind:     global_buffer
      - .actual_access:  read_only
        .address_space:  global
        .offset:         32
        .size:           8
        .value_kind:     global_buffer
      - .actual_access:  read_only
        .address_space:  global
        .offset:         40
        .size:           8
        .value_kind:     global_buffer
      - .offset:         48
        .size:           8
        .value_kind:     by_value
      - .address_space:  global
        .offset:         56
        .size:           8
        .value_kind:     global_buffer
      - .offset:         64
        .size:           4
        .value_kind:     by_value
      - .offset:         68
        .size:           1
        .value_kind:     by_value
    .group_segment_fixed_size: 0
    .kernarg_segment_align: 8
    .kernarg_segment_size: 72
    .language:       OpenCL C
    .language_version:
      - 2
      - 0
    .max_flat_workgroup_size: 128
    .name:           _ZN9rocsparseL19gebsrmvn_4xn_kernelILj128ELj8ELj4EfEEvi20rocsparse_direction_NS_24const_host_device_scalarIT2_EEPKiS6_PKS3_S8_S4_PS3_21rocsparse_index_base_b
    .private_segment_fixed_size: 0
    .sgpr_count:     22
    .sgpr_spill_count: 0
    .symbol:         _ZN9rocsparseL19gebsrmvn_4xn_kernelILj128ELj8ELj4EfEEvi20rocsparse_direction_NS_24const_host_device_scalarIT2_EEPKiS6_PKS3_S8_S4_PS3_21rocsparse_index_base_b.kd
    .uniform_work_group_size: 1
    .uses_dynamic_stack: false
    .vgpr_count:     53
    .vgpr_spill_count: 0
    .wavefront_size: 32
    .workgroup_processor_mode: 1
  - .args:
      - .offset:         0
        .size:           4
        .value_kind:     by_value
      - .offset:         4
        .size:           4
        .value_kind:     by_value
      - .offset:         8
        .size:           8
        .value_kind:     by_value
      - .actual_access:  read_only
        .address_space:  global
        .offset:         16
        .size:           8
        .value_kind:     global_buffer
      - .actual_access:  read_only
        .address_space:  global
        .offset:         24
        .size:           8
        .value_kind:     global_buffer
      - .actual_access:  read_only
        .address_space:  global
        .offset:         32
        .size:           8
        .value_kind:     global_buffer
      - .actual_access:  read_only
        .address_space:  global
        .offset:         40
        .size:           8
        .value_kind:     global_buffer
      - .offset:         48
        .size:           8
        .value_kind:     by_value
      - .address_space:  global
        .offset:         56
        .size:           8
        .value_kind:     global_buffer
      - .offset:         64
        .size:           4
        .value_kind:     by_value
      - .offset:         68
        .size:           1
        .value_kind:     by_value
    .group_segment_fixed_size: 0
    .kernarg_segment_align: 8
    .kernarg_segment_size: 72
    .language:       OpenCL C
    .language_version:
      - 2
      - 0
    .max_flat_workgroup_size: 128
    .name:           _ZN9rocsparseL19gebsrmvn_4xn_kernelILj128ELj8ELj8EfEEvi20rocsparse_direction_NS_24const_host_device_scalarIT2_EEPKiS6_PKS3_S8_S4_PS3_21rocsparse_index_base_b
    .private_segment_fixed_size: 0
    .sgpr_count:     22
    .sgpr_spill_count: 0
    .symbol:         _ZN9rocsparseL19gebsrmvn_4xn_kernelILj128ELj8ELj8EfEEvi20rocsparse_direction_NS_24const_host_device_scalarIT2_EEPKiS6_PKS3_S8_S4_PS3_21rocsparse_index_base_b.kd
    .uniform_work_group_size: 1
    .uses_dynamic_stack: false
    .vgpr_count:     53
    .vgpr_spill_count: 0
    .wavefront_size: 32
    .workgroup_processor_mode: 1
  - .args:
      - .offset:         0
        .size:           4
        .value_kind:     by_value
      - .offset:         4
        .size:           4
        .value_kind:     by_value
      - .offset:         8
        .size:           8
        .value_kind:     by_value
      - .actual_access:  read_only
        .address_space:  global
        .offset:         16
        .size:           8
        .value_kind:     global_buffer
      - .actual_access:  read_only
        .address_space:  global
        .offset:         24
        .size:           8
        .value_kind:     global_buffer
      - .actual_access:  read_only
        .address_space:  global
        .offset:         32
        .size:           8
        .value_kind:     global_buffer
      - .actual_access:  read_only
        .address_space:  global
        .offset:         40
        .size:           8
        .value_kind:     global_buffer
      - .offset:         48
        .size:           8
        .value_kind:     by_value
      - .address_space:  global
        .offset:         56
        .size:           8
        .value_kind:     global_buffer
      - .offset:         64
        .size:           4
        .value_kind:     by_value
      - .offset:         68
        .size:           1
        .value_kind:     by_value
    .group_segment_fixed_size: 0
    .kernarg_segment_align: 8
    .kernarg_segment_size: 72
    .language:       OpenCL C
    .language_version:
      - 2
      - 0
    .max_flat_workgroup_size: 128
    .name:           _ZN9rocsparseL19gebsrmvn_4xn_kernelILj128ELj8ELj16EfEEvi20rocsparse_direction_NS_24const_host_device_scalarIT2_EEPKiS6_PKS3_S8_S4_PS3_21rocsparse_index_base_b
    .private_segment_fixed_size: 0
    .sgpr_count:     22
    .sgpr_spill_count: 0
    .symbol:         _ZN9rocsparseL19gebsrmvn_4xn_kernelILj128ELj8ELj16EfEEvi20rocsparse_direction_NS_24const_host_device_scalarIT2_EEPKiS6_PKS3_S8_S4_PS3_21rocsparse_index_base_b.kd
    .uniform_work_group_size: 1
    .uses_dynamic_stack: false
    .vgpr_count:     53
    .vgpr_spill_count: 0
    .wavefront_size: 32
    .workgroup_processor_mode: 1
  - .args:
      - .offset:         0
        .size:           4
        .value_kind:     by_value
      - .offset:         4
        .size:           4
        .value_kind:     by_value
      - .offset:         8
        .size:           8
        .value_kind:     by_value
      - .actual_access:  read_only
        .address_space:  global
        .offset:         16
        .size:           8
        .value_kind:     global_buffer
      - .actual_access:  read_only
        .address_space:  global
        .offset:         24
        .size:           8
        .value_kind:     global_buffer
      - .actual_access:  read_only
        .address_space:  global
        .offset:         32
        .size:           8
        .value_kind:     global_buffer
      - .actual_access:  read_only
        .address_space:  global
        .offset:         40
        .size:           8
        .value_kind:     global_buffer
      - .offset:         48
        .size:           8
        .value_kind:     by_value
      - .address_space:  global
        .offset:         56
        .size:           8
        .value_kind:     global_buffer
      - .offset:         64
        .size:           4
        .value_kind:     by_value
      - .offset:         68
        .size:           1
        .value_kind:     by_value
    .group_segment_fixed_size: 0
    .kernarg_segment_align: 8
    .kernarg_segment_size: 72
    .language:       OpenCL C
    .language_version:
      - 2
      - 0
    .max_flat_workgroup_size: 128
    .name:           _ZN9rocsparseL19gebsrmvn_4xn_kernelILj128ELj8ELj32EfEEvi20rocsparse_direction_NS_24const_host_device_scalarIT2_EEPKiS6_PKS3_S8_S4_PS3_21rocsparse_index_base_b
    .private_segment_fixed_size: 0
    .sgpr_count:     22
    .sgpr_spill_count: 0
    .symbol:         _ZN9rocsparseL19gebsrmvn_4xn_kernelILj128ELj8ELj32EfEEvi20rocsparse_direction_NS_24const_host_device_scalarIT2_EEPKiS6_PKS3_S8_S4_PS3_21rocsparse_index_base_b.kd
    .uniform_work_group_size: 1
    .uses_dynamic_stack: false
    .vgpr_count:     53
    .vgpr_spill_count: 0
    .wavefront_size: 32
    .workgroup_processor_mode: 1
  - .args:
      - .offset:         0
        .size:           4
        .value_kind:     by_value
      - .offset:         4
        .size:           4
        .value_kind:     by_value
      - .offset:         8
        .size:           8
        .value_kind:     by_value
      - .actual_access:  read_only
        .address_space:  global
        .offset:         16
        .size:           8
        .value_kind:     global_buffer
      - .actual_access:  read_only
        .address_space:  global
        .offset:         24
        .size:           8
        .value_kind:     global_buffer
      - .actual_access:  read_only
        .address_space:  global
        .offset:         32
        .size:           8
        .value_kind:     global_buffer
      - .actual_access:  read_only
        .address_space:  global
        .offset:         40
        .size:           8
        .value_kind:     global_buffer
      - .offset:         48
        .size:           8
        .value_kind:     by_value
      - .address_space:  global
        .offset:         56
        .size:           8
        .value_kind:     global_buffer
      - .offset:         64
        .size:           4
        .value_kind:     by_value
      - .offset:         68
        .size:           1
        .value_kind:     by_value
    .group_segment_fixed_size: 0
    .kernarg_segment_align: 8
    .kernarg_segment_size: 72
    .language:       OpenCL C
    .language_version:
      - 2
      - 0
    .max_flat_workgroup_size: 128
    .name:           _ZN9rocsparseL19gebsrmvn_4xn_kernelILj128ELj8ELj64EfEEvi20rocsparse_direction_NS_24const_host_device_scalarIT2_EEPKiS6_PKS3_S8_S4_PS3_21rocsparse_index_base_b
    .private_segment_fixed_size: 0
    .sgpr_count:     22
    .sgpr_spill_count: 0
    .symbol:         _ZN9rocsparseL19gebsrmvn_4xn_kernelILj128ELj8ELj64EfEEvi20rocsparse_direction_NS_24const_host_device_scalarIT2_EEPKiS6_PKS3_S8_S4_PS3_21rocsparse_index_base_b.kd
    .uniform_work_group_size: 1
    .uses_dynamic_stack: false
    .vgpr_count:     53
    .vgpr_spill_count: 0
    .wavefront_size: 32
    .workgroup_processor_mode: 1
  - .args:
      - .offset:         0
        .size:           4
        .value_kind:     by_value
      - .offset:         4
        .size:           4
        .value_kind:     by_value
      - .offset:         8
        .size:           8
        .value_kind:     by_value
      - .actual_access:  read_only
        .address_space:  global
        .offset:         16
        .size:           8
        .value_kind:     global_buffer
      - .actual_access:  read_only
        .address_space:  global
        .offset:         24
        .size:           8
        .value_kind:     global_buffer
      - .actual_access:  read_only
        .address_space:  global
        .offset:         32
        .size:           8
        .value_kind:     global_buffer
      - .offset:         40
        .size:           4
        .value_kind:     by_value
      - .offset:         44
        .size:           4
        .value_kind:     by_value
      - .actual_access:  read_only
        .address_space:  global
        .offset:         48
        .size:           8
        .value_kind:     global_buffer
      - .offset:         56
        .size:           8
        .value_kind:     by_value
      - .address_space:  global
        .offset:         64
        .size:           8
        .value_kind:     global_buffer
      - .offset:         72
        .size:           4
        .value_kind:     by_value
      - .offset:         76
        .size:           1
        .value_kind:     by_value
    .group_segment_fixed_size: 0
    .kernarg_segment_align: 8
    .kernarg_segment_size: 80
    .language:       OpenCL C
    .language_version:
      - 2
      - 0
    .max_flat_workgroup_size: 64
    .name:           _ZN9rocsparseL23gebsrmvn_general_kernelILj64ELj16EfEEvi20rocsparse_direction_NS_24const_host_device_scalarIT1_EEPKiS6_PKS3_iiS8_S4_PS3_21rocsparse_index_base_b
    .private_segment_fixed_size: 0
    .sgpr_count:     32
    .sgpr_spill_count: 0
    .symbol:         _ZN9rocsparseL23gebsrmvn_general_kernelILj64ELj16EfEEvi20rocsparse_direction_NS_24const_host_device_scalarIT1_EEPKiS6_PKS3_iiS8_S4_PS3_21rocsparse_index_base_b.kd
    .uniform_work_group_size: 1
    .uses_dynamic_stack: false
    .vgpr_count:     14
    .vgpr_spill_count: 0
    .wavefront_size: 32
    .workgroup_processor_mode: 1
  - .args:
      - .offset:         0
        .size:           4
        .value_kind:     by_value
      - .offset:         4
        .size:           4
        .value_kind:     by_value
      - .offset:         8
        .size:           8
        .value_kind:     by_value
      - .actual_access:  read_only
        .address_space:  global
        .offset:         16
        .size:           8
        .value_kind:     global_buffer
      - .actual_access:  read_only
        .address_space:  global
        .offset:         24
        .size:           8
        .value_kind:     global_buffer
      - .actual_access:  read_only
        .address_space:  global
        .offset:         32
        .size:           8
        .value_kind:     global_buffer
      - .offset:         40
        .size:           4
        .value_kind:     by_value
      - .offset:         44
        .size:           4
        .value_kind:     by_value
      - .actual_access:  read_only
        .address_space:  global
        .offset:         48
        .size:           8
        .value_kind:     global_buffer
      - .offset:         56
        .size:           8
        .value_kind:     by_value
      - .address_space:  global
        .offset:         64
        .size:           8
        .value_kind:     global_buffer
      - .offset:         72
        .size:           4
        .value_kind:     by_value
      - .offset:         76
        .size:           1
        .value_kind:     by_value
    .group_segment_fixed_size: 0
    .kernarg_segment_align: 8
    .kernarg_segment_size: 80
    .language:       OpenCL C
    .language_version:
      - 2
      - 0
    .max_flat_workgroup_size: 128
    .name:           _ZN9rocsparseL23gebsrmvn_general_kernelILj128ELj32EfEEvi20rocsparse_direction_NS_24const_host_device_scalarIT1_EEPKiS6_PKS3_iiS8_S4_PS3_21rocsparse_index_base_b
    .private_segment_fixed_size: 0
    .sgpr_count:     32
    .sgpr_spill_count: 0
    .symbol:         _ZN9rocsparseL23gebsrmvn_general_kernelILj128ELj32EfEEvi20rocsparse_direction_NS_24const_host_device_scalarIT1_EEPKiS6_PKS3_iiS8_S4_PS3_21rocsparse_index_base_b.kd
    .uniform_work_group_size: 1
    .uses_dynamic_stack: false
    .vgpr_count:     15
    .vgpr_spill_count: 0
    .wavefront_size: 32
    .workgroup_processor_mode: 1
  - .args:
      - .offset:         0
        .size:           4
        .value_kind:     by_value
      - .offset:         4
        .size:           4
        .value_kind:     by_value
      - .offset:         8
        .size:           8
        .value_kind:     by_value
      - .actual_access:  read_only
        .address_space:  global
        .offset:         16
        .size:           8
        .value_kind:     global_buffer
      - .actual_access:  read_only
        .address_space:  global
        .offset:         24
        .size:           8
        .value_kind:     global_buffer
      - .actual_access:  read_only
        .address_space:  global
        .offset:         32
        .size:           8
        .value_kind:     global_buffer
      - .actual_access:  read_only
        .address_space:  global
        .offset:         40
        .size:           8
        .value_kind:     global_buffer
      - .offset:         48
        .size:           8
        .value_kind:     by_value
      - .address_space:  global
        .offset:         56
        .size:           8
        .value_kind:     global_buffer
      - .offset:         64
        .size:           4
        .value_kind:     by_value
      - .offset:         68
        .size:           1
        .value_kind:     by_value
    .group_segment_fixed_size: 0
    .kernarg_segment_align: 8
    .kernarg_segment_size: 72
    .language:       OpenCL C
    .language_version:
      - 2
      - 0
    .max_flat_workgroup_size: 128
    .name:           _ZN9rocsparseL19gebsrmvn_4xn_kernelILj128ELj1ELj4EdEEvi20rocsparse_direction_NS_24const_host_device_scalarIT2_EEPKiS6_PKS3_S8_S4_PS3_21rocsparse_index_base_b
    .private_segment_fixed_size: 0
    .sgpr_count:     18
    .sgpr_spill_count: 0
    .symbol:         _ZN9rocsparseL19gebsrmvn_4xn_kernelILj128ELj1ELj4EdEEvi20rocsparse_direction_NS_24const_host_device_scalarIT2_EEPKiS6_PKS3_S8_S4_PS3_21rocsparse_index_base_b.kd
    .uniform_work_group_size: 1
    .uses_dynamic_stack: false
    .vgpr_count:     30
    .vgpr_spill_count: 0
    .wavefront_size: 32
    .workgroup_processor_mode: 1
  - .args:
      - .offset:         0
        .size:           4
        .value_kind:     by_value
      - .offset:         4
        .size:           4
        .value_kind:     by_value
      - .offset:         8
        .size:           8
        .value_kind:     by_value
      - .actual_access:  read_only
        .address_space:  global
        .offset:         16
        .size:           8
        .value_kind:     global_buffer
      - .actual_access:  read_only
        .address_space:  global
        .offset:         24
        .size:           8
        .value_kind:     global_buffer
      - .actual_access:  read_only
        .address_space:  global
        .offset:         32
        .size:           8
        .value_kind:     global_buffer
      - .actual_access:  read_only
        .address_space:  global
        .offset:         40
        .size:           8
        .value_kind:     global_buffer
      - .offset:         48
        .size:           8
        .value_kind:     by_value
      - .address_space:  global
        .offset:         56
        .size:           8
        .value_kind:     global_buffer
      - .offset:         64
        .size:           4
        .value_kind:     by_value
      - .offset:         68
        .size:           1
        .value_kind:     by_value
    .group_segment_fixed_size: 0
    .kernarg_segment_align: 8
    .kernarg_segment_size: 72
    .language:       OpenCL C
    .language_version:
      - 2
      - 0
    .max_flat_workgroup_size: 128
    .name:           _ZN9rocsparseL19gebsrmvn_4xn_kernelILj128ELj1ELj8EdEEvi20rocsparse_direction_NS_24const_host_device_scalarIT2_EEPKiS6_PKS3_S8_S4_PS3_21rocsparse_index_base_b
    .private_segment_fixed_size: 0
    .sgpr_count:     18
    .sgpr_spill_count: 0
    .symbol:         _ZN9rocsparseL19gebsrmvn_4xn_kernelILj128ELj1ELj8EdEEvi20rocsparse_direction_NS_24const_host_device_scalarIT2_EEPKiS6_PKS3_S8_S4_PS3_21rocsparse_index_base_b.kd
    .uniform_work_group_size: 1
    .uses_dynamic_stack: false
    .vgpr_count:     30
    .vgpr_spill_count: 0
    .wavefront_size: 32
    .workgroup_processor_mode: 1
  - .args:
      - .offset:         0
        .size:           4
        .value_kind:     by_value
      - .offset:         4
        .size:           4
        .value_kind:     by_value
      - .offset:         8
        .size:           8
        .value_kind:     by_value
      - .actual_access:  read_only
        .address_space:  global
        .offset:         16
        .size:           8
        .value_kind:     global_buffer
      - .actual_access:  read_only
        .address_space:  global
        .offset:         24
        .size:           8
        .value_kind:     global_buffer
      - .actual_access:  read_only
        .address_space:  global
        .offset:         32
        .size:           8
        .value_kind:     global_buffer
      - .actual_access:  read_only
        .address_space:  global
        .offset:         40
        .size:           8
        .value_kind:     global_buffer
      - .offset:         48
        .size:           8
        .value_kind:     by_value
      - .address_space:  global
        .offset:         56
        .size:           8
        .value_kind:     global_buffer
      - .offset:         64
        .size:           4
        .value_kind:     by_value
      - .offset:         68
        .size:           1
        .value_kind:     by_value
    .group_segment_fixed_size: 0
    .kernarg_segment_align: 8
    .kernarg_segment_size: 72
    .language:       OpenCL C
    .language_version:
      - 2
      - 0
    .max_flat_workgroup_size: 128
    .name:           _ZN9rocsparseL19gebsrmvn_4xn_kernelILj128ELj1ELj16EdEEvi20rocsparse_direction_NS_24const_host_device_scalarIT2_EEPKiS6_PKS3_S8_S4_PS3_21rocsparse_index_base_b
    .private_segment_fixed_size: 0
    .sgpr_count:     18
    .sgpr_spill_count: 0
    .symbol:         _ZN9rocsparseL19gebsrmvn_4xn_kernelILj128ELj1ELj16EdEEvi20rocsparse_direction_NS_24const_host_device_scalarIT2_EEPKiS6_PKS3_S8_S4_PS3_21rocsparse_index_base_b.kd
    .uniform_work_group_size: 1
    .uses_dynamic_stack: false
    .vgpr_count:     30
    .vgpr_spill_count: 0
    .wavefront_size: 32
    .workgroup_processor_mode: 1
  - .args:
      - .offset:         0
        .size:           4
        .value_kind:     by_value
      - .offset:         4
        .size:           4
        .value_kind:     by_value
      - .offset:         8
        .size:           8
        .value_kind:     by_value
      - .actual_access:  read_only
        .address_space:  global
        .offset:         16
        .size:           8
        .value_kind:     global_buffer
      - .actual_access:  read_only
        .address_space:  global
        .offset:         24
        .size:           8
        .value_kind:     global_buffer
      - .actual_access:  read_only
        .address_space:  global
        .offset:         32
        .size:           8
        .value_kind:     global_buffer
      - .actual_access:  read_only
        .address_space:  global
        .offset:         40
        .size:           8
        .value_kind:     global_buffer
      - .offset:         48
        .size:           8
        .value_kind:     by_value
      - .address_space:  global
        .offset:         56
        .size:           8
        .value_kind:     global_buffer
      - .offset:         64
        .size:           4
        .value_kind:     by_value
      - .offset:         68
        .size:           1
        .value_kind:     by_value
    .group_segment_fixed_size: 0
    .kernarg_segment_align: 8
    .kernarg_segment_size: 72
    .language:       OpenCL C
    .language_version:
      - 2
      - 0
    .max_flat_workgroup_size: 128
    .name:           _ZN9rocsparseL19gebsrmvn_4xn_kernelILj128ELj1ELj32EdEEvi20rocsparse_direction_NS_24const_host_device_scalarIT2_EEPKiS6_PKS3_S8_S4_PS3_21rocsparse_index_base_b
    .private_segment_fixed_size: 0
    .sgpr_count:     18
    .sgpr_spill_count: 0
    .symbol:         _ZN9rocsparseL19gebsrmvn_4xn_kernelILj128ELj1ELj32EdEEvi20rocsparse_direction_NS_24const_host_device_scalarIT2_EEPKiS6_PKS3_S8_S4_PS3_21rocsparse_index_base_b.kd
    .uniform_work_group_size: 1
    .uses_dynamic_stack: false
    .vgpr_count:     30
    .vgpr_spill_count: 0
    .wavefront_size: 32
    .workgroup_processor_mode: 1
  - .args:
      - .offset:         0
        .size:           4
        .value_kind:     by_value
      - .offset:         4
        .size:           4
        .value_kind:     by_value
      - .offset:         8
        .size:           8
        .value_kind:     by_value
      - .actual_access:  read_only
        .address_space:  global
        .offset:         16
        .size:           8
        .value_kind:     global_buffer
      - .actual_access:  read_only
        .address_space:  global
        .offset:         24
        .size:           8
        .value_kind:     global_buffer
      - .actual_access:  read_only
        .address_space:  global
        .offset:         32
        .size:           8
        .value_kind:     global_buffer
      - .actual_access:  read_only
        .address_space:  global
        .offset:         40
        .size:           8
        .value_kind:     global_buffer
      - .offset:         48
        .size:           8
        .value_kind:     by_value
      - .address_space:  global
        .offset:         56
        .size:           8
        .value_kind:     global_buffer
      - .offset:         64
        .size:           4
        .value_kind:     by_value
      - .offset:         68
        .size:           1
        .value_kind:     by_value
    .group_segment_fixed_size: 0
    .kernarg_segment_align: 8
    .kernarg_segment_size: 72
    .language:       OpenCL C
    .language_version:
      - 2
      - 0
    .max_flat_workgroup_size: 128
    .name:           _ZN9rocsparseL19gebsrmvn_4xn_kernelILj128ELj1ELj64EdEEvi20rocsparse_direction_NS_24const_host_device_scalarIT2_EEPKiS6_PKS3_S8_S4_PS3_21rocsparse_index_base_b
    .private_segment_fixed_size: 0
    .sgpr_count:     18
    .sgpr_spill_count: 0
    .symbol:         _ZN9rocsparseL19gebsrmvn_4xn_kernelILj128ELj1ELj64EdEEvi20rocsparse_direction_NS_24const_host_device_scalarIT2_EEPKiS6_PKS3_S8_S4_PS3_21rocsparse_index_base_b.kd
    .uniform_work_group_size: 1
    .uses_dynamic_stack: false
    .vgpr_count:     30
    .vgpr_spill_count: 0
    .wavefront_size: 32
    .workgroup_processor_mode: 1
  - .args:
      - .offset:         0
        .size:           4
        .value_kind:     by_value
      - .offset:         4
        .size:           4
        .value_kind:     by_value
      - .offset:         8
        .size:           8
        .value_kind:     by_value
      - .actual_access:  read_only
        .address_space:  global
        .offset:         16
        .size:           8
        .value_kind:     global_buffer
      - .actual_access:  read_only
        .address_space:  global
        .offset:         24
        .size:           8
        .value_kind:     global_buffer
      - .actual_access:  read_only
        .address_space:  global
        .offset:         32
        .size:           8
        .value_kind:     global_buffer
      - .actual_access:  read_only
        .address_space:  global
        .offset:         40
        .size:           8
        .value_kind:     global_buffer
      - .offset:         48
        .size:           8
        .value_kind:     by_value
      - .address_space:  global
        .offset:         56
        .size:           8
        .value_kind:     global_buffer
      - .offset:         64
        .size:           4
        .value_kind:     by_value
      - .offset:         68
        .size:           1
        .value_kind:     by_value
    .group_segment_fixed_size: 0
    .kernarg_segment_align: 8
    .kernarg_segment_size: 72
    .language:       OpenCL C
    .language_version:
      - 2
      - 0
    .max_flat_workgroup_size: 128
    .name:           _ZN9rocsparseL19gebsrmvn_4xn_kernelILj128ELj2ELj4EdEEvi20rocsparse_direction_NS_24const_host_device_scalarIT2_EEPKiS6_PKS3_S8_S4_PS3_21rocsparse_index_base_b
    .private_segment_fixed_size: 0
    .sgpr_count:     18
    .sgpr_spill_count: 0
    .symbol:         _ZN9rocsparseL19gebsrmvn_4xn_kernelILj128ELj2ELj4EdEEvi20rocsparse_direction_NS_24const_host_device_scalarIT2_EEPKiS6_PKS3_S8_S4_PS3_21rocsparse_index_base_b.kd
    .uniform_work_group_size: 1
    .uses_dynamic_stack: false
    .vgpr_count:     40
    .vgpr_spill_count: 0
    .wavefront_size: 32
    .workgroup_processor_mode: 1
  - .args:
      - .offset:         0
        .size:           4
        .value_kind:     by_value
      - .offset:         4
        .size:           4
        .value_kind:     by_value
      - .offset:         8
        .size:           8
        .value_kind:     by_value
      - .actual_access:  read_only
        .address_space:  global
        .offset:         16
        .size:           8
        .value_kind:     global_buffer
      - .actual_access:  read_only
        .address_space:  global
        .offset:         24
        .size:           8
        .value_kind:     global_buffer
      - .actual_access:  read_only
        .address_space:  global
        .offset:         32
        .size:           8
        .value_kind:     global_buffer
      - .actual_access:  read_only
        .address_space:  global
        .offset:         40
        .size:           8
        .value_kind:     global_buffer
      - .offset:         48
        .size:           8
        .value_kind:     by_value
      - .address_space:  global
        .offset:         56
        .size:           8
        .value_kind:     global_buffer
      - .offset:         64
        .size:           4
        .value_kind:     by_value
      - .offset:         68
        .size:           1
        .value_kind:     by_value
    .group_segment_fixed_size: 0
    .kernarg_segment_align: 8
    .kernarg_segment_size: 72
    .language:       OpenCL C
    .language_version:
      - 2
      - 0
    .max_flat_workgroup_size: 128
    .name:           _ZN9rocsparseL19gebsrmvn_4xn_kernelILj128ELj2ELj8EdEEvi20rocsparse_direction_NS_24const_host_device_scalarIT2_EEPKiS6_PKS3_S8_S4_PS3_21rocsparse_index_base_b
    .private_segment_fixed_size: 0
    .sgpr_count:     18
    .sgpr_spill_count: 0
    .symbol:         _ZN9rocsparseL19gebsrmvn_4xn_kernelILj128ELj2ELj8EdEEvi20rocsparse_direction_NS_24const_host_device_scalarIT2_EEPKiS6_PKS3_S8_S4_PS3_21rocsparse_index_base_b.kd
    .uniform_work_group_size: 1
    .uses_dynamic_stack: false
    .vgpr_count:     40
    .vgpr_spill_count: 0
    .wavefront_size: 32
    .workgroup_processor_mode: 1
  - .args:
      - .offset:         0
        .size:           4
        .value_kind:     by_value
      - .offset:         4
        .size:           4
        .value_kind:     by_value
      - .offset:         8
        .size:           8
        .value_kind:     by_value
      - .actual_access:  read_only
        .address_space:  global
        .offset:         16
        .size:           8
        .value_kind:     global_buffer
      - .actual_access:  read_only
        .address_space:  global
        .offset:         24
        .size:           8
        .value_kind:     global_buffer
      - .actual_access:  read_only
        .address_space:  global
        .offset:         32
        .size:           8
        .value_kind:     global_buffer
      - .actual_access:  read_only
        .address_space:  global
        .offset:         40
        .size:           8
        .value_kind:     global_buffer
      - .offset:         48
        .size:           8
        .value_kind:     by_value
      - .address_space:  global
        .offset:         56
        .size:           8
        .value_kind:     global_buffer
      - .offset:         64
        .size:           4
        .value_kind:     by_value
      - .offset:         68
        .size:           1
        .value_kind:     by_value
    .group_segment_fixed_size: 0
    .kernarg_segment_align: 8
    .kernarg_segment_size: 72
    .language:       OpenCL C
    .language_version:
      - 2
      - 0
    .max_flat_workgroup_size: 128
    .name:           _ZN9rocsparseL19gebsrmvn_4xn_kernelILj128ELj2ELj16EdEEvi20rocsparse_direction_NS_24const_host_device_scalarIT2_EEPKiS6_PKS3_S8_S4_PS3_21rocsparse_index_base_b
    .private_segment_fixed_size: 0
    .sgpr_count:     18
    .sgpr_spill_count: 0
    .symbol:         _ZN9rocsparseL19gebsrmvn_4xn_kernelILj128ELj2ELj16EdEEvi20rocsparse_direction_NS_24const_host_device_scalarIT2_EEPKiS6_PKS3_S8_S4_PS3_21rocsparse_index_base_b.kd
    .uniform_work_group_size: 1
    .uses_dynamic_stack: false
    .vgpr_count:     40
    .vgpr_spill_count: 0
    .wavefront_size: 32
    .workgroup_processor_mode: 1
  - .args:
      - .offset:         0
        .size:           4
        .value_kind:     by_value
      - .offset:         4
        .size:           4
        .value_kind:     by_value
      - .offset:         8
        .size:           8
        .value_kind:     by_value
      - .actual_access:  read_only
        .address_space:  global
        .offset:         16
        .size:           8
        .value_kind:     global_buffer
      - .actual_access:  read_only
        .address_space:  global
        .offset:         24
        .size:           8
        .value_kind:     global_buffer
      - .actual_access:  read_only
        .address_space:  global
        .offset:         32
        .size:           8
        .value_kind:     global_buffer
      - .actual_access:  read_only
        .address_space:  global
        .offset:         40
        .size:           8
        .value_kind:     global_buffer
      - .offset:         48
        .size:           8
        .value_kind:     by_value
      - .address_space:  global
        .offset:         56
        .size:           8
        .value_kind:     global_buffer
      - .offset:         64
        .size:           4
        .value_kind:     by_value
      - .offset:         68
        .size:           1
        .value_kind:     by_value
    .group_segment_fixed_size: 0
    .kernarg_segment_align: 8
    .kernarg_segment_size: 72
    .language:       OpenCL C
    .language_version:
      - 2
      - 0
    .max_flat_workgroup_size: 128
    .name:           _ZN9rocsparseL19gebsrmvn_4xn_kernelILj128ELj2ELj32EdEEvi20rocsparse_direction_NS_24const_host_device_scalarIT2_EEPKiS6_PKS3_S8_S4_PS3_21rocsparse_index_base_b
    .private_segment_fixed_size: 0
    .sgpr_count:     18
    .sgpr_spill_count: 0
    .symbol:         _ZN9rocsparseL19gebsrmvn_4xn_kernelILj128ELj2ELj32EdEEvi20rocsparse_direction_NS_24const_host_device_scalarIT2_EEPKiS6_PKS3_S8_S4_PS3_21rocsparse_index_base_b.kd
    .uniform_work_group_size: 1
    .uses_dynamic_stack: false
    .vgpr_count:     40
    .vgpr_spill_count: 0
    .wavefront_size: 32
    .workgroup_processor_mode: 1
  - .args:
      - .offset:         0
        .size:           4
        .value_kind:     by_value
      - .offset:         4
        .size:           4
        .value_kind:     by_value
      - .offset:         8
        .size:           8
        .value_kind:     by_value
      - .actual_access:  read_only
        .address_space:  global
        .offset:         16
        .size:           8
        .value_kind:     global_buffer
      - .actual_access:  read_only
        .address_space:  global
        .offset:         24
        .size:           8
        .value_kind:     global_buffer
      - .actual_access:  read_only
        .address_space:  global
        .offset:         32
        .size:           8
        .value_kind:     global_buffer
      - .actual_access:  read_only
        .address_space:  global
        .offset:         40
        .size:           8
        .value_kind:     global_buffer
      - .offset:         48
        .size:           8
        .value_kind:     by_value
      - .address_space:  global
        .offset:         56
        .size:           8
        .value_kind:     global_buffer
      - .offset:         64
        .size:           4
        .value_kind:     by_value
      - .offset:         68
        .size:           1
        .value_kind:     by_value
    .group_segment_fixed_size: 0
    .kernarg_segment_align: 8
    .kernarg_segment_size: 72
    .language:       OpenCL C
    .language_version:
      - 2
      - 0
    .max_flat_workgroup_size: 128
    .name:           _ZN9rocsparseL19gebsrmvn_4xn_kernelILj128ELj2ELj64EdEEvi20rocsparse_direction_NS_24const_host_device_scalarIT2_EEPKiS6_PKS3_S8_S4_PS3_21rocsparse_index_base_b
    .private_segment_fixed_size: 0
    .sgpr_count:     18
    .sgpr_spill_count: 0
    .symbol:         _ZN9rocsparseL19gebsrmvn_4xn_kernelILj128ELj2ELj64EdEEvi20rocsparse_direction_NS_24const_host_device_scalarIT2_EEPKiS6_PKS3_S8_S4_PS3_21rocsparse_index_base_b.kd
    .uniform_work_group_size: 1
    .uses_dynamic_stack: false
    .vgpr_count:     40
    .vgpr_spill_count: 0
    .wavefront_size: 32
    .workgroup_processor_mode: 1
  - .args:
      - .offset:         0
        .size:           4
        .value_kind:     by_value
      - .offset:         4
        .size:           4
        .value_kind:     by_value
      - .offset:         8
        .size:           8
        .value_kind:     by_value
      - .actual_access:  read_only
        .address_space:  global
        .offset:         16
        .size:           8
        .value_kind:     global_buffer
      - .actual_access:  read_only
        .address_space:  global
        .offset:         24
        .size:           8
        .value_kind:     global_buffer
      - .actual_access:  read_only
        .address_space:  global
        .offset:         32
        .size:           8
        .value_kind:     global_buffer
      - .actual_access:  read_only
        .address_space:  global
        .offset:         40
        .size:           8
        .value_kind:     global_buffer
      - .offset:         48
        .size:           8
        .value_kind:     by_value
      - .address_space:  global
        .offset:         56
        .size:           8
        .value_kind:     global_buffer
      - .offset:         64
        .size:           4
        .value_kind:     by_value
      - .offset:         68
        .size:           1
        .value_kind:     by_value
    .group_segment_fixed_size: 0
    .kernarg_segment_align: 8
    .kernarg_segment_size: 72
    .language:       OpenCL C
    .language_version:
      - 2
      - 0
    .max_flat_workgroup_size: 128
    .name:           _ZN9rocsparseL19gebsrmvn_4xn_kernelILj128ELj3ELj4EdEEvi20rocsparse_direction_NS_24const_host_device_scalarIT2_EEPKiS6_PKS3_S8_S4_PS3_21rocsparse_index_base_b
    .private_segment_fixed_size: 0
    .sgpr_count:     18
    .sgpr_spill_count: 0
    .symbol:         _ZN9rocsparseL19gebsrmvn_4xn_kernelILj128ELj3ELj4EdEEvi20rocsparse_direction_NS_24const_host_device_scalarIT2_EEPKiS6_PKS3_S8_S4_PS3_21rocsparse_index_base_b.kd
    .uniform_work_group_size: 1
    .uses_dynamic_stack: false
    .vgpr_count:     51
    .vgpr_spill_count: 0
    .wavefront_size: 32
    .workgroup_processor_mode: 1
  - .args:
      - .offset:         0
        .size:           4
        .value_kind:     by_value
      - .offset:         4
        .size:           4
        .value_kind:     by_value
      - .offset:         8
        .size:           8
        .value_kind:     by_value
      - .actual_access:  read_only
        .address_space:  global
        .offset:         16
        .size:           8
        .value_kind:     global_buffer
      - .actual_access:  read_only
        .address_space:  global
        .offset:         24
        .size:           8
        .value_kind:     global_buffer
      - .actual_access:  read_only
        .address_space:  global
        .offset:         32
        .size:           8
        .value_kind:     global_buffer
      - .actual_access:  read_only
        .address_space:  global
        .offset:         40
        .size:           8
        .value_kind:     global_buffer
      - .offset:         48
        .size:           8
        .value_kind:     by_value
      - .address_space:  global
        .offset:         56
        .size:           8
        .value_kind:     global_buffer
      - .offset:         64
        .size:           4
        .value_kind:     by_value
      - .offset:         68
        .size:           1
        .value_kind:     by_value
    .group_segment_fixed_size: 0
    .kernarg_segment_align: 8
    .kernarg_segment_size: 72
    .language:       OpenCL C
    .language_version:
      - 2
      - 0
    .max_flat_workgroup_size: 128
    .name:           _ZN9rocsparseL19gebsrmvn_4xn_kernelILj128ELj3ELj8EdEEvi20rocsparse_direction_NS_24const_host_device_scalarIT2_EEPKiS6_PKS3_S8_S4_PS3_21rocsparse_index_base_b
    .private_segment_fixed_size: 0
    .sgpr_count:     18
    .sgpr_spill_count: 0
    .symbol:         _ZN9rocsparseL19gebsrmvn_4xn_kernelILj128ELj3ELj8EdEEvi20rocsparse_direction_NS_24const_host_device_scalarIT2_EEPKiS6_PKS3_S8_S4_PS3_21rocsparse_index_base_b.kd
    .uniform_work_group_size: 1
    .uses_dynamic_stack: false
    .vgpr_count:     49
    .vgpr_spill_count: 0
    .wavefront_size: 32
    .workgroup_processor_mode: 1
  - .args:
      - .offset:         0
        .size:           4
        .value_kind:     by_value
      - .offset:         4
        .size:           4
        .value_kind:     by_value
      - .offset:         8
        .size:           8
        .value_kind:     by_value
      - .actual_access:  read_only
        .address_space:  global
        .offset:         16
        .size:           8
        .value_kind:     global_buffer
      - .actual_access:  read_only
        .address_space:  global
        .offset:         24
        .size:           8
        .value_kind:     global_buffer
      - .actual_access:  read_only
        .address_space:  global
        .offset:         32
        .size:           8
        .value_kind:     global_buffer
      - .actual_access:  read_only
        .address_space:  global
        .offset:         40
        .size:           8
        .value_kind:     global_buffer
      - .offset:         48
        .size:           8
        .value_kind:     by_value
      - .address_space:  global
        .offset:         56
        .size:           8
        .value_kind:     global_buffer
      - .offset:         64
        .size:           4
        .value_kind:     by_value
      - .offset:         68
        .size:           1
        .value_kind:     by_value
    .group_segment_fixed_size: 0
    .kernarg_segment_align: 8
    .kernarg_segment_size: 72
    .language:       OpenCL C
    .language_version:
      - 2
      - 0
    .max_flat_workgroup_size: 128
    .name:           _ZN9rocsparseL19gebsrmvn_4xn_kernelILj128ELj3ELj16EdEEvi20rocsparse_direction_NS_24const_host_device_scalarIT2_EEPKiS6_PKS3_S8_S4_PS3_21rocsparse_index_base_b
    .private_segment_fixed_size: 0
    .sgpr_count:     18
    .sgpr_spill_count: 0
    .symbol:         _ZN9rocsparseL19gebsrmvn_4xn_kernelILj128ELj3ELj16EdEEvi20rocsparse_direction_NS_24const_host_device_scalarIT2_EEPKiS6_PKS3_S8_S4_PS3_21rocsparse_index_base_b.kd
    .uniform_work_group_size: 1
    .uses_dynamic_stack: false
    .vgpr_count:     49
    .vgpr_spill_count: 0
    .wavefront_size: 32
    .workgroup_processor_mode: 1
  - .args:
      - .offset:         0
        .size:           4
        .value_kind:     by_value
      - .offset:         4
        .size:           4
        .value_kind:     by_value
      - .offset:         8
        .size:           8
        .value_kind:     by_value
      - .actual_access:  read_only
        .address_space:  global
        .offset:         16
        .size:           8
        .value_kind:     global_buffer
      - .actual_access:  read_only
        .address_space:  global
        .offset:         24
        .size:           8
        .value_kind:     global_buffer
      - .actual_access:  read_only
        .address_space:  global
        .offset:         32
        .size:           8
        .value_kind:     global_buffer
      - .actual_access:  read_only
        .address_space:  global
        .offset:         40
        .size:           8
        .value_kind:     global_buffer
      - .offset:         48
        .size:           8
        .value_kind:     by_value
      - .address_space:  global
        .offset:         56
        .size:           8
        .value_kind:     global_buffer
      - .offset:         64
        .size:           4
        .value_kind:     by_value
      - .offset:         68
        .size:           1
        .value_kind:     by_value
    .group_segment_fixed_size: 0
    .kernarg_segment_align: 8
    .kernarg_segment_size: 72
    .language:       OpenCL C
    .language_version:
      - 2
      - 0
    .max_flat_workgroup_size: 128
    .name:           _ZN9rocsparseL19gebsrmvn_4xn_kernelILj128ELj3ELj32EdEEvi20rocsparse_direction_NS_24const_host_device_scalarIT2_EEPKiS6_PKS3_S8_S4_PS3_21rocsparse_index_base_b
    .private_segment_fixed_size: 0
    .sgpr_count:     18
    .sgpr_spill_count: 0
    .symbol:         _ZN9rocsparseL19gebsrmvn_4xn_kernelILj128ELj3ELj32EdEEvi20rocsparse_direction_NS_24const_host_device_scalarIT2_EEPKiS6_PKS3_S8_S4_PS3_21rocsparse_index_base_b.kd
    .uniform_work_group_size: 1
    .uses_dynamic_stack: false
    .vgpr_count:     49
    .vgpr_spill_count: 0
    .wavefront_size: 32
    .workgroup_processor_mode: 1
  - .args:
      - .offset:         0
        .size:           4
        .value_kind:     by_value
      - .offset:         4
        .size:           4
        .value_kind:     by_value
      - .offset:         8
        .size:           8
        .value_kind:     by_value
      - .actual_access:  read_only
        .address_space:  global
        .offset:         16
        .size:           8
        .value_kind:     global_buffer
      - .actual_access:  read_only
        .address_space:  global
        .offset:         24
        .size:           8
        .value_kind:     global_buffer
      - .actual_access:  read_only
        .address_space:  global
        .offset:         32
        .size:           8
        .value_kind:     global_buffer
      - .actual_access:  read_only
        .address_space:  global
        .offset:         40
        .size:           8
        .value_kind:     global_buffer
      - .offset:         48
        .size:           8
        .value_kind:     by_value
      - .address_space:  global
        .offset:         56
        .size:           8
        .value_kind:     global_buffer
      - .offset:         64
        .size:           4
        .value_kind:     by_value
      - .offset:         68
        .size:           1
        .value_kind:     by_value
    .group_segment_fixed_size: 0
    .kernarg_segment_align: 8
    .kernarg_segment_size: 72
    .language:       OpenCL C
    .language_version:
      - 2
      - 0
    .max_flat_workgroup_size: 128
    .name:           _ZN9rocsparseL19gebsrmvn_4xn_kernelILj128ELj3ELj64EdEEvi20rocsparse_direction_NS_24const_host_device_scalarIT2_EEPKiS6_PKS3_S8_S4_PS3_21rocsparse_index_base_b
    .private_segment_fixed_size: 0
    .sgpr_count:     18
    .sgpr_spill_count: 0
    .symbol:         _ZN9rocsparseL19gebsrmvn_4xn_kernelILj128ELj3ELj64EdEEvi20rocsparse_direction_NS_24const_host_device_scalarIT2_EEPKiS6_PKS3_S8_S4_PS3_21rocsparse_index_base_b.kd
    .uniform_work_group_size: 1
    .uses_dynamic_stack: false
    .vgpr_count:     49
    .vgpr_spill_count: 0
    .wavefront_size: 32
    .workgroup_processor_mode: 1
  - .args:
      - .offset:         0
        .size:           4
        .value_kind:     by_value
      - .offset:         4
        .size:           4
        .value_kind:     by_value
      - .offset:         8
        .size:           8
        .value_kind:     by_value
      - .actual_access:  read_only
        .address_space:  global
        .offset:         16
        .size:           8
        .value_kind:     global_buffer
      - .actual_access:  read_only
        .address_space:  global
        .offset:         24
        .size:           8
        .value_kind:     global_buffer
      - .actual_access:  read_only
        .address_space:  global
        .offset:         32
        .size:           8
        .value_kind:     global_buffer
      - .actual_access:  read_only
        .address_space:  global
        .offset:         40
        .size:           8
        .value_kind:     global_buffer
      - .offset:         48
        .size:           8
        .value_kind:     by_value
      - .address_space:  global
        .offset:         56
        .size:           8
        .value_kind:     global_buffer
      - .offset:         64
        .size:           4
        .value_kind:     by_value
      - .offset:         68
        .size:           1
        .value_kind:     by_value
    .group_segment_fixed_size: 0
    .kernarg_segment_align: 8
    .kernarg_segment_size: 72
    .language:       OpenCL C
    .language_version:
      - 2
      - 0
    .max_flat_workgroup_size: 128
    .name:           _ZN9rocsparseL19gebsrmvn_4xn_kernelILj128ELj5ELj4EdEEvi20rocsparse_direction_NS_24const_host_device_scalarIT2_EEPKiS6_PKS3_S8_S4_PS3_21rocsparse_index_base_b
    .private_segment_fixed_size: 0
    .sgpr_count:     18
    .sgpr_spill_count: 0
    .symbol:         _ZN9rocsparseL19gebsrmvn_4xn_kernelILj128ELj5ELj4EdEEvi20rocsparse_direction_NS_24const_host_device_scalarIT2_EEPKiS6_PKS3_S8_S4_PS3_21rocsparse_index_base_b.kd
    .uniform_work_group_size: 1
    .uses_dynamic_stack: false
    .vgpr_count:     72
    .vgpr_spill_count: 0
    .wavefront_size: 32
    .workgroup_processor_mode: 1
  - .args:
      - .offset:         0
        .size:           4
        .value_kind:     by_value
      - .offset:         4
        .size:           4
        .value_kind:     by_value
      - .offset:         8
        .size:           8
        .value_kind:     by_value
      - .actual_access:  read_only
        .address_space:  global
        .offset:         16
        .size:           8
        .value_kind:     global_buffer
      - .actual_access:  read_only
        .address_space:  global
        .offset:         24
        .size:           8
        .value_kind:     global_buffer
      - .actual_access:  read_only
        .address_space:  global
        .offset:         32
        .size:           8
        .value_kind:     global_buffer
      - .actual_access:  read_only
        .address_space:  global
        .offset:         40
        .size:           8
        .value_kind:     global_buffer
      - .offset:         48
        .size:           8
        .value_kind:     by_value
      - .address_space:  global
        .offset:         56
        .size:           8
        .value_kind:     global_buffer
      - .offset:         64
        .size:           4
        .value_kind:     by_value
      - .offset:         68
        .size:           1
        .value_kind:     by_value
    .group_segment_fixed_size: 0
    .kernarg_segment_align: 8
    .kernarg_segment_size: 72
    .language:       OpenCL C
    .language_version:
      - 2
      - 0
    .max_flat_workgroup_size: 128
    .name:           _ZN9rocsparseL19gebsrmvn_4xn_kernelILj128ELj5ELj8EdEEvi20rocsparse_direction_NS_24const_host_device_scalarIT2_EEPKiS6_PKS3_S8_S4_PS3_21rocsparse_index_base_b
    .private_segment_fixed_size: 0
    .sgpr_count:     18
    .sgpr_spill_count: 0
    .symbol:         _ZN9rocsparseL19gebsrmvn_4xn_kernelILj128ELj5ELj8EdEEvi20rocsparse_direction_NS_24const_host_device_scalarIT2_EEPKiS6_PKS3_S8_S4_PS3_21rocsparse_index_base_b.kd
    .uniform_work_group_size: 1
    .uses_dynamic_stack: false
    .vgpr_count:     72
    .vgpr_spill_count: 0
    .wavefront_size: 32
    .workgroup_processor_mode: 1
  - .args:
      - .offset:         0
        .size:           4
        .value_kind:     by_value
      - .offset:         4
        .size:           4
        .value_kind:     by_value
      - .offset:         8
        .size:           8
        .value_kind:     by_value
      - .actual_access:  read_only
        .address_space:  global
        .offset:         16
        .size:           8
        .value_kind:     global_buffer
      - .actual_access:  read_only
        .address_space:  global
        .offset:         24
        .size:           8
        .value_kind:     global_buffer
      - .actual_access:  read_only
        .address_space:  global
        .offset:         32
        .size:           8
        .value_kind:     global_buffer
      - .actual_access:  read_only
        .address_space:  global
        .offset:         40
        .size:           8
        .value_kind:     global_buffer
      - .offset:         48
        .size:           8
        .value_kind:     by_value
      - .address_space:  global
        .offset:         56
        .size:           8
        .value_kind:     global_buffer
      - .offset:         64
        .size:           4
        .value_kind:     by_value
      - .offset:         68
        .size:           1
        .value_kind:     by_value
    .group_segment_fixed_size: 0
    .kernarg_segment_align: 8
    .kernarg_segment_size: 72
    .language:       OpenCL C
    .language_version:
      - 2
      - 0
    .max_flat_workgroup_size: 128
    .name:           _ZN9rocsparseL19gebsrmvn_4xn_kernelILj128ELj5ELj16EdEEvi20rocsparse_direction_NS_24const_host_device_scalarIT2_EEPKiS6_PKS3_S8_S4_PS3_21rocsparse_index_base_b
    .private_segment_fixed_size: 0
    .sgpr_count:     18
    .sgpr_spill_count: 0
    .symbol:         _ZN9rocsparseL19gebsrmvn_4xn_kernelILj128ELj5ELj16EdEEvi20rocsparse_direction_NS_24const_host_device_scalarIT2_EEPKiS6_PKS3_S8_S4_PS3_21rocsparse_index_base_b.kd
    .uniform_work_group_size: 1
    .uses_dynamic_stack: false
    .vgpr_count:     71
    .vgpr_spill_count: 0
    .wavefront_size: 32
    .workgroup_processor_mode: 1
  - .args:
      - .offset:         0
        .size:           4
        .value_kind:     by_value
      - .offset:         4
        .size:           4
        .value_kind:     by_value
      - .offset:         8
        .size:           8
        .value_kind:     by_value
      - .actual_access:  read_only
        .address_space:  global
        .offset:         16
        .size:           8
        .value_kind:     global_buffer
      - .actual_access:  read_only
        .address_space:  global
        .offset:         24
        .size:           8
        .value_kind:     global_buffer
      - .actual_access:  read_only
        .address_space:  global
        .offset:         32
        .size:           8
        .value_kind:     global_buffer
      - .actual_access:  read_only
        .address_space:  global
        .offset:         40
        .size:           8
        .value_kind:     global_buffer
      - .offset:         48
        .size:           8
        .value_kind:     by_value
      - .address_space:  global
        .offset:         56
        .size:           8
        .value_kind:     global_buffer
      - .offset:         64
        .size:           4
        .value_kind:     by_value
      - .offset:         68
        .size:           1
        .value_kind:     by_value
    .group_segment_fixed_size: 0
    .kernarg_segment_align: 8
    .kernarg_segment_size: 72
    .language:       OpenCL C
    .language_version:
      - 2
      - 0
    .max_flat_workgroup_size: 128
    .name:           _ZN9rocsparseL19gebsrmvn_4xn_kernelILj128ELj5ELj32EdEEvi20rocsparse_direction_NS_24const_host_device_scalarIT2_EEPKiS6_PKS3_S8_S4_PS3_21rocsparse_index_base_b
    .private_segment_fixed_size: 0
    .sgpr_count:     18
    .sgpr_spill_count: 0
    .symbol:         _ZN9rocsparseL19gebsrmvn_4xn_kernelILj128ELj5ELj32EdEEvi20rocsparse_direction_NS_24const_host_device_scalarIT2_EEPKiS6_PKS3_S8_S4_PS3_21rocsparse_index_base_b.kd
    .uniform_work_group_size: 1
    .uses_dynamic_stack: false
    .vgpr_count:     71
    .vgpr_spill_count: 0
    .wavefront_size: 32
    .workgroup_processor_mode: 1
  - .args:
      - .offset:         0
        .size:           4
        .value_kind:     by_value
      - .offset:         4
        .size:           4
        .value_kind:     by_value
      - .offset:         8
        .size:           8
        .value_kind:     by_value
      - .actual_access:  read_only
        .address_space:  global
        .offset:         16
        .size:           8
        .value_kind:     global_buffer
      - .actual_access:  read_only
        .address_space:  global
        .offset:         24
        .size:           8
        .value_kind:     global_buffer
      - .actual_access:  read_only
        .address_space:  global
        .offset:         32
        .size:           8
        .value_kind:     global_buffer
      - .actual_access:  read_only
        .address_space:  global
        .offset:         40
        .size:           8
        .value_kind:     global_buffer
      - .offset:         48
        .size:           8
        .value_kind:     by_value
      - .address_space:  global
        .offset:         56
        .size:           8
        .value_kind:     global_buffer
      - .offset:         64
        .size:           4
        .value_kind:     by_value
      - .offset:         68
        .size:           1
        .value_kind:     by_value
    .group_segment_fixed_size: 0
    .kernarg_segment_align: 8
    .kernarg_segment_size: 72
    .language:       OpenCL C
    .language_version:
      - 2
      - 0
    .max_flat_workgroup_size: 128
    .name:           _ZN9rocsparseL19gebsrmvn_4xn_kernelILj128ELj5ELj64EdEEvi20rocsparse_direction_NS_24const_host_device_scalarIT2_EEPKiS6_PKS3_S8_S4_PS3_21rocsparse_index_base_b
    .private_segment_fixed_size: 0
    .sgpr_count:     18
    .sgpr_spill_count: 0
    .symbol:         _ZN9rocsparseL19gebsrmvn_4xn_kernelILj128ELj5ELj64EdEEvi20rocsparse_direction_NS_24const_host_device_scalarIT2_EEPKiS6_PKS3_S8_S4_PS3_21rocsparse_index_base_b.kd
    .uniform_work_group_size: 1
    .uses_dynamic_stack: false
    .vgpr_count:     71
    .vgpr_spill_count: 0
    .wavefront_size: 32
    .workgroup_processor_mode: 1
  - .args:
      - .offset:         0
        .size:           4
        .value_kind:     by_value
      - .offset:         4
        .size:           4
        .value_kind:     by_value
      - .offset:         8
        .size:           8
        .value_kind:     by_value
      - .actual_access:  read_only
        .address_space:  global
        .offset:         16
        .size:           8
        .value_kind:     global_buffer
      - .actual_access:  read_only
        .address_space:  global
        .offset:         24
        .size:           8
        .value_kind:     global_buffer
      - .actual_access:  read_only
        .address_space:  global
        .offset:         32
        .size:           8
        .value_kind:     global_buffer
      - .actual_access:  read_only
        .address_space:  global
        .offset:         40
        .size:           8
        .value_kind:     global_buffer
      - .offset:         48
        .size:           8
        .value_kind:     by_value
      - .address_space:  global
        .offset:         56
        .size:           8
        .value_kind:     global_buffer
      - .offset:         64
        .size:           4
        .value_kind:     by_value
      - .offset:         68
        .size:           1
        .value_kind:     by_value
    .group_segment_fixed_size: 0
    .kernarg_segment_align: 8
    .kernarg_segment_size: 72
    .language:       OpenCL C
    .language_version:
      - 2
      - 0
    .max_flat_workgroup_size: 128
    .name:           _ZN9rocsparseL19gebsrmvn_4xn_kernelILj128ELj6ELj4EdEEvi20rocsparse_direction_NS_24const_host_device_scalarIT2_EEPKiS6_PKS3_S8_S4_PS3_21rocsparse_index_base_b
    .private_segment_fixed_size: 0
    .sgpr_count:     18
    .sgpr_spill_count: 0
    .symbol:         _ZN9rocsparseL19gebsrmvn_4xn_kernelILj128ELj6ELj4EdEEvi20rocsparse_direction_NS_24const_host_device_scalarIT2_EEPKiS6_PKS3_S8_S4_PS3_21rocsparse_index_base_b.kd
    .uniform_work_group_size: 1
    .uses_dynamic_stack: false
    .vgpr_count:     82
    .vgpr_spill_count: 0
    .wavefront_size: 32
    .workgroup_processor_mode: 1
  - .args:
      - .offset:         0
        .size:           4
        .value_kind:     by_value
      - .offset:         4
        .size:           4
        .value_kind:     by_value
      - .offset:         8
        .size:           8
        .value_kind:     by_value
      - .actual_access:  read_only
        .address_space:  global
        .offset:         16
        .size:           8
        .value_kind:     global_buffer
      - .actual_access:  read_only
        .address_space:  global
        .offset:         24
        .size:           8
        .value_kind:     global_buffer
      - .actual_access:  read_only
        .address_space:  global
        .offset:         32
        .size:           8
        .value_kind:     global_buffer
      - .actual_access:  read_only
        .address_space:  global
        .offset:         40
        .size:           8
        .value_kind:     global_buffer
      - .offset:         48
        .size:           8
        .value_kind:     by_value
      - .address_space:  global
        .offset:         56
        .size:           8
        .value_kind:     global_buffer
      - .offset:         64
        .size:           4
        .value_kind:     by_value
      - .offset:         68
        .size:           1
        .value_kind:     by_value
    .group_segment_fixed_size: 0
    .kernarg_segment_align: 8
    .kernarg_segment_size: 72
    .language:       OpenCL C
    .language_version:
      - 2
      - 0
    .max_flat_workgroup_size: 128
    .name:           _ZN9rocsparseL19gebsrmvn_4xn_kernelILj128ELj6ELj8EdEEvi20rocsparse_direction_NS_24const_host_device_scalarIT2_EEPKiS6_PKS3_S8_S4_PS3_21rocsparse_index_base_b
    .private_segment_fixed_size: 0
    .sgpr_count:     18
    .sgpr_spill_count: 0
    .symbol:         _ZN9rocsparseL19gebsrmvn_4xn_kernelILj128ELj6ELj8EdEEvi20rocsparse_direction_NS_24const_host_device_scalarIT2_EEPKiS6_PKS3_S8_S4_PS3_21rocsparse_index_base_b.kd
    .uniform_work_group_size: 1
    .uses_dynamic_stack: false
    .vgpr_count:     82
    .vgpr_spill_count: 0
    .wavefront_size: 32
    .workgroup_processor_mode: 1
  - .args:
      - .offset:         0
        .size:           4
        .value_kind:     by_value
      - .offset:         4
        .size:           4
        .value_kind:     by_value
      - .offset:         8
        .size:           8
        .value_kind:     by_value
      - .actual_access:  read_only
        .address_space:  global
        .offset:         16
        .size:           8
        .value_kind:     global_buffer
      - .actual_access:  read_only
        .address_space:  global
        .offset:         24
        .size:           8
        .value_kind:     global_buffer
      - .actual_access:  read_only
        .address_space:  global
        .offset:         32
        .size:           8
        .value_kind:     global_buffer
      - .actual_access:  read_only
        .address_space:  global
        .offset:         40
        .size:           8
        .value_kind:     global_buffer
      - .offset:         48
        .size:           8
        .value_kind:     by_value
      - .address_space:  global
        .offset:         56
        .size:           8
        .value_kind:     global_buffer
      - .offset:         64
        .size:           4
        .value_kind:     by_value
      - .offset:         68
        .size:           1
        .value_kind:     by_value
    .group_segment_fixed_size: 0
    .kernarg_segment_align: 8
    .kernarg_segment_size: 72
    .language:       OpenCL C
    .language_version:
      - 2
      - 0
    .max_flat_workgroup_size: 128
    .name:           _ZN9rocsparseL19gebsrmvn_4xn_kernelILj128ELj6ELj16EdEEvi20rocsparse_direction_NS_24const_host_device_scalarIT2_EEPKiS6_PKS3_S8_S4_PS3_21rocsparse_index_base_b
    .private_segment_fixed_size: 0
    .sgpr_count:     18
    .sgpr_spill_count: 0
    .symbol:         _ZN9rocsparseL19gebsrmvn_4xn_kernelILj128ELj6ELj16EdEEvi20rocsparse_direction_NS_24const_host_device_scalarIT2_EEPKiS6_PKS3_S8_S4_PS3_21rocsparse_index_base_b.kd
    .uniform_work_group_size: 1
    .uses_dynamic_stack: false
    .vgpr_count:     82
    .vgpr_spill_count: 0
    .wavefront_size: 32
    .workgroup_processor_mode: 1
  - .args:
      - .offset:         0
        .size:           4
        .value_kind:     by_value
      - .offset:         4
        .size:           4
        .value_kind:     by_value
      - .offset:         8
        .size:           8
        .value_kind:     by_value
      - .actual_access:  read_only
        .address_space:  global
        .offset:         16
        .size:           8
        .value_kind:     global_buffer
      - .actual_access:  read_only
        .address_space:  global
        .offset:         24
        .size:           8
        .value_kind:     global_buffer
      - .actual_access:  read_only
        .address_space:  global
        .offset:         32
        .size:           8
        .value_kind:     global_buffer
      - .actual_access:  read_only
        .address_space:  global
        .offset:         40
        .size:           8
        .value_kind:     global_buffer
      - .offset:         48
        .size:           8
        .value_kind:     by_value
      - .address_space:  global
        .offset:         56
        .size:           8
        .value_kind:     global_buffer
      - .offset:         64
        .size:           4
        .value_kind:     by_value
      - .offset:         68
        .size:           1
        .value_kind:     by_value
    .group_segment_fixed_size: 0
    .kernarg_segment_align: 8
    .kernarg_segment_size: 72
    .language:       OpenCL C
    .language_version:
      - 2
      - 0
    .max_flat_workgroup_size: 128
    .name:           _ZN9rocsparseL19gebsrmvn_4xn_kernelILj128ELj6ELj32EdEEvi20rocsparse_direction_NS_24const_host_device_scalarIT2_EEPKiS6_PKS3_S8_S4_PS3_21rocsparse_index_base_b
    .private_segment_fixed_size: 0
    .sgpr_count:     18
    .sgpr_spill_count: 0
    .symbol:         _ZN9rocsparseL19gebsrmvn_4xn_kernelILj128ELj6ELj32EdEEvi20rocsparse_direction_NS_24const_host_device_scalarIT2_EEPKiS6_PKS3_S8_S4_PS3_21rocsparse_index_base_b.kd
    .uniform_work_group_size: 1
    .uses_dynamic_stack: false
    .vgpr_count:     81
    .vgpr_spill_count: 0
    .wavefront_size: 32
    .workgroup_processor_mode: 1
  - .args:
      - .offset:         0
        .size:           4
        .value_kind:     by_value
      - .offset:         4
        .size:           4
        .value_kind:     by_value
      - .offset:         8
        .size:           8
        .value_kind:     by_value
      - .actual_access:  read_only
        .address_space:  global
        .offset:         16
        .size:           8
        .value_kind:     global_buffer
      - .actual_access:  read_only
        .address_space:  global
        .offset:         24
        .size:           8
        .value_kind:     global_buffer
      - .actual_access:  read_only
        .address_space:  global
        .offset:         32
        .size:           8
        .value_kind:     global_buffer
      - .actual_access:  read_only
        .address_space:  global
        .offset:         40
        .size:           8
        .value_kind:     global_buffer
      - .offset:         48
        .size:           8
        .value_kind:     by_value
      - .address_space:  global
        .offset:         56
        .size:           8
        .value_kind:     global_buffer
      - .offset:         64
        .size:           4
        .value_kind:     by_value
      - .offset:         68
        .size:           1
        .value_kind:     by_value
    .group_segment_fixed_size: 0
    .kernarg_segment_align: 8
    .kernarg_segment_size: 72
    .language:       OpenCL C
    .language_version:
      - 2
      - 0
    .max_flat_workgroup_size: 128
    .name:           _ZN9rocsparseL19gebsrmvn_4xn_kernelILj128ELj6ELj64EdEEvi20rocsparse_direction_NS_24const_host_device_scalarIT2_EEPKiS6_PKS3_S8_S4_PS3_21rocsparse_index_base_b
    .private_segment_fixed_size: 0
    .sgpr_count:     18
    .sgpr_spill_count: 0
    .symbol:         _ZN9rocsparseL19gebsrmvn_4xn_kernelILj128ELj6ELj64EdEEvi20rocsparse_direction_NS_24const_host_device_scalarIT2_EEPKiS6_PKS3_S8_S4_PS3_21rocsparse_index_base_b.kd
    .uniform_work_group_size: 1
    .uses_dynamic_stack: false
    .vgpr_count:     81
    .vgpr_spill_count: 0
    .wavefront_size: 32
    .workgroup_processor_mode: 1
  - .args:
      - .offset:         0
        .size:           4
        .value_kind:     by_value
      - .offset:         4
        .size:           4
        .value_kind:     by_value
      - .offset:         8
        .size:           8
        .value_kind:     by_value
      - .actual_access:  read_only
        .address_space:  global
        .offset:         16
        .size:           8
        .value_kind:     global_buffer
      - .actual_access:  read_only
        .address_space:  global
        .offset:         24
        .size:           8
        .value_kind:     global_buffer
      - .actual_access:  read_only
        .address_space:  global
        .offset:         32
        .size:           8
        .value_kind:     global_buffer
      - .actual_access:  read_only
        .address_space:  global
        .offset:         40
        .size:           8
        .value_kind:     global_buffer
      - .offset:         48
        .size:           8
        .value_kind:     by_value
      - .address_space:  global
        .offset:         56
        .size:           8
        .value_kind:     global_buffer
      - .offset:         64
        .size:           4
        .value_kind:     by_value
      - .offset:         68
        .size:           1
        .value_kind:     by_value
    .group_segment_fixed_size: 0
    .kernarg_segment_align: 8
    .kernarg_segment_size: 72
    .language:       OpenCL C
    .language_version:
      - 2
      - 0
    .max_flat_workgroup_size: 128
    .name:           _ZN9rocsparseL19gebsrmvn_4xn_kernelILj128ELj7ELj4EdEEvi20rocsparse_direction_NS_24const_host_device_scalarIT2_EEPKiS6_PKS3_S8_S4_PS3_21rocsparse_index_base_b
    .private_segment_fixed_size: 0
    .sgpr_count:     18
    .sgpr_spill_count: 0
    .symbol:         _ZN9rocsparseL19gebsrmvn_4xn_kernelILj128ELj7ELj4EdEEvi20rocsparse_direction_NS_24const_host_device_scalarIT2_EEPKiS6_PKS3_S8_S4_PS3_21rocsparse_index_base_b.kd
    .uniform_work_group_size: 1
    .uses_dynamic_stack: false
    .vgpr_count:     92
    .vgpr_spill_count: 0
    .wavefront_size: 32
    .workgroup_processor_mode: 1
  - .args:
      - .offset:         0
        .size:           4
        .value_kind:     by_value
      - .offset:         4
        .size:           4
        .value_kind:     by_value
      - .offset:         8
        .size:           8
        .value_kind:     by_value
      - .actual_access:  read_only
        .address_space:  global
        .offset:         16
        .size:           8
        .value_kind:     global_buffer
      - .actual_access:  read_only
        .address_space:  global
        .offset:         24
        .size:           8
        .value_kind:     global_buffer
      - .actual_access:  read_only
        .address_space:  global
        .offset:         32
        .size:           8
        .value_kind:     global_buffer
      - .actual_access:  read_only
        .address_space:  global
        .offset:         40
        .size:           8
        .value_kind:     global_buffer
      - .offset:         48
        .size:           8
        .value_kind:     by_value
      - .address_space:  global
        .offset:         56
        .size:           8
        .value_kind:     global_buffer
      - .offset:         64
        .size:           4
        .value_kind:     by_value
      - .offset:         68
        .size:           1
        .value_kind:     by_value
    .group_segment_fixed_size: 0
    .kernarg_segment_align: 8
    .kernarg_segment_size: 72
    .language:       OpenCL C
    .language_version:
      - 2
      - 0
    .max_flat_workgroup_size: 128
    .name:           _ZN9rocsparseL19gebsrmvn_4xn_kernelILj128ELj7ELj8EdEEvi20rocsparse_direction_NS_24const_host_device_scalarIT2_EEPKiS6_PKS3_S8_S4_PS3_21rocsparse_index_base_b
    .private_segment_fixed_size: 0
    .sgpr_count:     18
    .sgpr_spill_count: 0
    .symbol:         _ZN9rocsparseL19gebsrmvn_4xn_kernelILj128ELj7ELj8EdEEvi20rocsparse_direction_NS_24const_host_device_scalarIT2_EEPKiS6_PKS3_S8_S4_PS3_21rocsparse_index_base_b.kd
    .uniform_work_group_size: 1
    .uses_dynamic_stack: false
    .vgpr_count:     92
    .vgpr_spill_count: 0
    .wavefront_size: 32
    .workgroup_processor_mode: 1
  - .args:
      - .offset:         0
        .size:           4
        .value_kind:     by_value
      - .offset:         4
        .size:           4
        .value_kind:     by_value
      - .offset:         8
        .size:           8
        .value_kind:     by_value
      - .actual_access:  read_only
        .address_space:  global
        .offset:         16
        .size:           8
        .value_kind:     global_buffer
      - .actual_access:  read_only
        .address_space:  global
        .offset:         24
        .size:           8
        .value_kind:     global_buffer
      - .actual_access:  read_only
        .address_space:  global
        .offset:         32
        .size:           8
        .value_kind:     global_buffer
      - .actual_access:  read_only
        .address_space:  global
        .offset:         40
        .size:           8
        .value_kind:     global_buffer
      - .offset:         48
        .size:           8
        .value_kind:     by_value
      - .address_space:  global
        .offset:         56
        .size:           8
        .value_kind:     global_buffer
      - .offset:         64
        .size:           4
        .value_kind:     by_value
      - .offset:         68
        .size:           1
        .value_kind:     by_value
    .group_segment_fixed_size: 0
    .kernarg_segment_align: 8
    .kernarg_segment_size: 72
    .language:       OpenCL C
    .language_version:
      - 2
      - 0
    .max_flat_workgroup_size: 128
    .name:           _ZN9rocsparseL19gebsrmvn_4xn_kernelILj128ELj7ELj16EdEEvi20rocsparse_direction_NS_24const_host_device_scalarIT2_EEPKiS6_PKS3_S8_S4_PS3_21rocsparse_index_base_b
    .private_segment_fixed_size: 0
    .sgpr_count:     18
    .sgpr_spill_count: 0
    .symbol:         _ZN9rocsparseL19gebsrmvn_4xn_kernelILj128ELj7ELj16EdEEvi20rocsparse_direction_NS_24const_host_device_scalarIT2_EEPKiS6_PKS3_S8_S4_PS3_21rocsparse_index_base_b.kd
    .uniform_work_group_size: 1
    .uses_dynamic_stack: false
    .vgpr_count:     91
    .vgpr_spill_count: 0
    .wavefront_size: 32
    .workgroup_processor_mode: 1
  - .args:
      - .offset:         0
        .size:           4
        .value_kind:     by_value
      - .offset:         4
        .size:           4
        .value_kind:     by_value
      - .offset:         8
        .size:           8
        .value_kind:     by_value
      - .actual_access:  read_only
        .address_space:  global
        .offset:         16
        .size:           8
        .value_kind:     global_buffer
      - .actual_access:  read_only
        .address_space:  global
        .offset:         24
        .size:           8
        .value_kind:     global_buffer
      - .actual_access:  read_only
        .address_space:  global
        .offset:         32
        .size:           8
        .value_kind:     global_buffer
      - .actual_access:  read_only
        .address_space:  global
        .offset:         40
        .size:           8
        .value_kind:     global_buffer
      - .offset:         48
        .size:           8
        .value_kind:     by_value
      - .address_space:  global
        .offset:         56
        .size:           8
        .value_kind:     global_buffer
      - .offset:         64
        .size:           4
        .value_kind:     by_value
      - .offset:         68
        .size:           1
        .value_kind:     by_value
    .group_segment_fixed_size: 0
    .kernarg_segment_align: 8
    .kernarg_segment_size: 72
    .language:       OpenCL C
    .language_version:
      - 2
      - 0
    .max_flat_workgroup_size: 128
    .name:           _ZN9rocsparseL19gebsrmvn_4xn_kernelILj128ELj7ELj32EdEEvi20rocsparse_direction_NS_24const_host_device_scalarIT2_EEPKiS6_PKS3_S8_S4_PS3_21rocsparse_index_base_b
    .private_segment_fixed_size: 0
    .sgpr_count:     18
    .sgpr_spill_count: 0
    .symbol:         _ZN9rocsparseL19gebsrmvn_4xn_kernelILj128ELj7ELj32EdEEvi20rocsparse_direction_NS_24const_host_device_scalarIT2_EEPKiS6_PKS3_S8_S4_PS3_21rocsparse_index_base_b.kd
    .uniform_work_group_size: 1
    .uses_dynamic_stack: false
    .vgpr_count:     91
    .vgpr_spill_count: 0
    .wavefront_size: 32
    .workgroup_processor_mode: 1
  - .args:
      - .offset:         0
        .size:           4
        .value_kind:     by_value
      - .offset:         4
        .size:           4
        .value_kind:     by_value
      - .offset:         8
        .size:           8
        .value_kind:     by_value
      - .actual_access:  read_only
        .address_space:  global
        .offset:         16
        .size:           8
        .value_kind:     global_buffer
      - .actual_access:  read_only
        .address_space:  global
        .offset:         24
        .size:           8
        .value_kind:     global_buffer
      - .actual_access:  read_only
        .address_space:  global
        .offset:         32
        .size:           8
        .value_kind:     global_buffer
      - .actual_access:  read_only
        .address_space:  global
        .offset:         40
        .size:           8
        .value_kind:     global_buffer
      - .offset:         48
        .size:           8
        .value_kind:     by_value
      - .address_space:  global
        .offset:         56
        .size:           8
        .value_kind:     global_buffer
      - .offset:         64
        .size:           4
        .value_kind:     by_value
      - .offset:         68
        .size:           1
        .value_kind:     by_value
    .group_segment_fixed_size: 0
    .kernarg_segment_align: 8
    .kernarg_segment_size: 72
    .language:       OpenCL C
    .language_version:
      - 2
      - 0
    .max_flat_workgroup_size: 128
    .name:           _ZN9rocsparseL19gebsrmvn_4xn_kernelILj128ELj7ELj64EdEEvi20rocsparse_direction_NS_24const_host_device_scalarIT2_EEPKiS6_PKS3_S8_S4_PS3_21rocsparse_index_base_b
    .private_segment_fixed_size: 0
    .sgpr_count:     18
    .sgpr_spill_count: 0
    .symbol:         _ZN9rocsparseL19gebsrmvn_4xn_kernelILj128ELj7ELj64EdEEvi20rocsparse_direction_NS_24const_host_device_scalarIT2_EEPKiS6_PKS3_S8_S4_PS3_21rocsparse_index_base_b.kd
    .uniform_work_group_size: 1
    .uses_dynamic_stack: false
    .vgpr_count:     91
    .vgpr_spill_count: 0
    .wavefront_size: 32
    .workgroup_processor_mode: 1
  - .args:
      - .offset:         0
        .size:           4
        .value_kind:     by_value
      - .offset:         4
        .size:           4
        .value_kind:     by_value
      - .offset:         8
        .size:           8
        .value_kind:     by_value
      - .actual_access:  read_only
        .address_space:  global
        .offset:         16
        .size:           8
        .value_kind:     global_buffer
      - .actual_access:  read_only
        .address_space:  global
        .offset:         24
        .size:           8
        .value_kind:     global_buffer
      - .actual_access:  read_only
        .address_space:  global
        .offset:         32
        .size:           8
        .value_kind:     global_buffer
      - .actual_access:  read_only
        .address_space:  global
        .offset:         40
        .size:           8
        .value_kind:     global_buffer
      - .offset:         48
        .size:           8
        .value_kind:     by_value
      - .address_space:  global
        .offset:         56
        .size:           8
        .value_kind:     global_buffer
      - .offset:         64
        .size:           4
        .value_kind:     by_value
      - .offset:         68
        .size:           1
        .value_kind:     by_value
    .group_segment_fixed_size: 0
    .kernarg_segment_align: 8
    .kernarg_segment_size: 72
    .language:       OpenCL C
    .language_version:
      - 2
      - 0
    .max_flat_workgroup_size: 128
    .name:           _ZN9rocsparseL19gebsrmvn_4xn_kernelILj128ELj8ELj4EdEEvi20rocsparse_direction_NS_24const_host_device_scalarIT2_EEPKiS6_PKS3_S8_S4_PS3_21rocsparse_index_base_b
    .private_segment_fixed_size: 0
    .sgpr_count:     18
    .sgpr_spill_count: 0
    .symbol:         _ZN9rocsparseL19gebsrmvn_4xn_kernelILj128ELj8ELj4EdEEvi20rocsparse_direction_NS_24const_host_device_scalarIT2_EEPKiS6_PKS3_S8_S4_PS3_21rocsparse_index_base_b.kd
    .uniform_work_group_size: 1
    .uses_dynamic_stack: false
    .vgpr_count:     101
    .vgpr_spill_count: 0
    .wavefront_size: 32
    .workgroup_processor_mode: 1
  - .args:
      - .offset:         0
        .size:           4
        .value_kind:     by_value
      - .offset:         4
        .size:           4
        .value_kind:     by_value
      - .offset:         8
        .size:           8
        .value_kind:     by_value
      - .actual_access:  read_only
        .address_space:  global
        .offset:         16
        .size:           8
        .value_kind:     global_buffer
      - .actual_access:  read_only
        .address_space:  global
        .offset:         24
        .size:           8
        .value_kind:     global_buffer
      - .actual_access:  read_only
        .address_space:  global
        .offset:         32
        .size:           8
        .value_kind:     global_buffer
      - .actual_access:  read_only
        .address_space:  global
        .offset:         40
        .size:           8
        .value_kind:     global_buffer
      - .offset:         48
        .size:           8
        .value_kind:     by_value
      - .address_space:  global
        .offset:         56
        .size:           8
        .value_kind:     global_buffer
      - .offset:         64
        .size:           4
        .value_kind:     by_value
      - .offset:         68
        .size:           1
        .value_kind:     by_value
    .group_segment_fixed_size: 0
    .kernarg_segment_align: 8
    .kernarg_segment_size: 72
    .language:       OpenCL C
    .language_version:
      - 2
      - 0
    .max_flat_workgroup_size: 128
    .name:           _ZN9rocsparseL19gebsrmvn_4xn_kernelILj128ELj8ELj8EdEEvi20rocsparse_direction_NS_24const_host_device_scalarIT2_EEPKiS6_PKS3_S8_S4_PS3_21rocsparse_index_base_b
    .private_segment_fixed_size: 0
    .sgpr_count:     18
    .sgpr_spill_count: 0
    .symbol:         _ZN9rocsparseL19gebsrmvn_4xn_kernelILj128ELj8ELj8EdEEvi20rocsparse_direction_NS_24const_host_device_scalarIT2_EEPKiS6_PKS3_S8_S4_PS3_21rocsparse_index_base_b.kd
    .uniform_work_group_size: 1
    .uses_dynamic_stack: false
    .vgpr_count:     101
    .vgpr_spill_count: 0
    .wavefront_size: 32
    .workgroup_processor_mode: 1
  - .args:
      - .offset:         0
        .size:           4
        .value_kind:     by_value
      - .offset:         4
        .size:           4
        .value_kind:     by_value
      - .offset:         8
        .size:           8
        .value_kind:     by_value
      - .actual_access:  read_only
        .address_space:  global
        .offset:         16
        .size:           8
        .value_kind:     global_buffer
      - .actual_access:  read_only
        .address_space:  global
        .offset:         24
        .size:           8
        .value_kind:     global_buffer
      - .actual_access:  read_only
        .address_space:  global
        .offset:         32
        .size:           8
        .value_kind:     global_buffer
      - .actual_access:  read_only
        .address_space:  global
        .offset:         40
        .size:           8
        .value_kind:     global_buffer
      - .offset:         48
        .size:           8
        .value_kind:     by_value
      - .address_space:  global
        .offset:         56
        .size:           8
        .value_kind:     global_buffer
      - .offset:         64
        .size:           4
        .value_kind:     by_value
      - .offset:         68
        .size:           1
        .value_kind:     by_value
    .group_segment_fixed_size: 0
    .kernarg_segment_align: 8
    .kernarg_segment_size: 72
    .language:       OpenCL C
    .language_version:
      - 2
      - 0
    .max_flat_workgroup_size: 128
    .name:           _ZN9rocsparseL19gebsrmvn_4xn_kernelILj128ELj8ELj16EdEEvi20rocsparse_direction_NS_24const_host_device_scalarIT2_EEPKiS6_PKS3_S8_S4_PS3_21rocsparse_index_base_b
    .private_segment_fixed_size: 0
    .sgpr_count:     18
    .sgpr_spill_count: 0
    .symbol:         _ZN9rocsparseL19gebsrmvn_4xn_kernelILj128ELj8ELj16EdEEvi20rocsparse_direction_NS_24const_host_device_scalarIT2_EEPKiS6_PKS3_S8_S4_PS3_21rocsparse_index_base_b.kd
    .uniform_work_group_size: 1
    .uses_dynamic_stack: false
    .vgpr_count:     101
    .vgpr_spill_count: 0
    .wavefront_size: 32
    .workgroup_processor_mode: 1
  - .args:
      - .offset:         0
        .size:           4
        .value_kind:     by_value
      - .offset:         4
        .size:           4
        .value_kind:     by_value
      - .offset:         8
        .size:           8
        .value_kind:     by_value
      - .actual_access:  read_only
        .address_space:  global
        .offset:         16
        .size:           8
        .value_kind:     global_buffer
      - .actual_access:  read_only
        .address_space:  global
        .offset:         24
        .size:           8
        .value_kind:     global_buffer
      - .actual_access:  read_only
        .address_space:  global
        .offset:         32
        .size:           8
        .value_kind:     global_buffer
      - .actual_access:  read_only
        .address_space:  global
        .offset:         40
        .size:           8
        .value_kind:     global_buffer
      - .offset:         48
        .size:           8
        .value_kind:     by_value
      - .address_space:  global
        .offset:         56
        .size:           8
        .value_kind:     global_buffer
      - .offset:         64
        .size:           4
        .value_kind:     by_value
      - .offset:         68
        .size:           1
        .value_kind:     by_value
    .group_segment_fixed_size: 0
    .kernarg_segment_align: 8
    .kernarg_segment_size: 72
    .language:       OpenCL C
    .language_version:
      - 2
      - 0
    .max_flat_workgroup_size: 128
    .name:           _ZN9rocsparseL19gebsrmvn_4xn_kernelILj128ELj8ELj32EdEEvi20rocsparse_direction_NS_24const_host_device_scalarIT2_EEPKiS6_PKS3_S8_S4_PS3_21rocsparse_index_base_b
    .private_segment_fixed_size: 0
    .sgpr_count:     18
    .sgpr_spill_count: 0
    .symbol:         _ZN9rocsparseL19gebsrmvn_4xn_kernelILj128ELj8ELj32EdEEvi20rocsparse_direction_NS_24const_host_device_scalarIT2_EEPKiS6_PKS3_S8_S4_PS3_21rocsparse_index_base_b.kd
    .uniform_work_group_size: 1
    .uses_dynamic_stack: false
    .vgpr_count:     101
    .vgpr_spill_count: 0
    .wavefront_size: 32
    .workgroup_processor_mode: 1
  - .args:
      - .offset:         0
        .size:           4
        .value_kind:     by_value
      - .offset:         4
        .size:           4
        .value_kind:     by_value
      - .offset:         8
        .size:           8
        .value_kind:     by_value
      - .actual_access:  read_only
        .address_space:  global
        .offset:         16
        .size:           8
        .value_kind:     global_buffer
      - .actual_access:  read_only
        .address_space:  global
        .offset:         24
        .size:           8
        .value_kind:     global_buffer
      - .actual_access:  read_only
        .address_space:  global
        .offset:         32
        .size:           8
        .value_kind:     global_buffer
      - .actual_access:  read_only
        .address_space:  global
        .offset:         40
        .size:           8
        .value_kind:     global_buffer
      - .offset:         48
        .size:           8
        .value_kind:     by_value
      - .address_space:  global
        .offset:         56
        .size:           8
        .value_kind:     global_buffer
      - .offset:         64
        .size:           4
        .value_kind:     by_value
      - .offset:         68
        .size:           1
        .value_kind:     by_value
    .group_segment_fixed_size: 0
    .kernarg_segment_align: 8
    .kernarg_segment_size: 72
    .language:       OpenCL C
    .language_version:
      - 2
      - 0
    .max_flat_workgroup_size: 128
    .name:           _ZN9rocsparseL19gebsrmvn_4xn_kernelILj128ELj8ELj64EdEEvi20rocsparse_direction_NS_24const_host_device_scalarIT2_EEPKiS6_PKS3_S8_S4_PS3_21rocsparse_index_base_b
    .private_segment_fixed_size: 0
    .sgpr_count:     18
    .sgpr_spill_count: 0
    .symbol:         _ZN9rocsparseL19gebsrmvn_4xn_kernelILj128ELj8ELj64EdEEvi20rocsparse_direction_NS_24const_host_device_scalarIT2_EEPKiS6_PKS3_S8_S4_PS3_21rocsparse_index_base_b.kd
    .uniform_work_group_size: 1
    .uses_dynamic_stack: false
    .vgpr_count:     100
    .vgpr_spill_count: 0
    .wavefront_size: 32
    .workgroup_processor_mode: 1
  - .args:
      - .offset:         0
        .size:           4
        .value_kind:     by_value
      - .offset:         4
        .size:           4
        .value_kind:     by_value
      - .offset:         8
        .size:           8
        .value_kind:     by_value
      - .actual_access:  read_only
        .address_space:  global
        .offset:         16
        .size:           8
        .value_kind:     global_buffer
      - .actual_access:  read_only
        .address_space:  global
        .offset:         24
        .size:           8
        .value_kind:     global_buffer
      - .actual_access:  read_only
        .address_space:  global
        .offset:         32
        .size:           8
        .value_kind:     global_buffer
      - .offset:         40
        .size:           4
        .value_kind:     by_value
      - .offset:         44
        .size:           4
        .value_kind:     by_value
      - .actual_access:  read_only
        .address_space:  global
        .offset:         48
        .size:           8
        .value_kind:     global_buffer
      - .offset:         56
        .size:           8
        .value_kind:     by_value
      - .address_space:  global
        .offset:         64
        .size:           8
        .value_kind:     global_buffer
      - .offset:         72
        .size:           4
        .value_kind:     by_value
      - .offset:         76
        .size:           1
        .value_kind:     by_value
    .group_segment_fixed_size: 0
    .kernarg_segment_align: 8
    .kernarg_segment_size: 80
    .language:       OpenCL C
    .language_version:
      - 2
      - 0
    .max_flat_workgroup_size: 64
    .name:           _ZN9rocsparseL23gebsrmvn_general_kernelILj64ELj16EdEEvi20rocsparse_direction_NS_24const_host_device_scalarIT1_EEPKiS6_PKS3_iiS8_S4_PS3_21rocsparse_index_base_b
    .private_segment_fixed_size: 0
    .sgpr_count:     30
    .sgpr_spill_count: 0
    .symbol:         _ZN9rocsparseL23gebsrmvn_general_kernelILj64ELj16EdEEvi20rocsparse_direction_NS_24const_host_device_scalarIT1_EEPKiS6_PKS3_iiS8_S4_PS3_21rocsparse_index_base_b.kd
    .uniform_work_group_size: 1
    .uses_dynamic_stack: false
    .vgpr_count:     19
    .vgpr_spill_count: 0
    .wavefront_size: 32
    .workgroup_processor_mode: 1
  - .args:
      - .offset:         0
        .size:           4
        .value_kind:     by_value
      - .offset:         4
        .size:           4
        .value_kind:     by_value
      - .offset:         8
        .size:           8
        .value_kind:     by_value
      - .actual_access:  read_only
        .address_space:  global
        .offset:         16
        .size:           8
        .value_kind:     global_buffer
      - .actual_access:  read_only
        .address_space:  global
        .offset:         24
        .size:           8
        .value_kind:     global_buffer
      - .actual_access:  read_only
        .address_space:  global
        .offset:         32
        .size:           8
        .value_kind:     global_buffer
      - .offset:         40
        .size:           4
        .value_kind:     by_value
      - .offset:         44
        .size:           4
        .value_kind:     by_value
      - .actual_access:  read_only
        .address_space:  global
        .offset:         48
        .size:           8
        .value_kind:     global_buffer
      - .offset:         56
        .size:           8
        .value_kind:     by_value
      - .address_space:  global
        .offset:         64
        .size:           8
        .value_kind:     global_buffer
      - .offset:         72
        .size:           4
        .value_kind:     by_value
      - .offset:         76
        .size:           1
        .value_kind:     by_value
    .group_segment_fixed_size: 0
    .kernarg_segment_align: 8
    .kernarg_segment_size: 80
    .language:       OpenCL C
    .language_version:
      - 2
      - 0
    .max_flat_workgroup_size: 128
    .name:           _ZN9rocsparseL23gebsrmvn_general_kernelILj128ELj32EdEEvi20rocsparse_direction_NS_24const_host_device_scalarIT1_EEPKiS6_PKS3_iiS8_S4_PS3_21rocsparse_index_base_b
    .private_segment_fixed_size: 0
    .sgpr_count:     30
    .sgpr_spill_count: 0
    .symbol:         _ZN9rocsparseL23gebsrmvn_general_kernelILj128ELj32EdEEvi20rocsparse_direction_NS_24const_host_device_scalarIT1_EEPKiS6_PKS3_iiS8_S4_PS3_21rocsparse_index_base_b.kd
    .uniform_work_group_size: 1
    .uses_dynamic_stack: false
    .vgpr_count:     20
    .vgpr_spill_count: 0
    .wavefront_size: 32
    .workgroup_processor_mode: 1
  - .args:
      - .offset:         0
        .size:           4
        .value_kind:     by_value
      - .offset:         4
        .size:           4
        .value_kind:     by_value
      - .offset:         8
        .size:           8
        .value_kind:     by_value
      - .actual_access:  read_only
        .address_space:  global
        .offset:         16
        .size:           8
        .value_kind:     global_buffer
      - .actual_access:  read_only
        .address_space:  global
        .offset:         24
        .size:           8
        .value_kind:     global_buffer
      - .actual_access:  read_only
        .address_space:  global
        .offset:         32
        .size:           8
        .value_kind:     global_buffer
      - .actual_access:  read_only
        .address_space:  global
        .offset:         40
        .size:           8
        .value_kind:     global_buffer
      - .offset:         48
        .size:           8
        .value_kind:     by_value
      - .address_space:  global
        .offset:         56
        .size:           8
        .value_kind:     global_buffer
      - .offset:         64
        .size:           4
        .value_kind:     by_value
      - .offset:         68
        .size:           1
        .value_kind:     by_value
    .group_segment_fixed_size: 0
    .kernarg_segment_align: 8
    .kernarg_segment_size: 72
    .language:       OpenCL C
    .language_version:
      - 2
      - 0
    .max_flat_workgroup_size: 128
    .name:           _ZN9rocsparseL19gebsrmvn_4xn_kernelILj128ELj1ELj4E21rocsparse_complex_numIfEEEvi20rocsparse_direction_NS_24const_host_device_scalarIT2_EEPKiS8_PKS5_SA_S6_PS5_21rocsparse_index_base_b
    .private_segment_fixed_size: 0
    .sgpr_count:     18
    .sgpr_spill_count: 0
    .symbol:         _ZN9rocsparseL19gebsrmvn_4xn_kernelILj128ELj1ELj4E21rocsparse_complex_numIfEEEvi20rocsparse_direction_NS_24const_host_device_scalarIT2_EEPKiS8_PKS5_SA_S6_PS5_21rocsparse_index_base_b.kd
    .uniform_work_group_size: 1
    .uses_dynamic_stack: false
    .vgpr_count:     31
    .vgpr_spill_count: 0
    .wavefront_size: 32
    .workgroup_processor_mode: 1
  - .args:
      - .offset:         0
        .size:           4
        .value_kind:     by_value
      - .offset:         4
        .size:           4
        .value_kind:     by_value
      - .offset:         8
        .size:           8
        .value_kind:     by_value
      - .actual_access:  read_only
        .address_space:  global
        .offset:         16
        .size:           8
        .value_kind:     global_buffer
      - .actual_access:  read_only
        .address_space:  global
        .offset:         24
        .size:           8
        .value_kind:     global_buffer
      - .actual_access:  read_only
        .address_space:  global
        .offset:         32
        .size:           8
        .value_kind:     global_buffer
      - .actual_access:  read_only
        .address_space:  global
        .offset:         40
        .size:           8
        .value_kind:     global_buffer
      - .offset:         48
        .size:           8
        .value_kind:     by_value
      - .address_space:  global
        .offset:         56
        .size:           8
        .value_kind:     global_buffer
      - .offset:         64
        .size:           4
        .value_kind:     by_value
      - .offset:         68
        .size:           1
        .value_kind:     by_value
    .group_segment_fixed_size: 0
    .kernarg_segment_align: 8
    .kernarg_segment_size: 72
    .language:       OpenCL C
    .language_version:
      - 2
      - 0
    .max_flat_workgroup_size: 128
    .name:           _ZN9rocsparseL19gebsrmvn_4xn_kernelILj128ELj1ELj8E21rocsparse_complex_numIfEEEvi20rocsparse_direction_NS_24const_host_device_scalarIT2_EEPKiS8_PKS5_SA_S6_PS5_21rocsparse_index_base_b
    .private_segment_fixed_size: 0
    .sgpr_count:     18
    .sgpr_spill_count: 0
    .symbol:         _ZN9rocsparseL19gebsrmvn_4xn_kernelILj128ELj1ELj8E21rocsparse_complex_numIfEEEvi20rocsparse_direction_NS_24const_host_device_scalarIT2_EEPKiS8_PKS5_SA_S6_PS5_21rocsparse_index_base_b.kd
    .uniform_work_group_size: 1
    .uses_dynamic_stack: false
    .vgpr_count:     31
    .vgpr_spill_count: 0
    .wavefront_size: 32
    .workgroup_processor_mode: 1
  - .args:
      - .offset:         0
        .size:           4
        .value_kind:     by_value
      - .offset:         4
        .size:           4
        .value_kind:     by_value
      - .offset:         8
        .size:           8
        .value_kind:     by_value
      - .actual_access:  read_only
        .address_space:  global
        .offset:         16
        .size:           8
        .value_kind:     global_buffer
      - .actual_access:  read_only
        .address_space:  global
        .offset:         24
        .size:           8
        .value_kind:     global_buffer
      - .actual_access:  read_only
        .address_space:  global
        .offset:         32
        .size:           8
        .value_kind:     global_buffer
      - .actual_access:  read_only
        .address_space:  global
        .offset:         40
        .size:           8
        .value_kind:     global_buffer
      - .offset:         48
        .size:           8
        .value_kind:     by_value
      - .address_space:  global
        .offset:         56
        .size:           8
        .value_kind:     global_buffer
      - .offset:         64
        .size:           4
        .value_kind:     by_value
      - .offset:         68
        .size:           1
        .value_kind:     by_value
    .group_segment_fixed_size: 0
    .kernarg_segment_align: 8
    .kernarg_segment_size: 72
    .language:       OpenCL C
    .language_version:
      - 2
      - 0
    .max_flat_workgroup_size: 128
    .name:           _ZN9rocsparseL19gebsrmvn_4xn_kernelILj128ELj1ELj16E21rocsparse_complex_numIfEEEvi20rocsparse_direction_NS_24const_host_device_scalarIT2_EEPKiS8_PKS5_SA_S6_PS5_21rocsparse_index_base_b
    .private_segment_fixed_size: 0
    .sgpr_count:     18
    .sgpr_spill_count: 0
    .symbol:         _ZN9rocsparseL19gebsrmvn_4xn_kernelILj128ELj1ELj16E21rocsparse_complex_numIfEEEvi20rocsparse_direction_NS_24const_host_device_scalarIT2_EEPKiS8_PKS5_SA_S6_PS5_21rocsparse_index_base_b.kd
    .uniform_work_group_size: 1
    .uses_dynamic_stack: false
    .vgpr_count:     31
    .vgpr_spill_count: 0
    .wavefront_size: 32
    .workgroup_processor_mode: 1
  - .args:
      - .offset:         0
        .size:           4
        .value_kind:     by_value
      - .offset:         4
        .size:           4
        .value_kind:     by_value
      - .offset:         8
        .size:           8
        .value_kind:     by_value
      - .actual_access:  read_only
        .address_space:  global
        .offset:         16
        .size:           8
        .value_kind:     global_buffer
      - .actual_access:  read_only
        .address_space:  global
        .offset:         24
        .size:           8
        .value_kind:     global_buffer
      - .actual_access:  read_only
        .address_space:  global
        .offset:         32
        .size:           8
        .value_kind:     global_buffer
      - .actual_access:  read_only
        .address_space:  global
        .offset:         40
        .size:           8
        .value_kind:     global_buffer
      - .offset:         48
        .size:           8
        .value_kind:     by_value
      - .address_space:  global
        .offset:         56
        .size:           8
        .value_kind:     global_buffer
      - .offset:         64
        .size:           4
        .value_kind:     by_value
      - .offset:         68
        .size:           1
        .value_kind:     by_value
    .group_segment_fixed_size: 0
    .kernarg_segment_align: 8
    .kernarg_segment_size: 72
    .language:       OpenCL C
    .language_version:
      - 2
      - 0
    .max_flat_workgroup_size: 128
    .name:           _ZN9rocsparseL19gebsrmvn_4xn_kernelILj128ELj1ELj32E21rocsparse_complex_numIfEEEvi20rocsparse_direction_NS_24const_host_device_scalarIT2_EEPKiS8_PKS5_SA_S6_PS5_21rocsparse_index_base_b
    .private_segment_fixed_size: 0
    .sgpr_count:     18
    .sgpr_spill_count: 0
    .symbol:         _ZN9rocsparseL19gebsrmvn_4xn_kernelILj128ELj1ELj32E21rocsparse_complex_numIfEEEvi20rocsparse_direction_NS_24const_host_device_scalarIT2_EEPKiS8_PKS5_SA_S6_PS5_21rocsparse_index_base_b.kd
    .uniform_work_group_size: 1
    .uses_dynamic_stack: false
    .vgpr_count:     31
    .vgpr_spill_count: 0
    .wavefront_size: 32
    .workgroup_processor_mode: 1
  - .args:
      - .offset:         0
        .size:           4
        .value_kind:     by_value
      - .offset:         4
        .size:           4
        .value_kind:     by_value
      - .offset:         8
        .size:           8
        .value_kind:     by_value
      - .actual_access:  read_only
        .address_space:  global
        .offset:         16
        .size:           8
        .value_kind:     global_buffer
      - .actual_access:  read_only
        .address_space:  global
        .offset:         24
        .size:           8
        .value_kind:     global_buffer
      - .actual_access:  read_only
        .address_space:  global
        .offset:         32
        .size:           8
        .value_kind:     global_buffer
      - .actual_access:  read_only
        .address_space:  global
        .offset:         40
        .size:           8
        .value_kind:     global_buffer
      - .offset:         48
        .size:           8
        .value_kind:     by_value
      - .address_space:  global
        .offset:         56
        .size:           8
        .value_kind:     global_buffer
      - .offset:         64
        .size:           4
        .value_kind:     by_value
      - .offset:         68
        .size:           1
        .value_kind:     by_value
    .group_segment_fixed_size: 0
    .kernarg_segment_align: 8
    .kernarg_segment_size: 72
    .language:       OpenCL C
    .language_version:
      - 2
      - 0
    .max_flat_workgroup_size: 128
    .name:           _ZN9rocsparseL19gebsrmvn_4xn_kernelILj128ELj1ELj64E21rocsparse_complex_numIfEEEvi20rocsparse_direction_NS_24const_host_device_scalarIT2_EEPKiS8_PKS5_SA_S6_PS5_21rocsparse_index_base_b
    .private_segment_fixed_size: 0
    .sgpr_count:     18
    .sgpr_spill_count: 0
    .symbol:         _ZN9rocsparseL19gebsrmvn_4xn_kernelILj128ELj1ELj64E21rocsparse_complex_numIfEEEvi20rocsparse_direction_NS_24const_host_device_scalarIT2_EEPKiS8_PKS5_SA_S6_PS5_21rocsparse_index_base_b.kd
    .uniform_work_group_size: 1
    .uses_dynamic_stack: false
    .vgpr_count:     31
    .vgpr_spill_count: 0
    .wavefront_size: 32
    .workgroup_processor_mode: 1
  - .args:
      - .offset:         0
        .size:           4
        .value_kind:     by_value
      - .offset:         4
        .size:           4
        .value_kind:     by_value
      - .offset:         8
        .size:           8
        .value_kind:     by_value
      - .actual_access:  read_only
        .address_space:  global
        .offset:         16
        .size:           8
        .value_kind:     global_buffer
      - .actual_access:  read_only
        .address_space:  global
        .offset:         24
        .size:           8
        .value_kind:     global_buffer
      - .actual_access:  read_only
        .address_space:  global
        .offset:         32
        .size:           8
        .value_kind:     global_buffer
      - .actual_access:  read_only
        .address_space:  global
        .offset:         40
        .size:           8
        .value_kind:     global_buffer
      - .offset:         48
        .size:           8
        .value_kind:     by_value
      - .address_space:  global
        .offset:         56
        .size:           8
        .value_kind:     global_buffer
      - .offset:         64
        .size:           4
        .value_kind:     by_value
      - .offset:         68
        .size:           1
        .value_kind:     by_value
    .group_segment_fixed_size: 0
    .kernarg_segment_align: 8
    .kernarg_segment_size: 72
    .language:       OpenCL C
    .language_version:
      - 2
      - 0
    .max_flat_workgroup_size: 128
    .name:           _ZN9rocsparseL19gebsrmvn_4xn_kernelILj128ELj2ELj4E21rocsparse_complex_numIfEEEvi20rocsparse_direction_NS_24const_host_device_scalarIT2_EEPKiS8_PKS5_SA_S6_PS5_21rocsparse_index_base_b
    .private_segment_fixed_size: 0
    .sgpr_count:     18
    .sgpr_spill_count: 0
    .symbol:         _ZN9rocsparseL19gebsrmvn_4xn_kernelILj128ELj2ELj4E21rocsparse_complex_numIfEEEvi20rocsparse_direction_NS_24const_host_device_scalarIT2_EEPKiS8_PKS5_SA_S6_PS5_21rocsparse_index_base_b.kd
    .uniform_work_group_size: 1
    .uses_dynamic_stack: false
    .vgpr_count:     40
    .vgpr_spill_count: 0
    .wavefront_size: 32
    .workgroup_processor_mode: 1
  - .args:
      - .offset:         0
        .size:           4
        .value_kind:     by_value
      - .offset:         4
        .size:           4
        .value_kind:     by_value
      - .offset:         8
        .size:           8
        .value_kind:     by_value
      - .actual_access:  read_only
        .address_space:  global
        .offset:         16
        .size:           8
        .value_kind:     global_buffer
      - .actual_access:  read_only
        .address_space:  global
        .offset:         24
        .size:           8
        .value_kind:     global_buffer
      - .actual_access:  read_only
        .address_space:  global
        .offset:         32
        .size:           8
        .value_kind:     global_buffer
      - .actual_access:  read_only
        .address_space:  global
        .offset:         40
        .size:           8
        .value_kind:     global_buffer
      - .offset:         48
        .size:           8
        .value_kind:     by_value
      - .address_space:  global
        .offset:         56
        .size:           8
        .value_kind:     global_buffer
      - .offset:         64
        .size:           4
        .value_kind:     by_value
      - .offset:         68
        .size:           1
        .value_kind:     by_value
    .group_segment_fixed_size: 0
    .kernarg_segment_align: 8
    .kernarg_segment_size: 72
    .language:       OpenCL C
    .language_version:
      - 2
      - 0
    .max_flat_workgroup_size: 128
    .name:           _ZN9rocsparseL19gebsrmvn_4xn_kernelILj128ELj2ELj8E21rocsparse_complex_numIfEEEvi20rocsparse_direction_NS_24const_host_device_scalarIT2_EEPKiS8_PKS5_SA_S6_PS5_21rocsparse_index_base_b
    .private_segment_fixed_size: 0
    .sgpr_count:     18
    .sgpr_spill_count: 0
    .symbol:         _ZN9rocsparseL19gebsrmvn_4xn_kernelILj128ELj2ELj8E21rocsparse_complex_numIfEEEvi20rocsparse_direction_NS_24const_host_device_scalarIT2_EEPKiS8_PKS5_SA_S6_PS5_21rocsparse_index_base_b.kd
    .uniform_work_group_size: 1
    .uses_dynamic_stack: false
    .vgpr_count:     40
    .vgpr_spill_count: 0
    .wavefront_size: 32
    .workgroup_processor_mode: 1
  - .args:
      - .offset:         0
        .size:           4
        .value_kind:     by_value
      - .offset:         4
        .size:           4
        .value_kind:     by_value
      - .offset:         8
        .size:           8
        .value_kind:     by_value
      - .actual_access:  read_only
        .address_space:  global
        .offset:         16
        .size:           8
        .value_kind:     global_buffer
      - .actual_access:  read_only
        .address_space:  global
        .offset:         24
        .size:           8
        .value_kind:     global_buffer
      - .actual_access:  read_only
        .address_space:  global
        .offset:         32
        .size:           8
        .value_kind:     global_buffer
      - .actual_access:  read_only
        .address_space:  global
        .offset:         40
        .size:           8
        .value_kind:     global_buffer
      - .offset:         48
        .size:           8
        .value_kind:     by_value
      - .address_space:  global
        .offset:         56
        .size:           8
        .value_kind:     global_buffer
      - .offset:         64
        .size:           4
        .value_kind:     by_value
      - .offset:         68
        .size:           1
        .value_kind:     by_value
    .group_segment_fixed_size: 0
    .kernarg_segment_align: 8
    .kernarg_segment_size: 72
    .language:       OpenCL C
    .language_version:
      - 2
      - 0
    .max_flat_workgroup_size: 128
    .name:           _ZN9rocsparseL19gebsrmvn_4xn_kernelILj128ELj2ELj16E21rocsparse_complex_numIfEEEvi20rocsparse_direction_NS_24const_host_device_scalarIT2_EEPKiS8_PKS5_SA_S6_PS5_21rocsparse_index_base_b
    .private_segment_fixed_size: 0
    .sgpr_count:     18
    .sgpr_spill_count: 0
    .symbol:         _ZN9rocsparseL19gebsrmvn_4xn_kernelILj128ELj2ELj16E21rocsparse_complex_numIfEEEvi20rocsparse_direction_NS_24const_host_device_scalarIT2_EEPKiS8_PKS5_SA_S6_PS5_21rocsparse_index_base_b.kd
    .uniform_work_group_size: 1
    .uses_dynamic_stack: false
    .vgpr_count:     40
    .vgpr_spill_count: 0
    .wavefront_size: 32
    .workgroup_processor_mode: 1
  - .args:
      - .offset:         0
        .size:           4
        .value_kind:     by_value
      - .offset:         4
        .size:           4
        .value_kind:     by_value
      - .offset:         8
        .size:           8
        .value_kind:     by_value
      - .actual_access:  read_only
        .address_space:  global
        .offset:         16
        .size:           8
        .value_kind:     global_buffer
      - .actual_access:  read_only
        .address_space:  global
        .offset:         24
        .size:           8
        .value_kind:     global_buffer
      - .actual_access:  read_only
        .address_space:  global
        .offset:         32
        .size:           8
        .value_kind:     global_buffer
      - .actual_access:  read_only
        .address_space:  global
        .offset:         40
        .size:           8
        .value_kind:     global_buffer
      - .offset:         48
        .size:           8
        .value_kind:     by_value
      - .address_space:  global
        .offset:         56
        .size:           8
        .value_kind:     global_buffer
      - .offset:         64
        .size:           4
        .value_kind:     by_value
      - .offset:         68
        .size:           1
        .value_kind:     by_value
    .group_segment_fixed_size: 0
    .kernarg_segment_align: 8
    .kernarg_segment_size: 72
    .language:       OpenCL C
    .language_version:
      - 2
      - 0
    .max_flat_workgroup_size: 128
    .name:           _ZN9rocsparseL19gebsrmvn_4xn_kernelILj128ELj2ELj32E21rocsparse_complex_numIfEEEvi20rocsparse_direction_NS_24const_host_device_scalarIT2_EEPKiS8_PKS5_SA_S6_PS5_21rocsparse_index_base_b
    .private_segment_fixed_size: 0
    .sgpr_count:     18
    .sgpr_spill_count: 0
    .symbol:         _ZN9rocsparseL19gebsrmvn_4xn_kernelILj128ELj2ELj32E21rocsparse_complex_numIfEEEvi20rocsparse_direction_NS_24const_host_device_scalarIT2_EEPKiS8_PKS5_SA_S6_PS5_21rocsparse_index_base_b.kd
    .uniform_work_group_size: 1
    .uses_dynamic_stack: false
    .vgpr_count:     40
    .vgpr_spill_count: 0
    .wavefront_size: 32
    .workgroup_processor_mode: 1
  - .args:
      - .offset:         0
        .size:           4
        .value_kind:     by_value
      - .offset:         4
        .size:           4
        .value_kind:     by_value
      - .offset:         8
        .size:           8
        .value_kind:     by_value
      - .actual_access:  read_only
        .address_space:  global
        .offset:         16
        .size:           8
        .value_kind:     global_buffer
      - .actual_access:  read_only
        .address_space:  global
        .offset:         24
        .size:           8
        .value_kind:     global_buffer
      - .actual_access:  read_only
        .address_space:  global
        .offset:         32
        .size:           8
        .value_kind:     global_buffer
      - .actual_access:  read_only
        .address_space:  global
        .offset:         40
        .size:           8
        .value_kind:     global_buffer
      - .offset:         48
        .size:           8
        .value_kind:     by_value
      - .address_space:  global
        .offset:         56
        .size:           8
        .value_kind:     global_buffer
      - .offset:         64
        .size:           4
        .value_kind:     by_value
      - .offset:         68
        .size:           1
        .value_kind:     by_value
    .group_segment_fixed_size: 0
    .kernarg_segment_align: 8
    .kernarg_segment_size: 72
    .language:       OpenCL C
    .language_version:
      - 2
      - 0
    .max_flat_workgroup_size: 128
    .name:           _ZN9rocsparseL19gebsrmvn_4xn_kernelILj128ELj2ELj64E21rocsparse_complex_numIfEEEvi20rocsparse_direction_NS_24const_host_device_scalarIT2_EEPKiS8_PKS5_SA_S6_PS5_21rocsparse_index_base_b
    .private_segment_fixed_size: 0
    .sgpr_count:     18
    .sgpr_spill_count: 0
    .symbol:         _ZN9rocsparseL19gebsrmvn_4xn_kernelILj128ELj2ELj64E21rocsparse_complex_numIfEEEvi20rocsparse_direction_NS_24const_host_device_scalarIT2_EEPKiS8_PKS5_SA_S6_PS5_21rocsparse_index_base_b.kd
    .uniform_work_group_size: 1
    .uses_dynamic_stack: false
    .vgpr_count:     40
    .vgpr_spill_count: 0
    .wavefront_size: 32
    .workgroup_processor_mode: 1
  - .args:
      - .offset:         0
        .size:           4
        .value_kind:     by_value
      - .offset:         4
        .size:           4
        .value_kind:     by_value
      - .offset:         8
        .size:           8
        .value_kind:     by_value
      - .actual_access:  read_only
        .address_space:  global
        .offset:         16
        .size:           8
        .value_kind:     global_buffer
      - .actual_access:  read_only
        .address_space:  global
        .offset:         24
        .size:           8
        .value_kind:     global_buffer
      - .actual_access:  read_only
        .address_space:  global
        .offset:         32
        .size:           8
        .value_kind:     global_buffer
      - .actual_access:  read_only
        .address_space:  global
        .offset:         40
        .size:           8
        .value_kind:     global_buffer
      - .offset:         48
        .size:           8
        .value_kind:     by_value
      - .address_space:  global
        .offset:         56
        .size:           8
        .value_kind:     global_buffer
      - .offset:         64
        .size:           4
        .value_kind:     by_value
      - .offset:         68
        .size:           1
        .value_kind:     by_value
    .group_segment_fixed_size: 0
    .kernarg_segment_align: 8
    .kernarg_segment_size: 72
    .language:       OpenCL C
    .language_version:
      - 2
      - 0
    .max_flat_workgroup_size: 128
    .name:           _ZN9rocsparseL19gebsrmvn_4xn_kernelILj128ELj3ELj4E21rocsparse_complex_numIfEEEvi20rocsparse_direction_NS_24const_host_device_scalarIT2_EEPKiS8_PKS5_SA_S6_PS5_21rocsparse_index_base_b
    .private_segment_fixed_size: 0
    .sgpr_count:     18
    .sgpr_spill_count: 0
    .symbol:         _ZN9rocsparseL19gebsrmvn_4xn_kernelILj128ELj3ELj4E21rocsparse_complex_numIfEEEvi20rocsparse_direction_NS_24const_host_device_scalarIT2_EEPKiS8_PKS5_SA_S6_PS5_21rocsparse_index_base_b.kd
    .uniform_work_group_size: 1
    .uses_dynamic_stack: false
    .vgpr_count:     51
    .vgpr_spill_count: 0
    .wavefront_size: 32
    .workgroup_processor_mode: 1
  - .args:
      - .offset:         0
        .size:           4
        .value_kind:     by_value
      - .offset:         4
        .size:           4
        .value_kind:     by_value
      - .offset:         8
        .size:           8
        .value_kind:     by_value
      - .actual_access:  read_only
        .address_space:  global
        .offset:         16
        .size:           8
        .value_kind:     global_buffer
      - .actual_access:  read_only
        .address_space:  global
        .offset:         24
        .size:           8
        .value_kind:     global_buffer
      - .actual_access:  read_only
        .address_space:  global
        .offset:         32
        .size:           8
        .value_kind:     global_buffer
      - .actual_access:  read_only
        .address_space:  global
        .offset:         40
        .size:           8
        .value_kind:     global_buffer
      - .offset:         48
        .size:           8
        .value_kind:     by_value
      - .address_space:  global
        .offset:         56
        .size:           8
        .value_kind:     global_buffer
      - .offset:         64
        .size:           4
        .value_kind:     by_value
      - .offset:         68
        .size:           1
        .value_kind:     by_value
    .group_segment_fixed_size: 0
    .kernarg_segment_align: 8
    .kernarg_segment_size: 72
    .language:       OpenCL C
    .language_version:
      - 2
      - 0
    .max_flat_workgroup_size: 128
    .name:           _ZN9rocsparseL19gebsrmvn_4xn_kernelILj128ELj3ELj8E21rocsparse_complex_numIfEEEvi20rocsparse_direction_NS_24const_host_device_scalarIT2_EEPKiS8_PKS5_SA_S6_PS5_21rocsparse_index_base_b
    .private_segment_fixed_size: 0
    .sgpr_count:     18
    .sgpr_spill_count: 0
    .symbol:         _ZN9rocsparseL19gebsrmvn_4xn_kernelILj128ELj3ELj8E21rocsparse_complex_numIfEEEvi20rocsparse_direction_NS_24const_host_device_scalarIT2_EEPKiS8_PKS5_SA_S6_PS5_21rocsparse_index_base_b.kd
    .uniform_work_group_size: 1
    .uses_dynamic_stack: false
    .vgpr_count:     51
    .vgpr_spill_count: 0
    .wavefront_size: 32
    .workgroup_processor_mode: 1
  - .args:
      - .offset:         0
        .size:           4
        .value_kind:     by_value
      - .offset:         4
        .size:           4
        .value_kind:     by_value
      - .offset:         8
        .size:           8
        .value_kind:     by_value
      - .actual_access:  read_only
        .address_space:  global
        .offset:         16
        .size:           8
        .value_kind:     global_buffer
      - .actual_access:  read_only
        .address_space:  global
        .offset:         24
        .size:           8
        .value_kind:     global_buffer
      - .actual_access:  read_only
        .address_space:  global
        .offset:         32
        .size:           8
        .value_kind:     global_buffer
      - .actual_access:  read_only
        .address_space:  global
        .offset:         40
        .size:           8
        .value_kind:     global_buffer
      - .offset:         48
        .size:           8
        .value_kind:     by_value
      - .address_space:  global
        .offset:         56
        .size:           8
        .value_kind:     global_buffer
      - .offset:         64
        .size:           4
        .value_kind:     by_value
      - .offset:         68
        .size:           1
        .value_kind:     by_value
    .group_segment_fixed_size: 0
    .kernarg_segment_align: 8
    .kernarg_segment_size: 72
    .language:       OpenCL C
    .language_version:
      - 2
      - 0
    .max_flat_workgroup_size: 128
    .name:           _ZN9rocsparseL19gebsrmvn_4xn_kernelILj128ELj3ELj16E21rocsparse_complex_numIfEEEvi20rocsparse_direction_NS_24const_host_device_scalarIT2_EEPKiS8_PKS5_SA_S6_PS5_21rocsparse_index_base_b
    .private_segment_fixed_size: 0
    .sgpr_count:     18
    .sgpr_spill_count: 0
    .symbol:         _ZN9rocsparseL19gebsrmvn_4xn_kernelILj128ELj3ELj16E21rocsparse_complex_numIfEEEvi20rocsparse_direction_NS_24const_host_device_scalarIT2_EEPKiS8_PKS5_SA_S6_PS5_21rocsparse_index_base_b.kd
    .uniform_work_group_size: 1
    .uses_dynamic_stack: false
    .vgpr_count:     51
    .vgpr_spill_count: 0
    .wavefront_size: 32
    .workgroup_processor_mode: 1
  - .args:
      - .offset:         0
        .size:           4
        .value_kind:     by_value
      - .offset:         4
        .size:           4
        .value_kind:     by_value
      - .offset:         8
        .size:           8
        .value_kind:     by_value
      - .actual_access:  read_only
        .address_space:  global
        .offset:         16
        .size:           8
        .value_kind:     global_buffer
      - .actual_access:  read_only
        .address_space:  global
        .offset:         24
        .size:           8
        .value_kind:     global_buffer
      - .actual_access:  read_only
        .address_space:  global
        .offset:         32
        .size:           8
        .value_kind:     global_buffer
      - .actual_access:  read_only
        .address_space:  global
        .offset:         40
        .size:           8
        .value_kind:     global_buffer
      - .offset:         48
        .size:           8
        .value_kind:     by_value
      - .address_space:  global
        .offset:         56
        .size:           8
        .value_kind:     global_buffer
      - .offset:         64
        .size:           4
        .value_kind:     by_value
      - .offset:         68
        .size:           1
        .value_kind:     by_value
    .group_segment_fixed_size: 0
    .kernarg_segment_align: 8
    .kernarg_segment_size: 72
    .language:       OpenCL C
    .language_version:
      - 2
      - 0
    .max_flat_workgroup_size: 128
    .name:           _ZN9rocsparseL19gebsrmvn_4xn_kernelILj128ELj3ELj32E21rocsparse_complex_numIfEEEvi20rocsparse_direction_NS_24const_host_device_scalarIT2_EEPKiS8_PKS5_SA_S6_PS5_21rocsparse_index_base_b
    .private_segment_fixed_size: 0
    .sgpr_count:     18
    .sgpr_spill_count: 0
    .symbol:         _ZN9rocsparseL19gebsrmvn_4xn_kernelILj128ELj3ELj32E21rocsparse_complex_numIfEEEvi20rocsparse_direction_NS_24const_host_device_scalarIT2_EEPKiS8_PKS5_SA_S6_PS5_21rocsparse_index_base_b.kd
    .uniform_work_group_size: 1
    .uses_dynamic_stack: false
    .vgpr_count:     51
    .vgpr_spill_count: 0
    .wavefront_size: 32
    .workgroup_processor_mode: 1
  - .args:
      - .offset:         0
        .size:           4
        .value_kind:     by_value
      - .offset:         4
        .size:           4
        .value_kind:     by_value
      - .offset:         8
        .size:           8
        .value_kind:     by_value
      - .actual_access:  read_only
        .address_space:  global
        .offset:         16
        .size:           8
        .value_kind:     global_buffer
      - .actual_access:  read_only
        .address_space:  global
        .offset:         24
        .size:           8
        .value_kind:     global_buffer
      - .actual_access:  read_only
        .address_space:  global
        .offset:         32
        .size:           8
        .value_kind:     global_buffer
      - .actual_access:  read_only
        .address_space:  global
        .offset:         40
        .size:           8
        .value_kind:     global_buffer
      - .offset:         48
        .size:           8
        .value_kind:     by_value
      - .address_space:  global
        .offset:         56
        .size:           8
        .value_kind:     global_buffer
      - .offset:         64
        .size:           4
        .value_kind:     by_value
      - .offset:         68
        .size:           1
        .value_kind:     by_value
    .group_segment_fixed_size: 0
    .kernarg_segment_align: 8
    .kernarg_segment_size: 72
    .language:       OpenCL C
    .language_version:
      - 2
      - 0
    .max_flat_workgroup_size: 128
    .name:           _ZN9rocsparseL19gebsrmvn_4xn_kernelILj128ELj3ELj64E21rocsparse_complex_numIfEEEvi20rocsparse_direction_NS_24const_host_device_scalarIT2_EEPKiS8_PKS5_SA_S6_PS5_21rocsparse_index_base_b
    .private_segment_fixed_size: 0
    .sgpr_count:     18
    .sgpr_spill_count: 0
    .symbol:         _ZN9rocsparseL19gebsrmvn_4xn_kernelILj128ELj3ELj64E21rocsparse_complex_numIfEEEvi20rocsparse_direction_NS_24const_host_device_scalarIT2_EEPKiS8_PKS5_SA_S6_PS5_21rocsparse_index_base_b.kd
    .uniform_work_group_size: 1
    .uses_dynamic_stack: false
    .vgpr_count:     51
    .vgpr_spill_count: 0
    .wavefront_size: 32
    .workgroup_processor_mode: 1
  - .args:
      - .offset:         0
        .size:           4
        .value_kind:     by_value
      - .offset:         4
        .size:           4
        .value_kind:     by_value
      - .offset:         8
        .size:           8
        .value_kind:     by_value
      - .actual_access:  read_only
        .address_space:  global
        .offset:         16
        .size:           8
        .value_kind:     global_buffer
      - .actual_access:  read_only
        .address_space:  global
        .offset:         24
        .size:           8
        .value_kind:     global_buffer
      - .actual_access:  read_only
        .address_space:  global
        .offset:         32
        .size:           8
        .value_kind:     global_buffer
      - .actual_access:  read_only
        .address_space:  global
        .offset:         40
        .size:           8
        .value_kind:     global_buffer
      - .offset:         48
        .size:           8
        .value_kind:     by_value
      - .address_space:  global
        .offset:         56
        .size:           8
        .value_kind:     global_buffer
      - .offset:         64
        .size:           4
        .value_kind:     by_value
      - .offset:         68
        .size:           1
        .value_kind:     by_value
    .group_segment_fixed_size: 0
    .kernarg_segment_align: 8
    .kernarg_segment_size: 72
    .language:       OpenCL C
    .language_version:
      - 2
      - 0
    .max_flat_workgroup_size: 128
    .name:           _ZN9rocsparseL19gebsrmvn_4xn_kernelILj128ELj5ELj4E21rocsparse_complex_numIfEEEvi20rocsparse_direction_NS_24const_host_device_scalarIT2_EEPKiS8_PKS5_SA_S6_PS5_21rocsparse_index_base_b
    .private_segment_fixed_size: 0
    .sgpr_count:     18
    .sgpr_spill_count: 0
    .symbol:         _ZN9rocsparseL19gebsrmvn_4xn_kernelILj128ELj5ELj4E21rocsparse_complex_numIfEEEvi20rocsparse_direction_NS_24const_host_device_scalarIT2_EEPKiS8_PKS5_SA_S6_PS5_21rocsparse_index_base_b.kd
    .uniform_work_group_size: 1
    .uses_dynamic_stack: false
    .vgpr_count:     72
    .vgpr_spill_count: 0
    .wavefront_size: 32
    .workgroup_processor_mode: 1
  - .args:
      - .offset:         0
        .size:           4
        .value_kind:     by_value
      - .offset:         4
        .size:           4
        .value_kind:     by_value
      - .offset:         8
        .size:           8
        .value_kind:     by_value
      - .actual_access:  read_only
        .address_space:  global
        .offset:         16
        .size:           8
        .value_kind:     global_buffer
      - .actual_access:  read_only
        .address_space:  global
        .offset:         24
        .size:           8
        .value_kind:     global_buffer
      - .actual_access:  read_only
        .address_space:  global
        .offset:         32
        .size:           8
        .value_kind:     global_buffer
      - .actual_access:  read_only
        .address_space:  global
        .offset:         40
        .size:           8
        .value_kind:     global_buffer
      - .offset:         48
        .size:           8
        .value_kind:     by_value
      - .address_space:  global
        .offset:         56
        .size:           8
        .value_kind:     global_buffer
      - .offset:         64
        .size:           4
        .value_kind:     by_value
      - .offset:         68
        .size:           1
        .value_kind:     by_value
    .group_segment_fixed_size: 0
    .kernarg_segment_align: 8
    .kernarg_segment_size: 72
    .language:       OpenCL C
    .language_version:
      - 2
      - 0
    .max_flat_workgroup_size: 128
    .name:           _ZN9rocsparseL19gebsrmvn_4xn_kernelILj128ELj5ELj8E21rocsparse_complex_numIfEEEvi20rocsparse_direction_NS_24const_host_device_scalarIT2_EEPKiS8_PKS5_SA_S6_PS5_21rocsparse_index_base_b
    .private_segment_fixed_size: 0
    .sgpr_count:     18
    .sgpr_spill_count: 0
    .symbol:         _ZN9rocsparseL19gebsrmvn_4xn_kernelILj128ELj5ELj8E21rocsparse_complex_numIfEEEvi20rocsparse_direction_NS_24const_host_device_scalarIT2_EEPKiS8_PKS5_SA_S6_PS5_21rocsparse_index_base_b.kd
    .uniform_work_group_size: 1
    .uses_dynamic_stack: false
    .vgpr_count:     72
    .vgpr_spill_count: 0
    .wavefront_size: 32
    .workgroup_processor_mode: 1
  - .args:
      - .offset:         0
        .size:           4
        .value_kind:     by_value
      - .offset:         4
        .size:           4
        .value_kind:     by_value
      - .offset:         8
        .size:           8
        .value_kind:     by_value
      - .actual_access:  read_only
        .address_space:  global
        .offset:         16
        .size:           8
        .value_kind:     global_buffer
      - .actual_access:  read_only
        .address_space:  global
        .offset:         24
        .size:           8
        .value_kind:     global_buffer
      - .actual_access:  read_only
        .address_space:  global
        .offset:         32
        .size:           8
        .value_kind:     global_buffer
      - .actual_access:  read_only
        .address_space:  global
        .offset:         40
        .size:           8
        .value_kind:     global_buffer
      - .offset:         48
        .size:           8
        .value_kind:     by_value
      - .address_space:  global
        .offset:         56
        .size:           8
        .value_kind:     global_buffer
      - .offset:         64
        .size:           4
        .value_kind:     by_value
      - .offset:         68
        .size:           1
        .value_kind:     by_value
    .group_segment_fixed_size: 0
    .kernarg_segment_align: 8
    .kernarg_segment_size: 72
    .language:       OpenCL C
    .language_version:
      - 2
      - 0
    .max_flat_workgroup_size: 128
    .name:           _ZN9rocsparseL19gebsrmvn_4xn_kernelILj128ELj5ELj16E21rocsparse_complex_numIfEEEvi20rocsparse_direction_NS_24const_host_device_scalarIT2_EEPKiS8_PKS5_SA_S6_PS5_21rocsparse_index_base_b
    .private_segment_fixed_size: 0
    .sgpr_count:     18
    .sgpr_spill_count: 0
    .symbol:         _ZN9rocsparseL19gebsrmvn_4xn_kernelILj128ELj5ELj16E21rocsparse_complex_numIfEEEvi20rocsparse_direction_NS_24const_host_device_scalarIT2_EEPKiS8_PKS5_SA_S6_PS5_21rocsparse_index_base_b.kd
    .uniform_work_group_size: 1
    .uses_dynamic_stack: false
    .vgpr_count:     72
    .vgpr_spill_count: 0
    .wavefront_size: 32
    .workgroup_processor_mode: 1
  - .args:
      - .offset:         0
        .size:           4
        .value_kind:     by_value
      - .offset:         4
        .size:           4
        .value_kind:     by_value
      - .offset:         8
        .size:           8
        .value_kind:     by_value
      - .actual_access:  read_only
        .address_space:  global
        .offset:         16
        .size:           8
        .value_kind:     global_buffer
      - .actual_access:  read_only
        .address_space:  global
        .offset:         24
        .size:           8
        .value_kind:     global_buffer
      - .actual_access:  read_only
        .address_space:  global
        .offset:         32
        .size:           8
        .value_kind:     global_buffer
      - .actual_access:  read_only
        .address_space:  global
        .offset:         40
        .size:           8
        .value_kind:     global_buffer
      - .offset:         48
        .size:           8
        .value_kind:     by_value
      - .address_space:  global
        .offset:         56
        .size:           8
        .value_kind:     global_buffer
      - .offset:         64
        .size:           4
        .value_kind:     by_value
      - .offset:         68
        .size:           1
        .value_kind:     by_value
    .group_segment_fixed_size: 0
    .kernarg_segment_align: 8
    .kernarg_segment_size: 72
    .language:       OpenCL C
    .language_version:
      - 2
      - 0
    .max_flat_workgroup_size: 128
    .name:           _ZN9rocsparseL19gebsrmvn_4xn_kernelILj128ELj5ELj32E21rocsparse_complex_numIfEEEvi20rocsparse_direction_NS_24const_host_device_scalarIT2_EEPKiS8_PKS5_SA_S6_PS5_21rocsparse_index_base_b
    .private_segment_fixed_size: 0
    .sgpr_count:     18
    .sgpr_spill_count: 0
    .symbol:         _ZN9rocsparseL19gebsrmvn_4xn_kernelILj128ELj5ELj32E21rocsparse_complex_numIfEEEvi20rocsparse_direction_NS_24const_host_device_scalarIT2_EEPKiS8_PKS5_SA_S6_PS5_21rocsparse_index_base_b.kd
    .uniform_work_group_size: 1
    .uses_dynamic_stack: false
    .vgpr_count:     72
    .vgpr_spill_count: 0
    .wavefront_size: 32
    .workgroup_processor_mode: 1
  - .args:
      - .offset:         0
        .size:           4
        .value_kind:     by_value
      - .offset:         4
        .size:           4
        .value_kind:     by_value
      - .offset:         8
        .size:           8
        .value_kind:     by_value
      - .actual_access:  read_only
        .address_space:  global
        .offset:         16
        .size:           8
        .value_kind:     global_buffer
      - .actual_access:  read_only
        .address_space:  global
        .offset:         24
        .size:           8
        .value_kind:     global_buffer
      - .actual_access:  read_only
        .address_space:  global
        .offset:         32
        .size:           8
        .value_kind:     global_buffer
      - .actual_access:  read_only
        .address_space:  global
        .offset:         40
        .size:           8
        .value_kind:     global_buffer
      - .offset:         48
        .size:           8
        .value_kind:     by_value
      - .address_space:  global
        .offset:         56
        .size:           8
        .value_kind:     global_buffer
      - .offset:         64
        .size:           4
        .value_kind:     by_value
      - .offset:         68
        .size:           1
        .value_kind:     by_value
    .group_segment_fixed_size: 0
    .kernarg_segment_align: 8
    .kernarg_segment_size: 72
    .language:       OpenCL C
    .language_version:
      - 2
      - 0
    .max_flat_workgroup_size: 128
    .name:           _ZN9rocsparseL19gebsrmvn_4xn_kernelILj128ELj5ELj64E21rocsparse_complex_numIfEEEvi20rocsparse_direction_NS_24const_host_device_scalarIT2_EEPKiS8_PKS5_SA_S6_PS5_21rocsparse_index_base_b
    .private_segment_fixed_size: 0
    .sgpr_count:     18
    .sgpr_spill_count: 0
    .symbol:         _ZN9rocsparseL19gebsrmvn_4xn_kernelILj128ELj5ELj64E21rocsparse_complex_numIfEEEvi20rocsparse_direction_NS_24const_host_device_scalarIT2_EEPKiS8_PKS5_SA_S6_PS5_21rocsparse_index_base_b.kd
    .uniform_work_group_size: 1
    .uses_dynamic_stack: false
    .vgpr_count:     72
    .vgpr_spill_count: 0
    .wavefront_size: 32
    .workgroup_processor_mode: 1
  - .args:
      - .offset:         0
        .size:           4
        .value_kind:     by_value
      - .offset:         4
        .size:           4
        .value_kind:     by_value
      - .offset:         8
        .size:           8
        .value_kind:     by_value
      - .actual_access:  read_only
        .address_space:  global
        .offset:         16
        .size:           8
        .value_kind:     global_buffer
      - .actual_access:  read_only
        .address_space:  global
        .offset:         24
        .size:           8
        .value_kind:     global_buffer
      - .actual_access:  read_only
        .address_space:  global
        .offset:         32
        .size:           8
        .value_kind:     global_buffer
      - .actual_access:  read_only
        .address_space:  global
        .offset:         40
        .size:           8
        .value_kind:     global_buffer
      - .offset:         48
        .size:           8
        .value_kind:     by_value
      - .address_space:  global
        .offset:         56
        .size:           8
        .value_kind:     global_buffer
      - .offset:         64
        .size:           4
        .value_kind:     by_value
      - .offset:         68
        .size:           1
        .value_kind:     by_value
    .group_segment_fixed_size: 0
    .kernarg_segment_align: 8
    .kernarg_segment_size: 72
    .language:       OpenCL C
    .language_version:
      - 2
      - 0
    .max_flat_workgroup_size: 128
    .name:           _ZN9rocsparseL19gebsrmvn_4xn_kernelILj128ELj6ELj4E21rocsparse_complex_numIfEEEvi20rocsparse_direction_NS_24const_host_device_scalarIT2_EEPKiS8_PKS5_SA_S6_PS5_21rocsparse_index_base_b
    .private_segment_fixed_size: 0
    .sgpr_count:     18
    .sgpr_spill_count: 0
    .symbol:         _ZN9rocsparseL19gebsrmvn_4xn_kernelILj128ELj6ELj4E21rocsparse_complex_numIfEEEvi20rocsparse_direction_NS_24const_host_device_scalarIT2_EEPKiS8_PKS5_SA_S6_PS5_21rocsparse_index_base_b.kd
    .uniform_work_group_size: 1
    .uses_dynamic_stack: false
    .vgpr_count:     82
    .vgpr_spill_count: 0
    .wavefront_size: 32
    .workgroup_processor_mode: 1
  - .args:
      - .offset:         0
        .size:           4
        .value_kind:     by_value
      - .offset:         4
        .size:           4
        .value_kind:     by_value
      - .offset:         8
        .size:           8
        .value_kind:     by_value
      - .actual_access:  read_only
        .address_space:  global
        .offset:         16
        .size:           8
        .value_kind:     global_buffer
      - .actual_access:  read_only
        .address_space:  global
        .offset:         24
        .size:           8
        .value_kind:     global_buffer
      - .actual_access:  read_only
        .address_space:  global
        .offset:         32
        .size:           8
        .value_kind:     global_buffer
      - .actual_access:  read_only
        .address_space:  global
        .offset:         40
        .size:           8
        .value_kind:     global_buffer
      - .offset:         48
        .size:           8
        .value_kind:     by_value
      - .address_space:  global
        .offset:         56
        .size:           8
        .value_kind:     global_buffer
      - .offset:         64
        .size:           4
        .value_kind:     by_value
      - .offset:         68
        .size:           1
        .value_kind:     by_value
    .group_segment_fixed_size: 0
    .kernarg_segment_align: 8
    .kernarg_segment_size: 72
    .language:       OpenCL C
    .language_version:
      - 2
      - 0
    .max_flat_workgroup_size: 128
    .name:           _ZN9rocsparseL19gebsrmvn_4xn_kernelILj128ELj6ELj8E21rocsparse_complex_numIfEEEvi20rocsparse_direction_NS_24const_host_device_scalarIT2_EEPKiS8_PKS5_SA_S6_PS5_21rocsparse_index_base_b
    .private_segment_fixed_size: 0
    .sgpr_count:     18
    .sgpr_spill_count: 0
    .symbol:         _ZN9rocsparseL19gebsrmvn_4xn_kernelILj128ELj6ELj8E21rocsparse_complex_numIfEEEvi20rocsparse_direction_NS_24const_host_device_scalarIT2_EEPKiS8_PKS5_SA_S6_PS5_21rocsparse_index_base_b.kd
    .uniform_work_group_size: 1
    .uses_dynamic_stack: false
    .vgpr_count:     82
    .vgpr_spill_count: 0
    .wavefront_size: 32
    .workgroup_processor_mode: 1
  - .args:
      - .offset:         0
        .size:           4
        .value_kind:     by_value
      - .offset:         4
        .size:           4
        .value_kind:     by_value
      - .offset:         8
        .size:           8
        .value_kind:     by_value
      - .actual_access:  read_only
        .address_space:  global
        .offset:         16
        .size:           8
        .value_kind:     global_buffer
      - .actual_access:  read_only
        .address_space:  global
        .offset:         24
        .size:           8
        .value_kind:     global_buffer
      - .actual_access:  read_only
        .address_space:  global
        .offset:         32
        .size:           8
        .value_kind:     global_buffer
      - .actual_access:  read_only
        .address_space:  global
        .offset:         40
        .size:           8
        .value_kind:     global_buffer
      - .offset:         48
        .size:           8
        .value_kind:     by_value
      - .address_space:  global
        .offset:         56
        .size:           8
        .value_kind:     global_buffer
      - .offset:         64
        .size:           4
        .value_kind:     by_value
      - .offset:         68
        .size:           1
        .value_kind:     by_value
    .group_segment_fixed_size: 0
    .kernarg_segment_align: 8
    .kernarg_segment_size: 72
    .language:       OpenCL C
    .language_version:
      - 2
      - 0
    .max_flat_workgroup_size: 128
    .name:           _ZN9rocsparseL19gebsrmvn_4xn_kernelILj128ELj6ELj16E21rocsparse_complex_numIfEEEvi20rocsparse_direction_NS_24const_host_device_scalarIT2_EEPKiS8_PKS5_SA_S6_PS5_21rocsparse_index_base_b
    .private_segment_fixed_size: 0
    .sgpr_count:     18
    .sgpr_spill_count: 0
    .symbol:         _ZN9rocsparseL19gebsrmvn_4xn_kernelILj128ELj6ELj16E21rocsparse_complex_numIfEEEvi20rocsparse_direction_NS_24const_host_device_scalarIT2_EEPKiS8_PKS5_SA_S6_PS5_21rocsparse_index_base_b.kd
    .uniform_work_group_size: 1
    .uses_dynamic_stack: false
    .vgpr_count:     82
    .vgpr_spill_count: 0
    .wavefront_size: 32
    .workgroup_processor_mode: 1
  - .args:
      - .offset:         0
        .size:           4
        .value_kind:     by_value
      - .offset:         4
        .size:           4
        .value_kind:     by_value
      - .offset:         8
        .size:           8
        .value_kind:     by_value
      - .actual_access:  read_only
        .address_space:  global
        .offset:         16
        .size:           8
        .value_kind:     global_buffer
      - .actual_access:  read_only
        .address_space:  global
        .offset:         24
        .size:           8
        .value_kind:     global_buffer
      - .actual_access:  read_only
        .address_space:  global
        .offset:         32
        .size:           8
        .value_kind:     global_buffer
      - .actual_access:  read_only
        .address_space:  global
        .offset:         40
        .size:           8
        .value_kind:     global_buffer
      - .offset:         48
        .size:           8
        .value_kind:     by_value
      - .address_space:  global
        .offset:         56
        .size:           8
        .value_kind:     global_buffer
      - .offset:         64
        .size:           4
        .value_kind:     by_value
      - .offset:         68
        .size:           1
        .value_kind:     by_value
    .group_segment_fixed_size: 0
    .kernarg_segment_align: 8
    .kernarg_segment_size: 72
    .language:       OpenCL C
    .language_version:
      - 2
      - 0
    .max_flat_workgroup_size: 128
    .name:           _ZN9rocsparseL19gebsrmvn_4xn_kernelILj128ELj6ELj32E21rocsparse_complex_numIfEEEvi20rocsparse_direction_NS_24const_host_device_scalarIT2_EEPKiS8_PKS5_SA_S6_PS5_21rocsparse_index_base_b
    .private_segment_fixed_size: 0
    .sgpr_count:     18
    .sgpr_spill_count: 0
    .symbol:         _ZN9rocsparseL19gebsrmvn_4xn_kernelILj128ELj6ELj32E21rocsparse_complex_numIfEEEvi20rocsparse_direction_NS_24const_host_device_scalarIT2_EEPKiS8_PKS5_SA_S6_PS5_21rocsparse_index_base_b.kd
    .uniform_work_group_size: 1
    .uses_dynamic_stack: false
    .vgpr_count:     82
    .vgpr_spill_count: 0
    .wavefront_size: 32
    .workgroup_processor_mode: 1
  - .args:
      - .offset:         0
        .size:           4
        .value_kind:     by_value
      - .offset:         4
        .size:           4
        .value_kind:     by_value
      - .offset:         8
        .size:           8
        .value_kind:     by_value
      - .actual_access:  read_only
        .address_space:  global
        .offset:         16
        .size:           8
        .value_kind:     global_buffer
      - .actual_access:  read_only
        .address_space:  global
        .offset:         24
        .size:           8
        .value_kind:     global_buffer
      - .actual_access:  read_only
        .address_space:  global
        .offset:         32
        .size:           8
        .value_kind:     global_buffer
      - .actual_access:  read_only
        .address_space:  global
        .offset:         40
        .size:           8
        .value_kind:     global_buffer
      - .offset:         48
        .size:           8
        .value_kind:     by_value
      - .address_space:  global
        .offset:         56
        .size:           8
        .value_kind:     global_buffer
      - .offset:         64
        .size:           4
        .value_kind:     by_value
      - .offset:         68
        .size:           1
        .value_kind:     by_value
    .group_segment_fixed_size: 0
    .kernarg_segment_align: 8
    .kernarg_segment_size: 72
    .language:       OpenCL C
    .language_version:
      - 2
      - 0
    .max_flat_workgroup_size: 128
    .name:           _ZN9rocsparseL19gebsrmvn_4xn_kernelILj128ELj6ELj64E21rocsparse_complex_numIfEEEvi20rocsparse_direction_NS_24const_host_device_scalarIT2_EEPKiS8_PKS5_SA_S6_PS5_21rocsparse_index_base_b
    .private_segment_fixed_size: 0
    .sgpr_count:     18
    .sgpr_spill_count: 0
    .symbol:         _ZN9rocsparseL19gebsrmvn_4xn_kernelILj128ELj6ELj64E21rocsparse_complex_numIfEEEvi20rocsparse_direction_NS_24const_host_device_scalarIT2_EEPKiS8_PKS5_SA_S6_PS5_21rocsparse_index_base_b.kd
    .uniform_work_group_size: 1
    .uses_dynamic_stack: false
    .vgpr_count:     82
    .vgpr_spill_count: 0
    .wavefront_size: 32
    .workgroup_processor_mode: 1
  - .args:
      - .offset:         0
        .size:           4
        .value_kind:     by_value
      - .offset:         4
        .size:           4
        .value_kind:     by_value
      - .offset:         8
        .size:           8
        .value_kind:     by_value
      - .actual_access:  read_only
        .address_space:  global
        .offset:         16
        .size:           8
        .value_kind:     global_buffer
      - .actual_access:  read_only
        .address_space:  global
        .offset:         24
        .size:           8
        .value_kind:     global_buffer
      - .actual_access:  read_only
        .address_space:  global
        .offset:         32
        .size:           8
        .value_kind:     global_buffer
      - .actual_access:  read_only
        .address_space:  global
        .offset:         40
        .size:           8
        .value_kind:     global_buffer
      - .offset:         48
        .size:           8
        .value_kind:     by_value
      - .address_space:  global
        .offset:         56
        .size:           8
        .value_kind:     global_buffer
      - .offset:         64
        .size:           4
        .value_kind:     by_value
      - .offset:         68
        .size:           1
        .value_kind:     by_value
    .group_segment_fixed_size: 0
    .kernarg_segment_align: 8
    .kernarg_segment_size: 72
    .language:       OpenCL C
    .language_version:
      - 2
      - 0
    .max_flat_workgroup_size: 128
    .name:           _ZN9rocsparseL19gebsrmvn_4xn_kernelILj128ELj7ELj4E21rocsparse_complex_numIfEEEvi20rocsparse_direction_NS_24const_host_device_scalarIT2_EEPKiS8_PKS5_SA_S6_PS5_21rocsparse_index_base_b
    .private_segment_fixed_size: 0
    .sgpr_count:     18
    .sgpr_spill_count: 0
    .symbol:         _ZN9rocsparseL19gebsrmvn_4xn_kernelILj128ELj7ELj4E21rocsparse_complex_numIfEEEvi20rocsparse_direction_NS_24const_host_device_scalarIT2_EEPKiS8_PKS5_SA_S6_PS5_21rocsparse_index_base_b.kd
    .uniform_work_group_size: 1
    .uses_dynamic_stack: false
    .vgpr_count:     41
    .vgpr_spill_count: 0
    .wavefront_size: 32
    .workgroup_processor_mode: 1
  - .args:
      - .offset:         0
        .size:           4
        .value_kind:     by_value
      - .offset:         4
        .size:           4
        .value_kind:     by_value
      - .offset:         8
        .size:           8
        .value_kind:     by_value
      - .actual_access:  read_only
        .address_space:  global
        .offset:         16
        .size:           8
        .value_kind:     global_buffer
      - .actual_access:  read_only
        .address_space:  global
        .offset:         24
        .size:           8
        .value_kind:     global_buffer
      - .actual_access:  read_only
        .address_space:  global
        .offset:         32
        .size:           8
        .value_kind:     global_buffer
      - .actual_access:  read_only
        .address_space:  global
        .offset:         40
        .size:           8
        .value_kind:     global_buffer
      - .offset:         48
        .size:           8
        .value_kind:     by_value
      - .address_space:  global
        .offset:         56
        .size:           8
        .value_kind:     global_buffer
      - .offset:         64
        .size:           4
        .value_kind:     by_value
      - .offset:         68
        .size:           1
        .value_kind:     by_value
    .group_segment_fixed_size: 0
    .kernarg_segment_align: 8
    .kernarg_segment_size: 72
    .language:       OpenCL C
    .language_version:
      - 2
      - 0
    .max_flat_workgroup_size: 128
    .name:           _ZN9rocsparseL19gebsrmvn_4xn_kernelILj128ELj7ELj8E21rocsparse_complex_numIfEEEvi20rocsparse_direction_NS_24const_host_device_scalarIT2_EEPKiS8_PKS5_SA_S6_PS5_21rocsparse_index_base_b
    .private_segment_fixed_size: 0
    .sgpr_count:     18
    .sgpr_spill_count: 0
    .symbol:         _ZN9rocsparseL19gebsrmvn_4xn_kernelILj128ELj7ELj8E21rocsparse_complex_numIfEEEvi20rocsparse_direction_NS_24const_host_device_scalarIT2_EEPKiS8_PKS5_SA_S6_PS5_21rocsparse_index_base_b.kd
    .uniform_work_group_size: 1
    .uses_dynamic_stack: false
    .vgpr_count:     41
    .vgpr_spill_count: 0
    .wavefront_size: 32
    .workgroup_processor_mode: 1
  - .args:
      - .offset:         0
        .size:           4
        .value_kind:     by_value
      - .offset:         4
        .size:           4
        .value_kind:     by_value
      - .offset:         8
        .size:           8
        .value_kind:     by_value
      - .actual_access:  read_only
        .address_space:  global
        .offset:         16
        .size:           8
        .value_kind:     global_buffer
      - .actual_access:  read_only
        .address_space:  global
        .offset:         24
        .size:           8
        .value_kind:     global_buffer
      - .actual_access:  read_only
        .address_space:  global
        .offset:         32
        .size:           8
        .value_kind:     global_buffer
      - .actual_access:  read_only
        .address_space:  global
        .offset:         40
        .size:           8
        .value_kind:     global_buffer
      - .offset:         48
        .size:           8
        .value_kind:     by_value
      - .address_space:  global
        .offset:         56
        .size:           8
        .value_kind:     global_buffer
      - .offset:         64
        .size:           4
        .value_kind:     by_value
      - .offset:         68
        .size:           1
        .value_kind:     by_value
    .group_segment_fixed_size: 0
    .kernarg_segment_align: 8
    .kernarg_segment_size: 72
    .language:       OpenCL C
    .language_version:
      - 2
      - 0
    .max_flat_workgroup_size: 128
    .name:           _ZN9rocsparseL19gebsrmvn_4xn_kernelILj128ELj7ELj16E21rocsparse_complex_numIfEEEvi20rocsparse_direction_NS_24const_host_device_scalarIT2_EEPKiS8_PKS5_SA_S6_PS5_21rocsparse_index_base_b
    .private_segment_fixed_size: 0
    .sgpr_count:     18
    .sgpr_spill_count: 0
    .symbol:         _ZN9rocsparseL19gebsrmvn_4xn_kernelILj128ELj7ELj16E21rocsparse_complex_numIfEEEvi20rocsparse_direction_NS_24const_host_device_scalarIT2_EEPKiS8_PKS5_SA_S6_PS5_21rocsparse_index_base_b.kd
    .uniform_work_group_size: 1
    .uses_dynamic_stack: false
    .vgpr_count:     41
    .vgpr_spill_count: 0
    .wavefront_size: 32
    .workgroup_processor_mode: 1
  - .args:
      - .offset:         0
        .size:           4
        .value_kind:     by_value
      - .offset:         4
        .size:           4
        .value_kind:     by_value
      - .offset:         8
        .size:           8
        .value_kind:     by_value
      - .actual_access:  read_only
        .address_space:  global
        .offset:         16
        .size:           8
        .value_kind:     global_buffer
      - .actual_access:  read_only
        .address_space:  global
        .offset:         24
        .size:           8
        .value_kind:     global_buffer
      - .actual_access:  read_only
        .address_space:  global
        .offset:         32
        .size:           8
        .value_kind:     global_buffer
      - .actual_access:  read_only
        .address_space:  global
        .offset:         40
        .size:           8
        .value_kind:     global_buffer
      - .offset:         48
        .size:           8
        .value_kind:     by_value
      - .address_space:  global
        .offset:         56
        .size:           8
        .value_kind:     global_buffer
      - .offset:         64
        .size:           4
        .value_kind:     by_value
      - .offset:         68
        .size:           1
        .value_kind:     by_value
    .group_segment_fixed_size: 0
    .kernarg_segment_align: 8
    .kernarg_segment_size: 72
    .language:       OpenCL C
    .language_version:
      - 2
      - 0
    .max_flat_workgroup_size: 128
    .name:           _ZN9rocsparseL19gebsrmvn_4xn_kernelILj128ELj7ELj32E21rocsparse_complex_numIfEEEvi20rocsparse_direction_NS_24const_host_device_scalarIT2_EEPKiS8_PKS5_SA_S6_PS5_21rocsparse_index_base_b
    .private_segment_fixed_size: 0
    .sgpr_count:     18
    .sgpr_spill_count: 0
    .symbol:         _ZN9rocsparseL19gebsrmvn_4xn_kernelILj128ELj7ELj32E21rocsparse_complex_numIfEEEvi20rocsparse_direction_NS_24const_host_device_scalarIT2_EEPKiS8_PKS5_SA_S6_PS5_21rocsparse_index_base_b.kd
    .uniform_work_group_size: 1
    .uses_dynamic_stack: false
    .vgpr_count:     41
    .vgpr_spill_count: 0
    .wavefront_size: 32
    .workgroup_processor_mode: 1
  - .args:
      - .offset:         0
        .size:           4
        .value_kind:     by_value
      - .offset:         4
        .size:           4
        .value_kind:     by_value
      - .offset:         8
        .size:           8
        .value_kind:     by_value
      - .actual_access:  read_only
        .address_space:  global
        .offset:         16
        .size:           8
        .value_kind:     global_buffer
      - .actual_access:  read_only
        .address_space:  global
        .offset:         24
        .size:           8
        .value_kind:     global_buffer
      - .actual_access:  read_only
        .address_space:  global
        .offset:         32
        .size:           8
        .value_kind:     global_buffer
      - .actual_access:  read_only
        .address_space:  global
        .offset:         40
        .size:           8
        .value_kind:     global_buffer
      - .offset:         48
        .size:           8
        .value_kind:     by_value
      - .address_space:  global
        .offset:         56
        .size:           8
        .value_kind:     global_buffer
      - .offset:         64
        .size:           4
        .value_kind:     by_value
      - .offset:         68
        .size:           1
        .value_kind:     by_value
    .group_segment_fixed_size: 0
    .kernarg_segment_align: 8
    .kernarg_segment_size: 72
    .language:       OpenCL C
    .language_version:
      - 2
      - 0
    .max_flat_workgroup_size: 128
    .name:           _ZN9rocsparseL19gebsrmvn_4xn_kernelILj128ELj7ELj64E21rocsparse_complex_numIfEEEvi20rocsparse_direction_NS_24const_host_device_scalarIT2_EEPKiS8_PKS5_SA_S6_PS5_21rocsparse_index_base_b
    .private_segment_fixed_size: 0
    .sgpr_count:     18
    .sgpr_spill_count: 0
    .symbol:         _ZN9rocsparseL19gebsrmvn_4xn_kernelILj128ELj7ELj64E21rocsparse_complex_numIfEEEvi20rocsparse_direction_NS_24const_host_device_scalarIT2_EEPKiS8_PKS5_SA_S6_PS5_21rocsparse_index_base_b.kd
    .uniform_work_group_size: 1
    .uses_dynamic_stack: false
    .vgpr_count:     41
    .vgpr_spill_count: 0
    .wavefront_size: 32
    .workgroup_processor_mode: 1
  - .args:
      - .offset:         0
        .size:           4
        .value_kind:     by_value
      - .offset:         4
        .size:           4
        .value_kind:     by_value
      - .offset:         8
        .size:           8
        .value_kind:     by_value
      - .actual_access:  read_only
        .address_space:  global
        .offset:         16
        .size:           8
        .value_kind:     global_buffer
      - .actual_access:  read_only
        .address_space:  global
        .offset:         24
        .size:           8
        .value_kind:     global_buffer
      - .actual_access:  read_only
        .address_space:  global
        .offset:         32
        .size:           8
        .value_kind:     global_buffer
      - .actual_access:  read_only
        .address_space:  global
        .offset:         40
        .size:           8
        .value_kind:     global_buffer
      - .offset:         48
        .size:           8
        .value_kind:     by_value
      - .address_space:  global
        .offset:         56
        .size:           8
        .value_kind:     global_buffer
      - .offset:         64
        .size:           4
        .value_kind:     by_value
      - .offset:         68
        .size:           1
        .value_kind:     by_value
    .group_segment_fixed_size: 0
    .kernarg_segment_align: 8
    .kernarg_segment_size: 72
    .language:       OpenCL C
    .language_version:
      - 2
      - 0
    .max_flat_workgroup_size: 128
    .name:           _ZN9rocsparseL19gebsrmvn_4xn_kernelILj128ELj8ELj4E21rocsparse_complex_numIfEEEvi20rocsparse_direction_NS_24const_host_device_scalarIT2_EEPKiS8_PKS5_SA_S6_PS5_21rocsparse_index_base_b
    .private_segment_fixed_size: 0
    .sgpr_count:     19
    .sgpr_spill_count: 0
    .symbol:         _ZN9rocsparseL19gebsrmvn_4xn_kernelILj128ELj8ELj4E21rocsparse_complex_numIfEEEvi20rocsparse_direction_NS_24const_host_device_scalarIT2_EEPKiS8_PKS5_SA_S6_PS5_21rocsparse_index_base_b.kd
    .uniform_work_group_size: 1
    .uses_dynamic_stack: false
    .vgpr_count:     46
    .vgpr_spill_count: 0
    .wavefront_size: 32
    .workgroup_processor_mode: 1
  - .args:
      - .offset:         0
        .size:           4
        .value_kind:     by_value
      - .offset:         4
        .size:           4
        .value_kind:     by_value
      - .offset:         8
        .size:           8
        .value_kind:     by_value
      - .actual_access:  read_only
        .address_space:  global
        .offset:         16
        .size:           8
        .value_kind:     global_buffer
      - .actual_access:  read_only
        .address_space:  global
        .offset:         24
        .size:           8
        .value_kind:     global_buffer
      - .actual_access:  read_only
        .address_space:  global
        .offset:         32
        .size:           8
        .value_kind:     global_buffer
      - .actual_access:  read_only
        .address_space:  global
        .offset:         40
        .size:           8
        .value_kind:     global_buffer
      - .offset:         48
        .size:           8
        .value_kind:     by_value
      - .address_space:  global
        .offset:         56
        .size:           8
        .value_kind:     global_buffer
      - .offset:         64
        .size:           4
        .value_kind:     by_value
      - .offset:         68
        .size:           1
        .value_kind:     by_value
    .group_segment_fixed_size: 0
    .kernarg_segment_align: 8
    .kernarg_segment_size: 72
    .language:       OpenCL C
    .language_version:
      - 2
      - 0
    .max_flat_workgroup_size: 128
    .name:           _ZN9rocsparseL19gebsrmvn_4xn_kernelILj128ELj8ELj8E21rocsparse_complex_numIfEEEvi20rocsparse_direction_NS_24const_host_device_scalarIT2_EEPKiS8_PKS5_SA_S6_PS5_21rocsparse_index_base_b
    .private_segment_fixed_size: 0
    .sgpr_count:     19
    .sgpr_spill_count: 0
    .symbol:         _ZN9rocsparseL19gebsrmvn_4xn_kernelILj128ELj8ELj8E21rocsparse_complex_numIfEEEvi20rocsparse_direction_NS_24const_host_device_scalarIT2_EEPKiS8_PKS5_SA_S6_PS5_21rocsparse_index_base_b.kd
    .uniform_work_group_size: 1
    .uses_dynamic_stack: false
    .vgpr_count:     46
    .vgpr_spill_count: 0
    .wavefront_size: 32
    .workgroup_processor_mode: 1
  - .args:
      - .offset:         0
        .size:           4
        .value_kind:     by_value
      - .offset:         4
        .size:           4
        .value_kind:     by_value
      - .offset:         8
        .size:           8
        .value_kind:     by_value
      - .actual_access:  read_only
        .address_space:  global
        .offset:         16
        .size:           8
        .value_kind:     global_buffer
      - .actual_access:  read_only
        .address_space:  global
        .offset:         24
        .size:           8
        .value_kind:     global_buffer
      - .actual_access:  read_only
        .address_space:  global
        .offset:         32
        .size:           8
        .value_kind:     global_buffer
      - .actual_access:  read_only
        .address_space:  global
        .offset:         40
        .size:           8
        .value_kind:     global_buffer
      - .offset:         48
        .size:           8
        .value_kind:     by_value
      - .address_space:  global
        .offset:         56
        .size:           8
        .value_kind:     global_buffer
      - .offset:         64
        .size:           4
        .value_kind:     by_value
      - .offset:         68
        .size:           1
        .value_kind:     by_value
    .group_segment_fixed_size: 0
    .kernarg_segment_align: 8
    .kernarg_segment_size: 72
    .language:       OpenCL C
    .language_version:
      - 2
      - 0
    .max_flat_workgroup_size: 128
    .name:           _ZN9rocsparseL19gebsrmvn_4xn_kernelILj128ELj8ELj16E21rocsparse_complex_numIfEEEvi20rocsparse_direction_NS_24const_host_device_scalarIT2_EEPKiS8_PKS5_SA_S6_PS5_21rocsparse_index_base_b
    .private_segment_fixed_size: 0
    .sgpr_count:     19
    .sgpr_spill_count: 0
    .symbol:         _ZN9rocsparseL19gebsrmvn_4xn_kernelILj128ELj8ELj16E21rocsparse_complex_numIfEEEvi20rocsparse_direction_NS_24const_host_device_scalarIT2_EEPKiS8_PKS5_SA_S6_PS5_21rocsparse_index_base_b.kd
    .uniform_work_group_size: 1
    .uses_dynamic_stack: false
    .vgpr_count:     46
    .vgpr_spill_count: 0
    .wavefront_size: 32
    .workgroup_processor_mode: 1
  - .args:
      - .offset:         0
        .size:           4
        .value_kind:     by_value
      - .offset:         4
        .size:           4
        .value_kind:     by_value
      - .offset:         8
        .size:           8
        .value_kind:     by_value
      - .actual_access:  read_only
        .address_space:  global
        .offset:         16
        .size:           8
        .value_kind:     global_buffer
      - .actual_access:  read_only
        .address_space:  global
        .offset:         24
        .size:           8
        .value_kind:     global_buffer
      - .actual_access:  read_only
        .address_space:  global
        .offset:         32
        .size:           8
        .value_kind:     global_buffer
      - .actual_access:  read_only
        .address_space:  global
        .offset:         40
        .size:           8
        .value_kind:     global_buffer
      - .offset:         48
        .size:           8
        .value_kind:     by_value
      - .address_space:  global
        .offset:         56
        .size:           8
        .value_kind:     global_buffer
      - .offset:         64
        .size:           4
        .value_kind:     by_value
      - .offset:         68
        .size:           1
        .value_kind:     by_value
    .group_segment_fixed_size: 0
    .kernarg_segment_align: 8
    .kernarg_segment_size: 72
    .language:       OpenCL C
    .language_version:
      - 2
      - 0
    .max_flat_workgroup_size: 128
    .name:           _ZN9rocsparseL19gebsrmvn_4xn_kernelILj128ELj8ELj32E21rocsparse_complex_numIfEEEvi20rocsparse_direction_NS_24const_host_device_scalarIT2_EEPKiS8_PKS5_SA_S6_PS5_21rocsparse_index_base_b
    .private_segment_fixed_size: 0
    .sgpr_count:     19
    .sgpr_spill_count: 0
    .symbol:         _ZN9rocsparseL19gebsrmvn_4xn_kernelILj128ELj8ELj32E21rocsparse_complex_numIfEEEvi20rocsparse_direction_NS_24const_host_device_scalarIT2_EEPKiS8_PKS5_SA_S6_PS5_21rocsparse_index_base_b.kd
    .uniform_work_group_size: 1
    .uses_dynamic_stack: false
    .vgpr_count:     46
    .vgpr_spill_count: 0
    .wavefront_size: 32
    .workgroup_processor_mode: 1
  - .args:
      - .offset:         0
        .size:           4
        .value_kind:     by_value
      - .offset:         4
        .size:           4
        .value_kind:     by_value
      - .offset:         8
        .size:           8
        .value_kind:     by_value
      - .actual_access:  read_only
        .address_space:  global
        .offset:         16
        .size:           8
        .value_kind:     global_buffer
      - .actual_access:  read_only
        .address_space:  global
        .offset:         24
        .size:           8
        .value_kind:     global_buffer
      - .actual_access:  read_only
        .address_space:  global
        .offset:         32
        .size:           8
        .value_kind:     global_buffer
      - .actual_access:  read_only
        .address_space:  global
        .offset:         40
        .size:           8
        .value_kind:     global_buffer
      - .offset:         48
        .size:           8
        .value_kind:     by_value
      - .address_space:  global
        .offset:         56
        .size:           8
        .value_kind:     global_buffer
      - .offset:         64
        .size:           4
        .value_kind:     by_value
      - .offset:         68
        .size:           1
        .value_kind:     by_value
    .group_segment_fixed_size: 0
    .kernarg_segment_align: 8
    .kernarg_segment_size: 72
    .language:       OpenCL C
    .language_version:
      - 2
      - 0
    .max_flat_workgroup_size: 128
    .name:           _ZN9rocsparseL19gebsrmvn_4xn_kernelILj128ELj8ELj64E21rocsparse_complex_numIfEEEvi20rocsparse_direction_NS_24const_host_device_scalarIT2_EEPKiS8_PKS5_SA_S6_PS5_21rocsparse_index_base_b
    .private_segment_fixed_size: 0
    .sgpr_count:     19
    .sgpr_spill_count: 0
    .symbol:         _ZN9rocsparseL19gebsrmvn_4xn_kernelILj128ELj8ELj64E21rocsparse_complex_numIfEEEvi20rocsparse_direction_NS_24const_host_device_scalarIT2_EEPKiS8_PKS5_SA_S6_PS5_21rocsparse_index_base_b.kd
    .uniform_work_group_size: 1
    .uses_dynamic_stack: false
    .vgpr_count:     46
    .vgpr_spill_count: 0
    .wavefront_size: 32
    .workgroup_processor_mode: 1
  - .args:
      - .offset:         0
        .size:           4
        .value_kind:     by_value
      - .offset:         4
        .size:           4
        .value_kind:     by_value
      - .offset:         8
        .size:           8
        .value_kind:     by_value
      - .actual_access:  read_only
        .address_space:  global
        .offset:         16
        .size:           8
        .value_kind:     global_buffer
      - .actual_access:  read_only
        .address_space:  global
        .offset:         24
        .size:           8
        .value_kind:     global_buffer
      - .actual_access:  read_only
        .address_space:  global
        .offset:         32
        .size:           8
        .value_kind:     global_buffer
      - .offset:         40
        .size:           4
        .value_kind:     by_value
      - .offset:         44
        .size:           4
        .value_kind:     by_value
      - .actual_access:  read_only
        .address_space:  global
        .offset:         48
        .size:           8
        .value_kind:     global_buffer
      - .offset:         56
        .size:           8
        .value_kind:     by_value
      - .address_space:  global
        .offset:         64
        .size:           8
        .value_kind:     global_buffer
      - .offset:         72
        .size:           4
        .value_kind:     by_value
      - .offset:         76
        .size:           1
        .value_kind:     by_value
    .group_segment_fixed_size: 0
    .kernarg_segment_align: 8
    .kernarg_segment_size: 80
    .language:       OpenCL C
    .language_version:
      - 2
      - 0
    .max_flat_workgroup_size: 64
    .name:           _ZN9rocsparseL23gebsrmvn_general_kernelILj64ELj16E21rocsparse_complex_numIfEEEvi20rocsparse_direction_NS_24const_host_device_scalarIT1_EEPKiS8_PKS5_iiSA_S6_PS5_21rocsparse_index_base_b
    .private_segment_fixed_size: 0
    .sgpr_count:     30
    .sgpr_spill_count: 0
    .symbol:         _ZN9rocsparseL23gebsrmvn_general_kernelILj64ELj16E21rocsparse_complex_numIfEEEvi20rocsparse_direction_NS_24const_host_device_scalarIT1_EEPKiS8_PKS5_iiSA_S6_PS5_21rocsparse_index_base_b.kd
    .uniform_work_group_size: 1
    .uses_dynamic_stack: false
    .vgpr_count:     19
    .vgpr_spill_count: 0
    .wavefront_size: 32
    .workgroup_processor_mode: 1
  - .args:
      - .offset:         0
        .size:           4
        .value_kind:     by_value
      - .offset:         4
        .size:           4
        .value_kind:     by_value
      - .offset:         8
        .size:           8
        .value_kind:     by_value
      - .actual_access:  read_only
        .address_space:  global
        .offset:         16
        .size:           8
        .value_kind:     global_buffer
      - .actual_access:  read_only
        .address_space:  global
        .offset:         24
        .size:           8
        .value_kind:     global_buffer
      - .actual_access:  read_only
        .address_space:  global
        .offset:         32
        .size:           8
        .value_kind:     global_buffer
      - .offset:         40
        .size:           4
        .value_kind:     by_value
      - .offset:         44
        .size:           4
        .value_kind:     by_value
      - .actual_access:  read_only
        .address_space:  global
        .offset:         48
        .size:           8
        .value_kind:     global_buffer
      - .offset:         56
        .size:           8
        .value_kind:     by_value
      - .address_space:  global
        .offset:         64
        .size:           8
        .value_kind:     global_buffer
      - .offset:         72
        .size:           4
        .value_kind:     by_value
      - .offset:         76
        .size:           1
        .value_kind:     by_value
    .group_segment_fixed_size: 0
    .kernarg_segment_align: 8
    .kernarg_segment_size: 80
    .language:       OpenCL C
    .language_version:
      - 2
      - 0
    .max_flat_workgroup_size: 128
    .name:           _ZN9rocsparseL23gebsrmvn_general_kernelILj128ELj32E21rocsparse_complex_numIfEEEvi20rocsparse_direction_NS_24const_host_device_scalarIT1_EEPKiS8_PKS5_iiSA_S6_PS5_21rocsparse_index_base_b
    .private_segment_fixed_size: 0
    .sgpr_count:     30
    .sgpr_spill_count: 0
    .symbol:         _ZN9rocsparseL23gebsrmvn_general_kernelILj128ELj32E21rocsparse_complex_numIfEEEvi20rocsparse_direction_NS_24const_host_device_scalarIT1_EEPKiS8_PKS5_iiSA_S6_PS5_21rocsparse_index_base_b.kd
    .uniform_work_group_size: 1
    .uses_dynamic_stack: false
    .vgpr_count:     20
    .vgpr_spill_count: 0
    .wavefront_size: 32
    .workgroup_processor_mode: 1
  - .args:
      - .offset:         0
        .size:           4
        .value_kind:     by_value
      - .offset:         4
        .size:           4
        .value_kind:     by_value
      - .offset:         8
        .size:           16
        .value_kind:     by_value
      - .actual_access:  read_only
        .address_space:  global
        .offset:         24
        .size:           8
        .value_kind:     global_buffer
      - .actual_access:  read_only
        .address_space:  global
        .offset:         32
        .size:           8
        .value_kind:     global_buffer
      - .actual_access:  read_only
        .address_space:  global
        .offset:         40
        .size:           8
        .value_kind:     global_buffer
      - .actual_access:  read_only
        .address_space:  global
        .offset:         48
        .size:           8
        .value_kind:     global_buffer
      - .offset:         56
        .size:           16
        .value_kind:     by_value
      - .address_space:  global
        .offset:         72
        .size:           8
        .value_kind:     global_buffer
      - .offset:         80
        .size:           4
        .value_kind:     by_value
      - .offset:         84
        .size:           1
        .value_kind:     by_value
    .group_segment_fixed_size: 2048
    .kernarg_segment_align: 8
    .kernarg_segment_size: 88
    .language:       OpenCL C
    .language_version:
      - 2
      - 0
    .max_flat_workgroup_size: 128
    .name:           _ZN9rocsparseL19gebsrmvn_4xn_kernelILj128ELj1ELj4E21rocsparse_complex_numIdEEEvi20rocsparse_direction_NS_24const_host_device_scalarIT2_EEPKiS8_PKS5_SA_S6_PS5_21rocsparse_index_base_b
    .private_segment_fixed_size: 0
    .sgpr_count:     20
    .sgpr_spill_count: 0
    .symbol:         _ZN9rocsparseL19gebsrmvn_4xn_kernelILj128ELj1ELj4E21rocsparse_complex_numIdEEEvi20rocsparse_direction_NS_24const_host_device_scalarIT2_EEPKiS8_PKS5_SA_S6_PS5_21rocsparse_index_base_b.kd
    .uniform_work_group_size: 1
    .uses_dynamic_stack: false
    .vgpr_count:     54
    .vgpr_spill_count: 0
    .wavefront_size: 32
    .workgroup_processor_mode: 1
  - .args:
      - .offset:         0
        .size:           4
        .value_kind:     by_value
      - .offset:         4
        .size:           4
        .value_kind:     by_value
      - .offset:         8
        .size:           16
        .value_kind:     by_value
      - .actual_access:  read_only
        .address_space:  global
        .offset:         24
        .size:           8
        .value_kind:     global_buffer
      - .actual_access:  read_only
        .address_space:  global
        .offset:         32
        .size:           8
        .value_kind:     global_buffer
      - .actual_access:  read_only
        .address_space:  global
        .offset:         40
        .size:           8
        .value_kind:     global_buffer
      - .actual_access:  read_only
        .address_space:  global
        .offset:         48
        .size:           8
        .value_kind:     global_buffer
      - .offset:         56
        .size:           16
        .value_kind:     by_value
      - .address_space:  global
        .offset:         72
        .size:           8
        .value_kind:     global_buffer
      - .offset:         80
        .size:           4
        .value_kind:     by_value
      - .offset:         84
        .size:           1
        .value_kind:     by_value
    .group_segment_fixed_size: 2048
    .kernarg_segment_align: 8
    .kernarg_segment_size: 88
    .language:       OpenCL C
    .language_version:
      - 2
      - 0
    .max_flat_workgroup_size: 128
    .name:           _ZN9rocsparseL19gebsrmvn_4xn_kernelILj128ELj1ELj8E21rocsparse_complex_numIdEEEvi20rocsparse_direction_NS_24const_host_device_scalarIT2_EEPKiS8_PKS5_SA_S6_PS5_21rocsparse_index_base_b
    .private_segment_fixed_size: 0
    .sgpr_count:     20
    .sgpr_spill_count: 0
    .symbol:         _ZN9rocsparseL19gebsrmvn_4xn_kernelILj128ELj1ELj8E21rocsparse_complex_numIdEEEvi20rocsparse_direction_NS_24const_host_device_scalarIT2_EEPKiS8_PKS5_SA_S6_PS5_21rocsparse_index_base_b.kd
    .uniform_work_group_size: 1
    .uses_dynamic_stack: false
    .vgpr_count:     54
    .vgpr_spill_count: 0
    .wavefront_size: 32
    .workgroup_processor_mode: 1
  - .args:
      - .offset:         0
        .size:           4
        .value_kind:     by_value
      - .offset:         4
        .size:           4
        .value_kind:     by_value
      - .offset:         8
        .size:           16
        .value_kind:     by_value
      - .actual_access:  read_only
        .address_space:  global
        .offset:         24
        .size:           8
        .value_kind:     global_buffer
      - .actual_access:  read_only
        .address_space:  global
        .offset:         32
        .size:           8
        .value_kind:     global_buffer
      - .actual_access:  read_only
        .address_space:  global
        .offset:         40
        .size:           8
        .value_kind:     global_buffer
      - .actual_access:  read_only
        .address_space:  global
        .offset:         48
        .size:           8
        .value_kind:     global_buffer
      - .offset:         56
        .size:           16
        .value_kind:     by_value
      - .address_space:  global
        .offset:         72
        .size:           8
        .value_kind:     global_buffer
      - .offset:         80
        .size:           4
        .value_kind:     by_value
      - .offset:         84
        .size:           1
        .value_kind:     by_value
    .group_segment_fixed_size: 2048
    .kernarg_segment_align: 8
    .kernarg_segment_size: 88
    .language:       OpenCL C
    .language_version:
      - 2
      - 0
    .max_flat_workgroup_size: 128
    .name:           _ZN9rocsparseL19gebsrmvn_4xn_kernelILj128ELj1ELj16E21rocsparse_complex_numIdEEEvi20rocsparse_direction_NS_24const_host_device_scalarIT2_EEPKiS8_PKS5_SA_S6_PS5_21rocsparse_index_base_b
    .private_segment_fixed_size: 0
    .sgpr_count:     20
    .sgpr_spill_count: 0
    .symbol:         _ZN9rocsparseL19gebsrmvn_4xn_kernelILj128ELj1ELj16E21rocsparse_complex_numIdEEEvi20rocsparse_direction_NS_24const_host_device_scalarIT2_EEPKiS8_PKS5_SA_S6_PS5_21rocsparse_index_base_b.kd
    .uniform_work_group_size: 1
    .uses_dynamic_stack: false
    .vgpr_count:     54
    .vgpr_spill_count: 0
    .wavefront_size: 32
    .workgroup_processor_mode: 1
  - .args:
      - .offset:         0
        .size:           4
        .value_kind:     by_value
      - .offset:         4
        .size:           4
        .value_kind:     by_value
      - .offset:         8
        .size:           16
        .value_kind:     by_value
      - .actual_access:  read_only
        .address_space:  global
        .offset:         24
        .size:           8
        .value_kind:     global_buffer
      - .actual_access:  read_only
        .address_space:  global
        .offset:         32
        .size:           8
        .value_kind:     global_buffer
      - .actual_access:  read_only
        .address_space:  global
        .offset:         40
        .size:           8
        .value_kind:     global_buffer
      - .actual_access:  read_only
        .address_space:  global
        .offset:         48
        .size:           8
        .value_kind:     global_buffer
      - .offset:         56
        .size:           16
        .value_kind:     by_value
      - .address_space:  global
        .offset:         72
        .size:           8
        .value_kind:     global_buffer
      - .offset:         80
        .size:           4
        .value_kind:     by_value
      - .offset:         84
        .size:           1
        .value_kind:     by_value
    .group_segment_fixed_size: 2048
    .kernarg_segment_align: 8
    .kernarg_segment_size: 88
    .language:       OpenCL C
    .language_version:
      - 2
      - 0
    .max_flat_workgroup_size: 128
    .name:           _ZN9rocsparseL19gebsrmvn_4xn_kernelILj128ELj1ELj32E21rocsparse_complex_numIdEEEvi20rocsparse_direction_NS_24const_host_device_scalarIT2_EEPKiS8_PKS5_SA_S6_PS5_21rocsparse_index_base_b
    .private_segment_fixed_size: 0
    .sgpr_count:     20
    .sgpr_spill_count: 0
    .symbol:         _ZN9rocsparseL19gebsrmvn_4xn_kernelILj128ELj1ELj32E21rocsparse_complex_numIdEEEvi20rocsparse_direction_NS_24const_host_device_scalarIT2_EEPKiS8_PKS5_SA_S6_PS5_21rocsparse_index_base_b.kd
    .uniform_work_group_size: 1
    .uses_dynamic_stack: false
    .vgpr_count:     54
    .vgpr_spill_count: 0
    .wavefront_size: 32
    .workgroup_processor_mode: 1
  - .args:
      - .offset:         0
        .size:           4
        .value_kind:     by_value
      - .offset:         4
        .size:           4
        .value_kind:     by_value
      - .offset:         8
        .size:           16
        .value_kind:     by_value
      - .actual_access:  read_only
        .address_space:  global
        .offset:         24
        .size:           8
        .value_kind:     global_buffer
      - .actual_access:  read_only
        .address_space:  global
        .offset:         32
        .size:           8
        .value_kind:     global_buffer
      - .actual_access:  read_only
        .address_space:  global
        .offset:         40
        .size:           8
        .value_kind:     global_buffer
      - .actual_access:  read_only
        .address_space:  global
        .offset:         48
        .size:           8
        .value_kind:     global_buffer
      - .offset:         56
        .size:           16
        .value_kind:     by_value
      - .address_space:  global
        .offset:         72
        .size:           8
        .value_kind:     global_buffer
      - .offset:         80
        .size:           4
        .value_kind:     by_value
      - .offset:         84
        .size:           1
        .value_kind:     by_value
    .group_segment_fixed_size: 2048
    .kernarg_segment_align: 8
    .kernarg_segment_size: 88
    .language:       OpenCL C
    .language_version:
      - 2
      - 0
    .max_flat_workgroup_size: 128
    .name:           _ZN9rocsparseL19gebsrmvn_4xn_kernelILj128ELj1ELj64E21rocsparse_complex_numIdEEEvi20rocsparse_direction_NS_24const_host_device_scalarIT2_EEPKiS8_PKS5_SA_S6_PS5_21rocsparse_index_base_b
    .private_segment_fixed_size: 0
    .sgpr_count:     20
    .sgpr_spill_count: 0
    .symbol:         _ZN9rocsparseL19gebsrmvn_4xn_kernelILj128ELj1ELj64E21rocsparse_complex_numIdEEEvi20rocsparse_direction_NS_24const_host_device_scalarIT2_EEPKiS8_PKS5_SA_S6_PS5_21rocsparse_index_base_b.kd
    .uniform_work_group_size: 1
    .uses_dynamic_stack: false
    .vgpr_count:     54
    .vgpr_spill_count: 0
    .wavefront_size: 32
    .workgroup_processor_mode: 1
  - .args:
      - .offset:         0
        .size:           4
        .value_kind:     by_value
      - .offset:         4
        .size:           4
        .value_kind:     by_value
      - .offset:         8
        .size:           16
        .value_kind:     by_value
      - .actual_access:  read_only
        .address_space:  global
        .offset:         24
        .size:           8
        .value_kind:     global_buffer
      - .actual_access:  read_only
        .address_space:  global
        .offset:         32
        .size:           8
        .value_kind:     global_buffer
      - .actual_access:  read_only
        .address_space:  global
        .offset:         40
        .size:           8
        .value_kind:     global_buffer
      - .actual_access:  read_only
        .address_space:  global
        .offset:         48
        .size:           8
        .value_kind:     global_buffer
      - .offset:         56
        .size:           16
        .value_kind:     by_value
      - .address_space:  global
        .offset:         72
        .size:           8
        .value_kind:     global_buffer
      - .offset:         80
        .size:           4
        .value_kind:     by_value
      - .offset:         84
        .size:           1
        .value_kind:     by_value
    .group_segment_fixed_size: 2048
    .kernarg_segment_align: 8
    .kernarg_segment_size: 88
    .language:       OpenCL C
    .language_version:
      - 2
      - 0
    .max_flat_workgroup_size: 128
    .name:           _ZN9rocsparseL19gebsrmvn_4xn_kernelILj128ELj2ELj4E21rocsparse_complex_numIdEEEvi20rocsparse_direction_NS_24const_host_device_scalarIT2_EEPKiS8_PKS5_SA_S6_PS5_21rocsparse_index_base_b
    .private_segment_fixed_size: 0
    .sgpr_count:     20
    .sgpr_spill_count: 0
    .symbol:         _ZN9rocsparseL19gebsrmvn_4xn_kernelILj128ELj2ELj4E21rocsparse_complex_numIdEEEvi20rocsparse_direction_NS_24const_host_device_scalarIT2_EEPKiS8_PKS5_SA_S6_PS5_21rocsparse_index_base_b.kd
    .uniform_work_group_size: 1
    .uses_dynamic_stack: false
    .vgpr_count:     74
    .vgpr_spill_count: 0
    .wavefront_size: 32
    .workgroup_processor_mode: 1
  - .args:
      - .offset:         0
        .size:           4
        .value_kind:     by_value
      - .offset:         4
        .size:           4
        .value_kind:     by_value
      - .offset:         8
        .size:           16
        .value_kind:     by_value
      - .actual_access:  read_only
        .address_space:  global
        .offset:         24
        .size:           8
        .value_kind:     global_buffer
      - .actual_access:  read_only
        .address_space:  global
        .offset:         32
        .size:           8
        .value_kind:     global_buffer
      - .actual_access:  read_only
        .address_space:  global
        .offset:         40
        .size:           8
        .value_kind:     global_buffer
      - .actual_access:  read_only
        .address_space:  global
        .offset:         48
        .size:           8
        .value_kind:     global_buffer
      - .offset:         56
        .size:           16
        .value_kind:     by_value
      - .address_space:  global
        .offset:         72
        .size:           8
        .value_kind:     global_buffer
      - .offset:         80
        .size:           4
        .value_kind:     by_value
      - .offset:         84
        .size:           1
        .value_kind:     by_value
    .group_segment_fixed_size: 2048
    .kernarg_segment_align: 8
    .kernarg_segment_size: 88
    .language:       OpenCL C
    .language_version:
      - 2
      - 0
    .max_flat_workgroup_size: 128
    .name:           _ZN9rocsparseL19gebsrmvn_4xn_kernelILj128ELj2ELj8E21rocsparse_complex_numIdEEEvi20rocsparse_direction_NS_24const_host_device_scalarIT2_EEPKiS8_PKS5_SA_S6_PS5_21rocsparse_index_base_b
    .private_segment_fixed_size: 0
    .sgpr_count:     20
    .sgpr_spill_count: 0
    .symbol:         _ZN9rocsparseL19gebsrmvn_4xn_kernelILj128ELj2ELj8E21rocsparse_complex_numIdEEEvi20rocsparse_direction_NS_24const_host_device_scalarIT2_EEPKiS8_PKS5_SA_S6_PS5_21rocsparse_index_base_b.kd
    .uniform_work_group_size: 1
    .uses_dynamic_stack: false
    .vgpr_count:     74
    .vgpr_spill_count: 0
    .wavefront_size: 32
    .workgroup_processor_mode: 1
  - .args:
      - .offset:         0
        .size:           4
        .value_kind:     by_value
      - .offset:         4
        .size:           4
        .value_kind:     by_value
      - .offset:         8
        .size:           16
        .value_kind:     by_value
      - .actual_access:  read_only
        .address_space:  global
        .offset:         24
        .size:           8
        .value_kind:     global_buffer
      - .actual_access:  read_only
        .address_space:  global
        .offset:         32
        .size:           8
        .value_kind:     global_buffer
      - .actual_access:  read_only
        .address_space:  global
        .offset:         40
        .size:           8
        .value_kind:     global_buffer
      - .actual_access:  read_only
        .address_space:  global
        .offset:         48
        .size:           8
        .value_kind:     global_buffer
      - .offset:         56
        .size:           16
        .value_kind:     by_value
      - .address_space:  global
        .offset:         72
        .size:           8
        .value_kind:     global_buffer
      - .offset:         80
        .size:           4
        .value_kind:     by_value
      - .offset:         84
        .size:           1
        .value_kind:     by_value
    .group_segment_fixed_size: 2048
    .kernarg_segment_align: 8
    .kernarg_segment_size: 88
    .language:       OpenCL C
    .language_version:
      - 2
      - 0
    .max_flat_workgroup_size: 128
    .name:           _ZN9rocsparseL19gebsrmvn_4xn_kernelILj128ELj2ELj16E21rocsparse_complex_numIdEEEvi20rocsparse_direction_NS_24const_host_device_scalarIT2_EEPKiS8_PKS5_SA_S6_PS5_21rocsparse_index_base_b
    .private_segment_fixed_size: 0
    .sgpr_count:     20
    .sgpr_spill_count: 0
    .symbol:         _ZN9rocsparseL19gebsrmvn_4xn_kernelILj128ELj2ELj16E21rocsparse_complex_numIdEEEvi20rocsparse_direction_NS_24const_host_device_scalarIT2_EEPKiS8_PKS5_SA_S6_PS5_21rocsparse_index_base_b.kd
    .uniform_work_group_size: 1
    .uses_dynamic_stack: false
    .vgpr_count:     74
    .vgpr_spill_count: 0
    .wavefront_size: 32
    .workgroup_processor_mode: 1
  - .args:
      - .offset:         0
        .size:           4
        .value_kind:     by_value
      - .offset:         4
        .size:           4
        .value_kind:     by_value
      - .offset:         8
        .size:           16
        .value_kind:     by_value
      - .actual_access:  read_only
        .address_space:  global
        .offset:         24
        .size:           8
        .value_kind:     global_buffer
      - .actual_access:  read_only
        .address_space:  global
        .offset:         32
        .size:           8
        .value_kind:     global_buffer
      - .actual_access:  read_only
        .address_space:  global
        .offset:         40
        .size:           8
        .value_kind:     global_buffer
      - .actual_access:  read_only
        .address_space:  global
        .offset:         48
        .size:           8
        .value_kind:     global_buffer
      - .offset:         56
        .size:           16
        .value_kind:     by_value
      - .address_space:  global
        .offset:         72
        .size:           8
        .value_kind:     global_buffer
      - .offset:         80
        .size:           4
        .value_kind:     by_value
      - .offset:         84
        .size:           1
        .value_kind:     by_value
    .group_segment_fixed_size: 2048
    .kernarg_segment_align: 8
    .kernarg_segment_size: 88
    .language:       OpenCL C
    .language_version:
      - 2
      - 0
    .max_flat_workgroup_size: 128
    .name:           _ZN9rocsparseL19gebsrmvn_4xn_kernelILj128ELj2ELj32E21rocsparse_complex_numIdEEEvi20rocsparse_direction_NS_24const_host_device_scalarIT2_EEPKiS8_PKS5_SA_S6_PS5_21rocsparse_index_base_b
    .private_segment_fixed_size: 0
    .sgpr_count:     20
    .sgpr_spill_count: 0
    .symbol:         _ZN9rocsparseL19gebsrmvn_4xn_kernelILj128ELj2ELj32E21rocsparse_complex_numIdEEEvi20rocsparse_direction_NS_24const_host_device_scalarIT2_EEPKiS8_PKS5_SA_S6_PS5_21rocsparse_index_base_b.kd
    .uniform_work_group_size: 1
    .uses_dynamic_stack: false
    .vgpr_count:     74
    .vgpr_spill_count: 0
    .wavefront_size: 32
    .workgroup_processor_mode: 1
  - .args:
      - .offset:         0
        .size:           4
        .value_kind:     by_value
      - .offset:         4
        .size:           4
        .value_kind:     by_value
      - .offset:         8
        .size:           16
        .value_kind:     by_value
      - .actual_access:  read_only
        .address_space:  global
        .offset:         24
        .size:           8
        .value_kind:     global_buffer
      - .actual_access:  read_only
        .address_space:  global
        .offset:         32
        .size:           8
        .value_kind:     global_buffer
      - .actual_access:  read_only
        .address_space:  global
        .offset:         40
        .size:           8
        .value_kind:     global_buffer
      - .actual_access:  read_only
        .address_space:  global
        .offset:         48
        .size:           8
        .value_kind:     global_buffer
      - .offset:         56
        .size:           16
        .value_kind:     by_value
      - .address_space:  global
        .offset:         72
        .size:           8
        .value_kind:     global_buffer
      - .offset:         80
        .size:           4
        .value_kind:     by_value
      - .offset:         84
        .size:           1
        .value_kind:     by_value
    .group_segment_fixed_size: 2048
    .kernarg_segment_align: 8
    .kernarg_segment_size: 88
    .language:       OpenCL C
    .language_version:
      - 2
      - 0
    .max_flat_workgroup_size: 128
    .name:           _ZN9rocsparseL19gebsrmvn_4xn_kernelILj128ELj2ELj64E21rocsparse_complex_numIdEEEvi20rocsparse_direction_NS_24const_host_device_scalarIT2_EEPKiS8_PKS5_SA_S6_PS5_21rocsparse_index_base_b
    .private_segment_fixed_size: 0
    .sgpr_count:     20
    .sgpr_spill_count: 0
    .symbol:         _ZN9rocsparseL19gebsrmvn_4xn_kernelILj128ELj2ELj64E21rocsparse_complex_numIdEEEvi20rocsparse_direction_NS_24const_host_device_scalarIT2_EEPKiS8_PKS5_SA_S6_PS5_21rocsparse_index_base_b.kd
    .uniform_work_group_size: 1
    .uses_dynamic_stack: false
    .vgpr_count:     74
    .vgpr_spill_count: 0
    .wavefront_size: 32
    .workgroup_processor_mode: 1
  - .args:
      - .offset:         0
        .size:           4
        .value_kind:     by_value
      - .offset:         4
        .size:           4
        .value_kind:     by_value
      - .offset:         8
        .size:           16
        .value_kind:     by_value
      - .actual_access:  read_only
        .address_space:  global
        .offset:         24
        .size:           8
        .value_kind:     global_buffer
      - .actual_access:  read_only
        .address_space:  global
        .offset:         32
        .size:           8
        .value_kind:     global_buffer
      - .actual_access:  read_only
        .address_space:  global
        .offset:         40
        .size:           8
        .value_kind:     global_buffer
      - .actual_access:  read_only
        .address_space:  global
        .offset:         48
        .size:           8
        .value_kind:     global_buffer
      - .offset:         56
        .size:           16
        .value_kind:     by_value
      - .address_space:  global
        .offset:         72
        .size:           8
        .value_kind:     global_buffer
      - .offset:         80
        .size:           4
        .value_kind:     by_value
      - .offset:         84
        .size:           1
        .value_kind:     by_value
    .group_segment_fixed_size: 2048
    .kernarg_segment_align: 8
    .kernarg_segment_size: 88
    .language:       OpenCL C
    .language_version:
      - 2
      - 0
    .max_flat_workgroup_size: 128
    .name:           _ZN9rocsparseL19gebsrmvn_4xn_kernelILj128ELj3ELj4E21rocsparse_complex_numIdEEEvi20rocsparse_direction_NS_24const_host_device_scalarIT2_EEPKiS8_PKS5_SA_S6_PS5_21rocsparse_index_base_b
    .private_segment_fixed_size: 0
    .sgpr_count:     20
    .sgpr_spill_count: 0
    .symbol:         _ZN9rocsparseL19gebsrmvn_4xn_kernelILj128ELj3ELj4E21rocsparse_complex_numIdEEEvi20rocsparse_direction_NS_24const_host_device_scalarIT2_EEPKiS8_PKS5_SA_S6_PS5_21rocsparse_index_base_b.kd
    .uniform_work_group_size: 1
    .uses_dynamic_stack: false
    .vgpr_count:     94
    .vgpr_spill_count: 0
    .wavefront_size: 32
    .workgroup_processor_mode: 1
  - .args:
      - .offset:         0
        .size:           4
        .value_kind:     by_value
      - .offset:         4
        .size:           4
        .value_kind:     by_value
      - .offset:         8
        .size:           16
        .value_kind:     by_value
      - .actual_access:  read_only
        .address_space:  global
        .offset:         24
        .size:           8
        .value_kind:     global_buffer
      - .actual_access:  read_only
        .address_space:  global
        .offset:         32
        .size:           8
        .value_kind:     global_buffer
      - .actual_access:  read_only
        .address_space:  global
        .offset:         40
        .size:           8
        .value_kind:     global_buffer
      - .actual_access:  read_only
        .address_space:  global
        .offset:         48
        .size:           8
        .value_kind:     global_buffer
      - .offset:         56
        .size:           16
        .value_kind:     by_value
      - .address_space:  global
        .offset:         72
        .size:           8
        .value_kind:     global_buffer
      - .offset:         80
        .size:           4
        .value_kind:     by_value
      - .offset:         84
        .size:           1
        .value_kind:     by_value
    .group_segment_fixed_size: 2048
    .kernarg_segment_align: 8
    .kernarg_segment_size: 88
    .language:       OpenCL C
    .language_version:
      - 2
      - 0
    .max_flat_workgroup_size: 128
    .name:           _ZN9rocsparseL19gebsrmvn_4xn_kernelILj128ELj3ELj8E21rocsparse_complex_numIdEEEvi20rocsparse_direction_NS_24const_host_device_scalarIT2_EEPKiS8_PKS5_SA_S6_PS5_21rocsparse_index_base_b
    .private_segment_fixed_size: 0
    .sgpr_count:     20
    .sgpr_spill_count: 0
    .symbol:         _ZN9rocsparseL19gebsrmvn_4xn_kernelILj128ELj3ELj8E21rocsparse_complex_numIdEEEvi20rocsparse_direction_NS_24const_host_device_scalarIT2_EEPKiS8_PKS5_SA_S6_PS5_21rocsparse_index_base_b.kd
    .uniform_work_group_size: 1
    .uses_dynamic_stack: false
    .vgpr_count:     94
    .vgpr_spill_count: 0
    .wavefront_size: 32
    .workgroup_processor_mode: 1
  - .args:
      - .offset:         0
        .size:           4
        .value_kind:     by_value
      - .offset:         4
        .size:           4
        .value_kind:     by_value
      - .offset:         8
        .size:           16
        .value_kind:     by_value
      - .actual_access:  read_only
        .address_space:  global
        .offset:         24
        .size:           8
        .value_kind:     global_buffer
      - .actual_access:  read_only
        .address_space:  global
        .offset:         32
        .size:           8
        .value_kind:     global_buffer
      - .actual_access:  read_only
        .address_space:  global
        .offset:         40
        .size:           8
        .value_kind:     global_buffer
      - .actual_access:  read_only
        .address_space:  global
        .offset:         48
        .size:           8
        .value_kind:     global_buffer
      - .offset:         56
        .size:           16
        .value_kind:     by_value
      - .address_space:  global
        .offset:         72
        .size:           8
        .value_kind:     global_buffer
      - .offset:         80
        .size:           4
        .value_kind:     by_value
      - .offset:         84
        .size:           1
        .value_kind:     by_value
    .group_segment_fixed_size: 2048
    .kernarg_segment_align: 8
    .kernarg_segment_size: 88
    .language:       OpenCL C
    .language_version:
      - 2
      - 0
    .max_flat_workgroup_size: 128
    .name:           _ZN9rocsparseL19gebsrmvn_4xn_kernelILj128ELj3ELj16E21rocsparse_complex_numIdEEEvi20rocsparse_direction_NS_24const_host_device_scalarIT2_EEPKiS8_PKS5_SA_S6_PS5_21rocsparse_index_base_b
    .private_segment_fixed_size: 0
    .sgpr_count:     20
    .sgpr_spill_count: 0
    .symbol:         _ZN9rocsparseL19gebsrmvn_4xn_kernelILj128ELj3ELj16E21rocsparse_complex_numIdEEEvi20rocsparse_direction_NS_24const_host_device_scalarIT2_EEPKiS8_PKS5_SA_S6_PS5_21rocsparse_index_base_b.kd
    .uniform_work_group_size: 1
    .uses_dynamic_stack: false
    .vgpr_count:     94
    .vgpr_spill_count: 0
    .wavefront_size: 32
    .workgroup_processor_mode: 1
  - .args:
      - .offset:         0
        .size:           4
        .value_kind:     by_value
      - .offset:         4
        .size:           4
        .value_kind:     by_value
      - .offset:         8
        .size:           16
        .value_kind:     by_value
      - .actual_access:  read_only
        .address_space:  global
        .offset:         24
        .size:           8
        .value_kind:     global_buffer
      - .actual_access:  read_only
        .address_space:  global
        .offset:         32
        .size:           8
        .value_kind:     global_buffer
      - .actual_access:  read_only
        .address_space:  global
        .offset:         40
        .size:           8
        .value_kind:     global_buffer
      - .actual_access:  read_only
        .address_space:  global
        .offset:         48
        .size:           8
        .value_kind:     global_buffer
      - .offset:         56
        .size:           16
        .value_kind:     by_value
      - .address_space:  global
        .offset:         72
        .size:           8
        .value_kind:     global_buffer
      - .offset:         80
        .size:           4
        .value_kind:     by_value
      - .offset:         84
        .size:           1
        .value_kind:     by_value
    .group_segment_fixed_size: 2048
    .kernarg_segment_align: 8
    .kernarg_segment_size: 88
    .language:       OpenCL C
    .language_version:
      - 2
      - 0
    .max_flat_workgroup_size: 128
    .name:           _ZN9rocsparseL19gebsrmvn_4xn_kernelILj128ELj3ELj32E21rocsparse_complex_numIdEEEvi20rocsparse_direction_NS_24const_host_device_scalarIT2_EEPKiS8_PKS5_SA_S6_PS5_21rocsparse_index_base_b
    .private_segment_fixed_size: 0
    .sgpr_count:     20
    .sgpr_spill_count: 0
    .symbol:         _ZN9rocsparseL19gebsrmvn_4xn_kernelILj128ELj3ELj32E21rocsparse_complex_numIdEEEvi20rocsparse_direction_NS_24const_host_device_scalarIT2_EEPKiS8_PKS5_SA_S6_PS5_21rocsparse_index_base_b.kd
    .uniform_work_group_size: 1
    .uses_dynamic_stack: false
    .vgpr_count:     94
    .vgpr_spill_count: 0
    .wavefront_size: 32
    .workgroup_processor_mode: 1
  - .args:
      - .offset:         0
        .size:           4
        .value_kind:     by_value
      - .offset:         4
        .size:           4
        .value_kind:     by_value
      - .offset:         8
        .size:           16
        .value_kind:     by_value
      - .actual_access:  read_only
        .address_space:  global
        .offset:         24
        .size:           8
        .value_kind:     global_buffer
      - .actual_access:  read_only
        .address_space:  global
        .offset:         32
        .size:           8
        .value_kind:     global_buffer
      - .actual_access:  read_only
        .address_space:  global
        .offset:         40
        .size:           8
        .value_kind:     global_buffer
      - .actual_access:  read_only
        .address_space:  global
        .offset:         48
        .size:           8
        .value_kind:     global_buffer
      - .offset:         56
        .size:           16
        .value_kind:     by_value
      - .address_space:  global
        .offset:         72
        .size:           8
        .value_kind:     global_buffer
      - .offset:         80
        .size:           4
        .value_kind:     by_value
      - .offset:         84
        .size:           1
        .value_kind:     by_value
    .group_segment_fixed_size: 2048
    .kernarg_segment_align: 8
    .kernarg_segment_size: 88
    .language:       OpenCL C
    .language_version:
      - 2
      - 0
    .max_flat_workgroup_size: 128
    .name:           _ZN9rocsparseL19gebsrmvn_4xn_kernelILj128ELj3ELj64E21rocsparse_complex_numIdEEEvi20rocsparse_direction_NS_24const_host_device_scalarIT2_EEPKiS8_PKS5_SA_S6_PS5_21rocsparse_index_base_b
    .private_segment_fixed_size: 0
    .sgpr_count:     20
    .sgpr_spill_count: 0
    .symbol:         _ZN9rocsparseL19gebsrmvn_4xn_kernelILj128ELj3ELj64E21rocsparse_complex_numIdEEEvi20rocsparse_direction_NS_24const_host_device_scalarIT2_EEPKiS8_PKS5_SA_S6_PS5_21rocsparse_index_base_b.kd
    .uniform_work_group_size: 1
    .uses_dynamic_stack: false
    .vgpr_count:     94
    .vgpr_spill_count: 0
    .wavefront_size: 32
    .workgroup_processor_mode: 1
  - .args:
      - .offset:         0
        .size:           4
        .value_kind:     by_value
      - .offset:         4
        .size:           4
        .value_kind:     by_value
      - .offset:         8
        .size:           16
        .value_kind:     by_value
      - .actual_access:  read_only
        .address_space:  global
        .offset:         24
        .size:           8
        .value_kind:     global_buffer
      - .actual_access:  read_only
        .address_space:  global
        .offset:         32
        .size:           8
        .value_kind:     global_buffer
      - .actual_access:  read_only
        .address_space:  global
        .offset:         40
        .size:           8
        .value_kind:     global_buffer
      - .actual_access:  read_only
        .address_space:  global
        .offset:         48
        .size:           8
        .value_kind:     global_buffer
      - .offset:         56
        .size:           16
        .value_kind:     by_value
      - .address_space:  global
        .offset:         72
        .size:           8
        .value_kind:     global_buffer
      - .offset:         80
        .size:           4
        .value_kind:     by_value
      - .offset:         84
        .size:           1
        .value_kind:     by_value
    .group_segment_fixed_size: 2048
    .kernarg_segment_align: 8
    .kernarg_segment_size: 88
    .language:       OpenCL C
    .language_version:
      - 2
      - 0
    .max_flat_workgroup_size: 128
    .name:           _ZN9rocsparseL19gebsrmvn_4xn_kernelILj128ELj5ELj4E21rocsparse_complex_numIdEEEvi20rocsparse_direction_NS_24const_host_device_scalarIT2_EEPKiS8_PKS5_SA_S6_PS5_21rocsparse_index_base_b
    .private_segment_fixed_size: 0
    .sgpr_count:     20
    .sgpr_spill_count: 0
    .symbol:         _ZN9rocsparseL19gebsrmvn_4xn_kernelILj128ELj5ELj4E21rocsparse_complex_numIdEEEvi20rocsparse_direction_NS_24const_host_device_scalarIT2_EEPKiS8_PKS5_SA_S6_PS5_21rocsparse_index_base_b.kd
    .uniform_work_group_size: 1
    .uses_dynamic_stack: false
    .vgpr_count:     134
    .vgpr_spill_count: 0
    .wavefront_size: 32
    .workgroup_processor_mode: 1
  - .args:
      - .offset:         0
        .size:           4
        .value_kind:     by_value
      - .offset:         4
        .size:           4
        .value_kind:     by_value
      - .offset:         8
        .size:           16
        .value_kind:     by_value
      - .actual_access:  read_only
        .address_space:  global
        .offset:         24
        .size:           8
        .value_kind:     global_buffer
      - .actual_access:  read_only
        .address_space:  global
        .offset:         32
        .size:           8
        .value_kind:     global_buffer
      - .actual_access:  read_only
        .address_space:  global
        .offset:         40
        .size:           8
        .value_kind:     global_buffer
      - .actual_access:  read_only
        .address_space:  global
        .offset:         48
        .size:           8
        .value_kind:     global_buffer
      - .offset:         56
        .size:           16
        .value_kind:     by_value
      - .address_space:  global
        .offset:         72
        .size:           8
        .value_kind:     global_buffer
      - .offset:         80
        .size:           4
        .value_kind:     by_value
      - .offset:         84
        .size:           1
        .value_kind:     by_value
    .group_segment_fixed_size: 2048
    .kernarg_segment_align: 8
    .kernarg_segment_size: 88
    .language:       OpenCL C
    .language_version:
      - 2
      - 0
    .max_flat_workgroup_size: 128
    .name:           _ZN9rocsparseL19gebsrmvn_4xn_kernelILj128ELj5ELj8E21rocsparse_complex_numIdEEEvi20rocsparse_direction_NS_24const_host_device_scalarIT2_EEPKiS8_PKS5_SA_S6_PS5_21rocsparse_index_base_b
    .private_segment_fixed_size: 0
    .sgpr_count:     20
    .sgpr_spill_count: 0
    .symbol:         _ZN9rocsparseL19gebsrmvn_4xn_kernelILj128ELj5ELj8E21rocsparse_complex_numIdEEEvi20rocsparse_direction_NS_24const_host_device_scalarIT2_EEPKiS8_PKS5_SA_S6_PS5_21rocsparse_index_base_b.kd
    .uniform_work_group_size: 1
    .uses_dynamic_stack: false
    .vgpr_count:     134
    .vgpr_spill_count: 0
    .wavefront_size: 32
    .workgroup_processor_mode: 1
  - .args:
      - .offset:         0
        .size:           4
        .value_kind:     by_value
      - .offset:         4
        .size:           4
        .value_kind:     by_value
      - .offset:         8
        .size:           16
        .value_kind:     by_value
      - .actual_access:  read_only
        .address_space:  global
        .offset:         24
        .size:           8
        .value_kind:     global_buffer
      - .actual_access:  read_only
        .address_space:  global
        .offset:         32
        .size:           8
        .value_kind:     global_buffer
      - .actual_access:  read_only
        .address_space:  global
        .offset:         40
        .size:           8
        .value_kind:     global_buffer
      - .actual_access:  read_only
        .address_space:  global
        .offset:         48
        .size:           8
        .value_kind:     global_buffer
      - .offset:         56
        .size:           16
        .value_kind:     by_value
      - .address_space:  global
        .offset:         72
        .size:           8
        .value_kind:     global_buffer
      - .offset:         80
        .size:           4
        .value_kind:     by_value
      - .offset:         84
        .size:           1
        .value_kind:     by_value
    .group_segment_fixed_size: 2048
    .kernarg_segment_align: 8
    .kernarg_segment_size: 88
    .language:       OpenCL C
    .language_version:
      - 2
      - 0
    .max_flat_workgroup_size: 128
    .name:           _ZN9rocsparseL19gebsrmvn_4xn_kernelILj128ELj5ELj16E21rocsparse_complex_numIdEEEvi20rocsparse_direction_NS_24const_host_device_scalarIT2_EEPKiS8_PKS5_SA_S6_PS5_21rocsparse_index_base_b
    .private_segment_fixed_size: 0
    .sgpr_count:     20
    .sgpr_spill_count: 0
    .symbol:         _ZN9rocsparseL19gebsrmvn_4xn_kernelILj128ELj5ELj16E21rocsparse_complex_numIdEEEvi20rocsparse_direction_NS_24const_host_device_scalarIT2_EEPKiS8_PKS5_SA_S6_PS5_21rocsparse_index_base_b.kd
    .uniform_work_group_size: 1
    .uses_dynamic_stack: false
    .vgpr_count:     134
    .vgpr_spill_count: 0
    .wavefront_size: 32
    .workgroup_processor_mode: 1
  - .args:
      - .offset:         0
        .size:           4
        .value_kind:     by_value
      - .offset:         4
        .size:           4
        .value_kind:     by_value
      - .offset:         8
        .size:           16
        .value_kind:     by_value
      - .actual_access:  read_only
        .address_space:  global
        .offset:         24
        .size:           8
        .value_kind:     global_buffer
      - .actual_access:  read_only
        .address_space:  global
        .offset:         32
        .size:           8
        .value_kind:     global_buffer
      - .actual_access:  read_only
        .address_space:  global
        .offset:         40
        .size:           8
        .value_kind:     global_buffer
      - .actual_access:  read_only
        .address_space:  global
        .offset:         48
        .size:           8
        .value_kind:     global_buffer
      - .offset:         56
        .size:           16
        .value_kind:     by_value
      - .address_space:  global
        .offset:         72
        .size:           8
        .value_kind:     global_buffer
      - .offset:         80
        .size:           4
        .value_kind:     by_value
      - .offset:         84
        .size:           1
        .value_kind:     by_value
    .group_segment_fixed_size: 2048
    .kernarg_segment_align: 8
    .kernarg_segment_size: 88
    .language:       OpenCL C
    .language_version:
      - 2
      - 0
    .max_flat_workgroup_size: 128
    .name:           _ZN9rocsparseL19gebsrmvn_4xn_kernelILj128ELj5ELj32E21rocsparse_complex_numIdEEEvi20rocsparse_direction_NS_24const_host_device_scalarIT2_EEPKiS8_PKS5_SA_S6_PS5_21rocsparse_index_base_b
    .private_segment_fixed_size: 0
    .sgpr_count:     20
    .sgpr_spill_count: 0
    .symbol:         _ZN9rocsparseL19gebsrmvn_4xn_kernelILj128ELj5ELj32E21rocsparse_complex_numIdEEEvi20rocsparse_direction_NS_24const_host_device_scalarIT2_EEPKiS8_PKS5_SA_S6_PS5_21rocsparse_index_base_b.kd
    .uniform_work_group_size: 1
    .uses_dynamic_stack: false
    .vgpr_count:     134
    .vgpr_spill_count: 0
    .wavefront_size: 32
    .workgroup_processor_mode: 1
  - .args:
      - .offset:         0
        .size:           4
        .value_kind:     by_value
      - .offset:         4
        .size:           4
        .value_kind:     by_value
      - .offset:         8
        .size:           16
        .value_kind:     by_value
      - .actual_access:  read_only
        .address_space:  global
        .offset:         24
        .size:           8
        .value_kind:     global_buffer
      - .actual_access:  read_only
        .address_space:  global
        .offset:         32
        .size:           8
        .value_kind:     global_buffer
      - .actual_access:  read_only
        .address_space:  global
        .offset:         40
        .size:           8
        .value_kind:     global_buffer
      - .actual_access:  read_only
        .address_space:  global
        .offset:         48
        .size:           8
        .value_kind:     global_buffer
      - .offset:         56
        .size:           16
        .value_kind:     by_value
      - .address_space:  global
        .offset:         72
        .size:           8
        .value_kind:     global_buffer
      - .offset:         80
        .size:           4
        .value_kind:     by_value
      - .offset:         84
        .size:           1
        .value_kind:     by_value
    .group_segment_fixed_size: 2048
    .kernarg_segment_align: 8
    .kernarg_segment_size: 88
    .language:       OpenCL C
    .language_version:
      - 2
      - 0
    .max_flat_workgroup_size: 128
    .name:           _ZN9rocsparseL19gebsrmvn_4xn_kernelILj128ELj5ELj64E21rocsparse_complex_numIdEEEvi20rocsparse_direction_NS_24const_host_device_scalarIT2_EEPKiS8_PKS5_SA_S6_PS5_21rocsparse_index_base_b
    .private_segment_fixed_size: 0
    .sgpr_count:     20
    .sgpr_spill_count: 0
    .symbol:         _ZN9rocsparseL19gebsrmvn_4xn_kernelILj128ELj5ELj64E21rocsparse_complex_numIdEEEvi20rocsparse_direction_NS_24const_host_device_scalarIT2_EEPKiS8_PKS5_SA_S6_PS5_21rocsparse_index_base_b.kd
    .uniform_work_group_size: 1
    .uses_dynamic_stack: false
    .vgpr_count:     134
    .vgpr_spill_count: 0
    .wavefront_size: 32
    .workgroup_processor_mode: 1
  - .args:
      - .offset:         0
        .size:           4
        .value_kind:     by_value
      - .offset:         4
        .size:           4
        .value_kind:     by_value
      - .offset:         8
        .size:           16
        .value_kind:     by_value
      - .actual_access:  read_only
        .address_space:  global
        .offset:         24
        .size:           8
        .value_kind:     global_buffer
      - .actual_access:  read_only
        .address_space:  global
        .offset:         32
        .size:           8
        .value_kind:     global_buffer
      - .actual_access:  read_only
        .address_space:  global
        .offset:         40
        .size:           8
        .value_kind:     global_buffer
      - .actual_access:  read_only
        .address_space:  global
        .offset:         48
        .size:           8
        .value_kind:     global_buffer
      - .offset:         56
        .size:           16
        .value_kind:     by_value
      - .address_space:  global
        .offset:         72
        .size:           8
        .value_kind:     global_buffer
      - .offset:         80
        .size:           4
        .value_kind:     by_value
      - .offset:         84
        .size:           1
        .value_kind:     by_value
    .group_segment_fixed_size: 2048
    .kernarg_segment_align: 8
    .kernarg_segment_size: 88
    .language:       OpenCL C
    .language_version:
      - 2
      - 0
    .max_flat_workgroup_size: 128
    .name:           _ZN9rocsparseL19gebsrmvn_4xn_kernelILj128ELj6ELj4E21rocsparse_complex_numIdEEEvi20rocsparse_direction_NS_24const_host_device_scalarIT2_EEPKiS8_PKS5_SA_S6_PS5_21rocsparse_index_base_b
    .private_segment_fixed_size: 0
    .sgpr_count:     20
    .sgpr_spill_count: 0
    .symbol:         _ZN9rocsparseL19gebsrmvn_4xn_kernelILj128ELj6ELj4E21rocsparse_complex_numIdEEEvi20rocsparse_direction_NS_24const_host_device_scalarIT2_EEPKiS8_PKS5_SA_S6_PS5_21rocsparse_index_base_b.kd
    .uniform_work_group_size: 1
    .uses_dynamic_stack: false
    .vgpr_count:     74
    .vgpr_spill_count: 0
    .wavefront_size: 32
    .workgroup_processor_mode: 1
  - .args:
      - .offset:         0
        .size:           4
        .value_kind:     by_value
      - .offset:         4
        .size:           4
        .value_kind:     by_value
      - .offset:         8
        .size:           16
        .value_kind:     by_value
      - .actual_access:  read_only
        .address_space:  global
        .offset:         24
        .size:           8
        .value_kind:     global_buffer
      - .actual_access:  read_only
        .address_space:  global
        .offset:         32
        .size:           8
        .value_kind:     global_buffer
      - .actual_access:  read_only
        .address_space:  global
        .offset:         40
        .size:           8
        .value_kind:     global_buffer
      - .actual_access:  read_only
        .address_space:  global
        .offset:         48
        .size:           8
        .value_kind:     global_buffer
      - .offset:         56
        .size:           16
        .value_kind:     by_value
      - .address_space:  global
        .offset:         72
        .size:           8
        .value_kind:     global_buffer
      - .offset:         80
        .size:           4
        .value_kind:     by_value
      - .offset:         84
        .size:           1
        .value_kind:     by_value
    .group_segment_fixed_size: 2048
    .kernarg_segment_align: 8
    .kernarg_segment_size: 88
    .language:       OpenCL C
    .language_version:
      - 2
      - 0
    .max_flat_workgroup_size: 128
    .name:           _ZN9rocsparseL19gebsrmvn_4xn_kernelILj128ELj6ELj8E21rocsparse_complex_numIdEEEvi20rocsparse_direction_NS_24const_host_device_scalarIT2_EEPKiS8_PKS5_SA_S6_PS5_21rocsparse_index_base_b
    .private_segment_fixed_size: 0
    .sgpr_count:     20
    .sgpr_spill_count: 0
    .symbol:         _ZN9rocsparseL19gebsrmvn_4xn_kernelILj128ELj6ELj8E21rocsparse_complex_numIdEEEvi20rocsparse_direction_NS_24const_host_device_scalarIT2_EEPKiS8_PKS5_SA_S6_PS5_21rocsparse_index_base_b.kd
    .uniform_work_group_size: 1
    .uses_dynamic_stack: false
    .vgpr_count:     74
    .vgpr_spill_count: 0
    .wavefront_size: 32
    .workgroup_processor_mode: 1
  - .args:
      - .offset:         0
        .size:           4
        .value_kind:     by_value
      - .offset:         4
        .size:           4
        .value_kind:     by_value
      - .offset:         8
        .size:           16
        .value_kind:     by_value
      - .actual_access:  read_only
        .address_space:  global
        .offset:         24
        .size:           8
        .value_kind:     global_buffer
      - .actual_access:  read_only
        .address_space:  global
        .offset:         32
        .size:           8
        .value_kind:     global_buffer
      - .actual_access:  read_only
        .address_space:  global
        .offset:         40
        .size:           8
        .value_kind:     global_buffer
      - .actual_access:  read_only
        .address_space:  global
        .offset:         48
        .size:           8
        .value_kind:     global_buffer
      - .offset:         56
        .size:           16
        .value_kind:     by_value
      - .address_space:  global
        .offset:         72
        .size:           8
        .value_kind:     global_buffer
      - .offset:         80
        .size:           4
        .value_kind:     by_value
      - .offset:         84
        .size:           1
        .value_kind:     by_value
    .group_segment_fixed_size: 2048
    .kernarg_segment_align: 8
    .kernarg_segment_size: 88
    .language:       OpenCL C
    .language_version:
      - 2
      - 0
    .max_flat_workgroup_size: 128
    .name:           _ZN9rocsparseL19gebsrmvn_4xn_kernelILj128ELj6ELj16E21rocsparse_complex_numIdEEEvi20rocsparse_direction_NS_24const_host_device_scalarIT2_EEPKiS8_PKS5_SA_S6_PS5_21rocsparse_index_base_b
    .private_segment_fixed_size: 0
    .sgpr_count:     20
    .sgpr_spill_count: 0
    .symbol:         _ZN9rocsparseL19gebsrmvn_4xn_kernelILj128ELj6ELj16E21rocsparse_complex_numIdEEEvi20rocsparse_direction_NS_24const_host_device_scalarIT2_EEPKiS8_PKS5_SA_S6_PS5_21rocsparse_index_base_b.kd
    .uniform_work_group_size: 1
    .uses_dynamic_stack: false
    .vgpr_count:     74
    .vgpr_spill_count: 0
    .wavefront_size: 32
    .workgroup_processor_mode: 1
  - .args:
      - .offset:         0
        .size:           4
        .value_kind:     by_value
      - .offset:         4
        .size:           4
        .value_kind:     by_value
      - .offset:         8
        .size:           16
        .value_kind:     by_value
      - .actual_access:  read_only
        .address_space:  global
        .offset:         24
        .size:           8
        .value_kind:     global_buffer
      - .actual_access:  read_only
        .address_space:  global
        .offset:         32
        .size:           8
        .value_kind:     global_buffer
      - .actual_access:  read_only
        .address_space:  global
        .offset:         40
        .size:           8
        .value_kind:     global_buffer
      - .actual_access:  read_only
        .address_space:  global
        .offset:         48
        .size:           8
        .value_kind:     global_buffer
      - .offset:         56
        .size:           16
        .value_kind:     by_value
      - .address_space:  global
        .offset:         72
        .size:           8
        .value_kind:     global_buffer
      - .offset:         80
        .size:           4
        .value_kind:     by_value
      - .offset:         84
        .size:           1
        .value_kind:     by_value
    .group_segment_fixed_size: 2048
    .kernarg_segment_align: 8
    .kernarg_segment_size: 88
    .language:       OpenCL C
    .language_version:
      - 2
      - 0
    .max_flat_workgroup_size: 128
    .name:           _ZN9rocsparseL19gebsrmvn_4xn_kernelILj128ELj6ELj32E21rocsparse_complex_numIdEEEvi20rocsparse_direction_NS_24const_host_device_scalarIT2_EEPKiS8_PKS5_SA_S6_PS5_21rocsparse_index_base_b
    .private_segment_fixed_size: 0
    .sgpr_count:     20
    .sgpr_spill_count: 0
    .symbol:         _ZN9rocsparseL19gebsrmvn_4xn_kernelILj128ELj6ELj32E21rocsparse_complex_numIdEEEvi20rocsparse_direction_NS_24const_host_device_scalarIT2_EEPKiS8_PKS5_SA_S6_PS5_21rocsparse_index_base_b.kd
    .uniform_work_group_size: 1
    .uses_dynamic_stack: false
    .vgpr_count:     74
    .vgpr_spill_count: 0
    .wavefront_size: 32
    .workgroup_processor_mode: 1
  - .args:
      - .offset:         0
        .size:           4
        .value_kind:     by_value
      - .offset:         4
        .size:           4
        .value_kind:     by_value
      - .offset:         8
        .size:           16
        .value_kind:     by_value
      - .actual_access:  read_only
        .address_space:  global
        .offset:         24
        .size:           8
        .value_kind:     global_buffer
      - .actual_access:  read_only
        .address_space:  global
        .offset:         32
        .size:           8
        .value_kind:     global_buffer
      - .actual_access:  read_only
        .address_space:  global
        .offset:         40
        .size:           8
        .value_kind:     global_buffer
      - .actual_access:  read_only
        .address_space:  global
        .offset:         48
        .size:           8
        .value_kind:     global_buffer
      - .offset:         56
        .size:           16
        .value_kind:     by_value
      - .address_space:  global
        .offset:         72
        .size:           8
        .value_kind:     global_buffer
      - .offset:         80
        .size:           4
        .value_kind:     by_value
      - .offset:         84
        .size:           1
        .value_kind:     by_value
    .group_segment_fixed_size: 2048
    .kernarg_segment_align: 8
    .kernarg_segment_size: 88
    .language:       OpenCL C
    .language_version:
      - 2
      - 0
    .max_flat_workgroup_size: 128
    .name:           _ZN9rocsparseL19gebsrmvn_4xn_kernelILj128ELj6ELj64E21rocsparse_complex_numIdEEEvi20rocsparse_direction_NS_24const_host_device_scalarIT2_EEPKiS8_PKS5_SA_S6_PS5_21rocsparse_index_base_b
    .private_segment_fixed_size: 0
    .sgpr_count:     20
    .sgpr_spill_count: 0
    .symbol:         _ZN9rocsparseL19gebsrmvn_4xn_kernelILj128ELj6ELj64E21rocsparse_complex_numIdEEEvi20rocsparse_direction_NS_24const_host_device_scalarIT2_EEPKiS8_PKS5_SA_S6_PS5_21rocsparse_index_base_b.kd
    .uniform_work_group_size: 1
    .uses_dynamic_stack: false
    .vgpr_count:     74
    .vgpr_spill_count: 0
    .wavefront_size: 32
    .workgroup_processor_mode: 1
  - .args:
      - .offset:         0
        .size:           4
        .value_kind:     by_value
      - .offset:         4
        .size:           4
        .value_kind:     by_value
      - .offset:         8
        .size:           16
        .value_kind:     by_value
      - .actual_access:  read_only
        .address_space:  global
        .offset:         24
        .size:           8
        .value_kind:     global_buffer
      - .actual_access:  read_only
        .address_space:  global
        .offset:         32
        .size:           8
        .value_kind:     global_buffer
      - .actual_access:  read_only
        .address_space:  global
        .offset:         40
        .size:           8
        .value_kind:     global_buffer
      - .actual_access:  read_only
        .address_space:  global
        .offset:         48
        .size:           8
        .value_kind:     global_buffer
      - .offset:         56
        .size:           16
        .value_kind:     by_value
      - .address_space:  global
        .offset:         72
        .size:           8
        .value_kind:     global_buffer
      - .offset:         80
        .size:           4
        .value_kind:     by_value
      - .offset:         84
        .size:           1
        .value_kind:     by_value
    .group_segment_fixed_size: 2048
    .kernarg_segment_align: 8
    .kernarg_segment_size: 88
    .language:       OpenCL C
    .language_version:
      - 2
      - 0
    .max_flat_workgroup_size: 128
    .name:           _ZN9rocsparseL19gebsrmvn_4xn_kernelILj128ELj7ELj4E21rocsparse_complex_numIdEEEvi20rocsparse_direction_NS_24const_host_device_scalarIT2_EEPKiS8_PKS5_SA_S6_PS5_21rocsparse_index_base_b
    .private_segment_fixed_size: 0
    .sgpr_count:     20
    .sgpr_spill_count: 0
    .symbol:         _ZN9rocsparseL19gebsrmvn_4xn_kernelILj128ELj7ELj4E21rocsparse_complex_numIdEEEvi20rocsparse_direction_NS_24const_host_device_scalarIT2_EEPKiS8_PKS5_SA_S6_PS5_21rocsparse_index_base_b.kd
    .uniform_work_group_size: 1
    .uses_dynamic_stack: false
    .vgpr_count:     70
    .vgpr_spill_count: 0
    .wavefront_size: 32
    .workgroup_processor_mode: 1
  - .args:
      - .offset:         0
        .size:           4
        .value_kind:     by_value
      - .offset:         4
        .size:           4
        .value_kind:     by_value
      - .offset:         8
        .size:           16
        .value_kind:     by_value
      - .actual_access:  read_only
        .address_space:  global
        .offset:         24
        .size:           8
        .value_kind:     global_buffer
      - .actual_access:  read_only
        .address_space:  global
        .offset:         32
        .size:           8
        .value_kind:     global_buffer
      - .actual_access:  read_only
        .address_space:  global
        .offset:         40
        .size:           8
        .value_kind:     global_buffer
      - .actual_access:  read_only
        .address_space:  global
        .offset:         48
        .size:           8
        .value_kind:     global_buffer
      - .offset:         56
        .size:           16
        .value_kind:     by_value
      - .address_space:  global
        .offset:         72
        .size:           8
        .value_kind:     global_buffer
      - .offset:         80
        .size:           4
        .value_kind:     by_value
      - .offset:         84
        .size:           1
        .value_kind:     by_value
    .group_segment_fixed_size: 2048
    .kernarg_segment_align: 8
    .kernarg_segment_size: 88
    .language:       OpenCL C
    .language_version:
      - 2
      - 0
    .max_flat_workgroup_size: 128
    .name:           _ZN9rocsparseL19gebsrmvn_4xn_kernelILj128ELj7ELj8E21rocsparse_complex_numIdEEEvi20rocsparse_direction_NS_24const_host_device_scalarIT2_EEPKiS8_PKS5_SA_S6_PS5_21rocsparse_index_base_b
    .private_segment_fixed_size: 0
    .sgpr_count:     20
    .sgpr_spill_count: 0
    .symbol:         _ZN9rocsparseL19gebsrmvn_4xn_kernelILj128ELj7ELj8E21rocsparse_complex_numIdEEEvi20rocsparse_direction_NS_24const_host_device_scalarIT2_EEPKiS8_PKS5_SA_S6_PS5_21rocsparse_index_base_b.kd
    .uniform_work_group_size: 1
    .uses_dynamic_stack: false
    .vgpr_count:     70
    .vgpr_spill_count: 0
    .wavefront_size: 32
    .workgroup_processor_mode: 1
  - .args:
      - .offset:         0
        .size:           4
        .value_kind:     by_value
      - .offset:         4
        .size:           4
        .value_kind:     by_value
      - .offset:         8
        .size:           16
        .value_kind:     by_value
      - .actual_access:  read_only
        .address_space:  global
        .offset:         24
        .size:           8
        .value_kind:     global_buffer
      - .actual_access:  read_only
        .address_space:  global
        .offset:         32
        .size:           8
        .value_kind:     global_buffer
      - .actual_access:  read_only
        .address_space:  global
        .offset:         40
        .size:           8
        .value_kind:     global_buffer
      - .actual_access:  read_only
        .address_space:  global
        .offset:         48
        .size:           8
        .value_kind:     global_buffer
      - .offset:         56
        .size:           16
        .value_kind:     by_value
      - .address_space:  global
        .offset:         72
        .size:           8
        .value_kind:     global_buffer
      - .offset:         80
        .size:           4
        .value_kind:     by_value
      - .offset:         84
        .size:           1
        .value_kind:     by_value
    .group_segment_fixed_size: 2048
    .kernarg_segment_align: 8
    .kernarg_segment_size: 88
    .language:       OpenCL C
    .language_version:
      - 2
      - 0
    .max_flat_workgroup_size: 128
    .name:           _ZN9rocsparseL19gebsrmvn_4xn_kernelILj128ELj7ELj16E21rocsparse_complex_numIdEEEvi20rocsparse_direction_NS_24const_host_device_scalarIT2_EEPKiS8_PKS5_SA_S6_PS5_21rocsparse_index_base_b
    .private_segment_fixed_size: 0
    .sgpr_count:     20
    .sgpr_spill_count: 0
    .symbol:         _ZN9rocsparseL19gebsrmvn_4xn_kernelILj128ELj7ELj16E21rocsparse_complex_numIdEEEvi20rocsparse_direction_NS_24const_host_device_scalarIT2_EEPKiS8_PKS5_SA_S6_PS5_21rocsparse_index_base_b.kd
    .uniform_work_group_size: 1
    .uses_dynamic_stack: false
    .vgpr_count:     70
    .vgpr_spill_count: 0
    .wavefront_size: 32
    .workgroup_processor_mode: 1
  - .args:
      - .offset:         0
        .size:           4
        .value_kind:     by_value
      - .offset:         4
        .size:           4
        .value_kind:     by_value
      - .offset:         8
        .size:           16
        .value_kind:     by_value
      - .actual_access:  read_only
        .address_space:  global
        .offset:         24
        .size:           8
        .value_kind:     global_buffer
      - .actual_access:  read_only
        .address_space:  global
        .offset:         32
        .size:           8
        .value_kind:     global_buffer
      - .actual_access:  read_only
        .address_space:  global
        .offset:         40
        .size:           8
        .value_kind:     global_buffer
      - .actual_access:  read_only
        .address_space:  global
        .offset:         48
        .size:           8
        .value_kind:     global_buffer
      - .offset:         56
        .size:           16
        .value_kind:     by_value
      - .address_space:  global
        .offset:         72
        .size:           8
        .value_kind:     global_buffer
      - .offset:         80
        .size:           4
        .value_kind:     by_value
      - .offset:         84
        .size:           1
        .value_kind:     by_value
    .group_segment_fixed_size: 2048
    .kernarg_segment_align: 8
    .kernarg_segment_size: 88
    .language:       OpenCL C
    .language_version:
      - 2
      - 0
    .max_flat_workgroup_size: 128
    .name:           _ZN9rocsparseL19gebsrmvn_4xn_kernelILj128ELj7ELj32E21rocsparse_complex_numIdEEEvi20rocsparse_direction_NS_24const_host_device_scalarIT2_EEPKiS8_PKS5_SA_S6_PS5_21rocsparse_index_base_b
    .private_segment_fixed_size: 0
    .sgpr_count:     20
    .sgpr_spill_count: 0
    .symbol:         _ZN9rocsparseL19gebsrmvn_4xn_kernelILj128ELj7ELj32E21rocsparse_complex_numIdEEEvi20rocsparse_direction_NS_24const_host_device_scalarIT2_EEPKiS8_PKS5_SA_S6_PS5_21rocsparse_index_base_b.kd
    .uniform_work_group_size: 1
    .uses_dynamic_stack: false
    .vgpr_count:     70
    .vgpr_spill_count: 0
    .wavefront_size: 32
    .workgroup_processor_mode: 1
  - .args:
      - .offset:         0
        .size:           4
        .value_kind:     by_value
      - .offset:         4
        .size:           4
        .value_kind:     by_value
      - .offset:         8
        .size:           16
        .value_kind:     by_value
      - .actual_access:  read_only
        .address_space:  global
        .offset:         24
        .size:           8
        .value_kind:     global_buffer
      - .actual_access:  read_only
        .address_space:  global
        .offset:         32
        .size:           8
        .value_kind:     global_buffer
      - .actual_access:  read_only
        .address_space:  global
        .offset:         40
        .size:           8
        .value_kind:     global_buffer
      - .actual_access:  read_only
        .address_space:  global
        .offset:         48
        .size:           8
        .value_kind:     global_buffer
      - .offset:         56
        .size:           16
        .value_kind:     by_value
      - .address_space:  global
        .offset:         72
        .size:           8
        .value_kind:     global_buffer
      - .offset:         80
        .size:           4
        .value_kind:     by_value
      - .offset:         84
        .size:           1
        .value_kind:     by_value
    .group_segment_fixed_size: 2048
    .kernarg_segment_align: 8
    .kernarg_segment_size: 88
    .language:       OpenCL C
    .language_version:
      - 2
      - 0
    .max_flat_workgroup_size: 128
    .name:           _ZN9rocsparseL19gebsrmvn_4xn_kernelILj128ELj7ELj64E21rocsparse_complex_numIdEEEvi20rocsparse_direction_NS_24const_host_device_scalarIT2_EEPKiS8_PKS5_SA_S6_PS5_21rocsparse_index_base_b
    .private_segment_fixed_size: 0
    .sgpr_count:     20
    .sgpr_spill_count: 0
    .symbol:         _ZN9rocsparseL19gebsrmvn_4xn_kernelILj128ELj7ELj64E21rocsparse_complex_numIdEEEvi20rocsparse_direction_NS_24const_host_device_scalarIT2_EEPKiS8_PKS5_SA_S6_PS5_21rocsparse_index_base_b.kd
    .uniform_work_group_size: 1
    .uses_dynamic_stack: false
    .vgpr_count:     70
    .vgpr_spill_count: 0
    .wavefront_size: 32
    .workgroup_processor_mode: 1
  - .args:
      - .offset:         0
        .size:           4
        .value_kind:     by_value
      - .offset:         4
        .size:           4
        .value_kind:     by_value
      - .offset:         8
        .size:           16
        .value_kind:     by_value
      - .actual_access:  read_only
        .address_space:  global
        .offset:         24
        .size:           8
        .value_kind:     global_buffer
      - .actual_access:  read_only
        .address_space:  global
        .offset:         32
        .size:           8
        .value_kind:     global_buffer
      - .actual_access:  read_only
        .address_space:  global
        .offset:         40
        .size:           8
        .value_kind:     global_buffer
      - .actual_access:  read_only
        .address_space:  global
        .offset:         48
        .size:           8
        .value_kind:     global_buffer
      - .offset:         56
        .size:           16
        .value_kind:     by_value
      - .address_space:  global
        .offset:         72
        .size:           8
        .value_kind:     global_buffer
      - .offset:         80
        .size:           4
        .value_kind:     by_value
      - .offset:         84
        .size:           1
        .value_kind:     by_value
    .group_segment_fixed_size: 2048
    .kernarg_segment_align: 8
    .kernarg_segment_size: 88
    .language:       OpenCL C
    .language_version:
      - 2
      - 0
    .max_flat_workgroup_size: 128
    .name:           _ZN9rocsparseL19gebsrmvn_4xn_kernelILj128ELj8ELj4E21rocsparse_complex_numIdEEEvi20rocsparse_direction_NS_24const_host_device_scalarIT2_EEPKiS8_PKS5_SA_S6_PS5_21rocsparse_index_base_b
    .private_segment_fixed_size: 0
    .sgpr_count:     20
    .sgpr_spill_count: 0
    .symbol:         _ZN9rocsparseL19gebsrmvn_4xn_kernelILj128ELj8ELj4E21rocsparse_complex_numIdEEEvi20rocsparse_direction_NS_24const_host_device_scalarIT2_EEPKiS8_PKS5_SA_S6_PS5_21rocsparse_index_base_b.kd
    .uniform_work_group_size: 1
    .uses_dynamic_stack: false
    .vgpr_count:     78
    .vgpr_spill_count: 0
    .wavefront_size: 32
    .workgroup_processor_mode: 1
  - .args:
      - .offset:         0
        .size:           4
        .value_kind:     by_value
      - .offset:         4
        .size:           4
        .value_kind:     by_value
      - .offset:         8
        .size:           16
        .value_kind:     by_value
      - .actual_access:  read_only
        .address_space:  global
        .offset:         24
        .size:           8
        .value_kind:     global_buffer
      - .actual_access:  read_only
        .address_space:  global
        .offset:         32
        .size:           8
        .value_kind:     global_buffer
      - .actual_access:  read_only
        .address_space:  global
        .offset:         40
        .size:           8
        .value_kind:     global_buffer
      - .actual_access:  read_only
        .address_space:  global
        .offset:         48
        .size:           8
        .value_kind:     global_buffer
      - .offset:         56
        .size:           16
        .value_kind:     by_value
      - .address_space:  global
        .offset:         72
        .size:           8
        .value_kind:     global_buffer
      - .offset:         80
        .size:           4
        .value_kind:     by_value
      - .offset:         84
        .size:           1
        .value_kind:     by_value
    .group_segment_fixed_size: 2048
    .kernarg_segment_align: 8
    .kernarg_segment_size: 88
    .language:       OpenCL C
    .language_version:
      - 2
      - 0
    .max_flat_workgroup_size: 128
    .name:           _ZN9rocsparseL19gebsrmvn_4xn_kernelILj128ELj8ELj8E21rocsparse_complex_numIdEEEvi20rocsparse_direction_NS_24const_host_device_scalarIT2_EEPKiS8_PKS5_SA_S6_PS5_21rocsparse_index_base_b
    .private_segment_fixed_size: 0
    .sgpr_count:     20
    .sgpr_spill_count: 0
    .symbol:         _ZN9rocsparseL19gebsrmvn_4xn_kernelILj128ELj8ELj8E21rocsparse_complex_numIdEEEvi20rocsparse_direction_NS_24const_host_device_scalarIT2_EEPKiS8_PKS5_SA_S6_PS5_21rocsparse_index_base_b.kd
    .uniform_work_group_size: 1
    .uses_dynamic_stack: false
    .vgpr_count:     78
    .vgpr_spill_count: 0
    .wavefront_size: 32
    .workgroup_processor_mode: 1
  - .args:
      - .offset:         0
        .size:           4
        .value_kind:     by_value
      - .offset:         4
        .size:           4
        .value_kind:     by_value
      - .offset:         8
        .size:           16
        .value_kind:     by_value
      - .actual_access:  read_only
        .address_space:  global
        .offset:         24
        .size:           8
        .value_kind:     global_buffer
      - .actual_access:  read_only
        .address_space:  global
        .offset:         32
        .size:           8
        .value_kind:     global_buffer
      - .actual_access:  read_only
        .address_space:  global
        .offset:         40
        .size:           8
        .value_kind:     global_buffer
      - .actual_access:  read_only
        .address_space:  global
        .offset:         48
        .size:           8
        .value_kind:     global_buffer
      - .offset:         56
        .size:           16
        .value_kind:     by_value
      - .address_space:  global
        .offset:         72
        .size:           8
        .value_kind:     global_buffer
      - .offset:         80
        .size:           4
        .value_kind:     by_value
      - .offset:         84
        .size:           1
        .value_kind:     by_value
    .group_segment_fixed_size: 2048
    .kernarg_segment_align: 8
    .kernarg_segment_size: 88
    .language:       OpenCL C
    .language_version:
      - 2
      - 0
    .max_flat_workgroup_size: 128
    .name:           _ZN9rocsparseL19gebsrmvn_4xn_kernelILj128ELj8ELj16E21rocsparse_complex_numIdEEEvi20rocsparse_direction_NS_24const_host_device_scalarIT2_EEPKiS8_PKS5_SA_S6_PS5_21rocsparse_index_base_b
    .private_segment_fixed_size: 0
    .sgpr_count:     20
    .sgpr_spill_count: 0
    .symbol:         _ZN9rocsparseL19gebsrmvn_4xn_kernelILj128ELj8ELj16E21rocsparse_complex_numIdEEEvi20rocsparse_direction_NS_24const_host_device_scalarIT2_EEPKiS8_PKS5_SA_S6_PS5_21rocsparse_index_base_b.kd
    .uniform_work_group_size: 1
    .uses_dynamic_stack: false
    .vgpr_count:     78
    .vgpr_spill_count: 0
    .wavefront_size: 32
    .workgroup_processor_mode: 1
  - .args:
      - .offset:         0
        .size:           4
        .value_kind:     by_value
      - .offset:         4
        .size:           4
        .value_kind:     by_value
      - .offset:         8
        .size:           16
        .value_kind:     by_value
      - .actual_access:  read_only
        .address_space:  global
        .offset:         24
        .size:           8
        .value_kind:     global_buffer
      - .actual_access:  read_only
        .address_space:  global
        .offset:         32
        .size:           8
        .value_kind:     global_buffer
      - .actual_access:  read_only
        .address_space:  global
        .offset:         40
        .size:           8
        .value_kind:     global_buffer
      - .actual_access:  read_only
        .address_space:  global
        .offset:         48
        .size:           8
        .value_kind:     global_buffer
      - .offset:         56
        .size:           16
        .value_kind:     by_value
      - .address_space:  global
        .offset:         72
        .size:           8
        .value_kind:     global_buffer
      - .offset:         80
        .size:           4
        .value_kind:     by_value
      - .offset:         84
        .size:           1
        .value_kind:     by_value
    .group_segment_fixed_size: 2048
    .kernarg_segment_align: 8
    .kernarg_segment_size: 88
    .language:       OpenCL C
    .language_version:
      - 2
      - 0
    .max_flat_workgroup_size: 128
    .name:           _ZN9rocsparseL19gebsrmvn_4xn_kernelILj128ELj8ELj32E21rocsparse_complex_numIdEEEvi20rocsparse_direction_NS_24const_host_device_scalarIT2_EEPKiS8_PKS5_SA_S6_PS5_21rocsparse_index_base_b
    .private_segment_fixed_size: 0
    .sgpr_count:     20
    .sgpr_spill_count: 0
    .symbol:         _ZN9rocsparseL19gebsrmvn_4xn_kernelILj128ELj8ELj32E21rocsparse_complex_numIdEEEvi20rocsparse_direction_NS_24const_host_device_scalarIT2_EEPKiS8_PKS5_SA_S6_PS5_21rocsparse_index_base_b.kd
    .uniform_work_group_size: 1
    .uses_dynamic_stack: false
    .vgpr_count:     78
    .vgpr_spill_count: 0
    .wavefront_size: 32
    .workgroup_processor_mode: 1
  - .args:
      - .offset:         0
        .size:           4
        .value_kind:     by_value
      - .offset:         4
        .size:           4
        .value_kind:     by_value
      - .offset:         8
        .size:           16
        .value_kind:     by_value
      - .actual_access:  read_only
        .address_space:  global
        .offset:         24
        .size:           8
        .value_kind:     global_buffer
      - .actual_access:  read_only
        .address_space:  global
        .offset:         32
        .size:           8
        .value_kind:     global_buffer
      - .actual_access:  read_only
        .address_space:  global
        .offset:         40
        .size:           8
        .value_kind:     global_buffer
      - .actual_access:  read_only
        .address_space:  global
        .offset:         48
        .size:           8
        .value_kind:     global_buffer
      - .offset:         56
        .size:           16
        .value_kind:     by_value
      - .address_space:  global
        .offset:         72
        .size:           8
        .value_kind:     global_buffer
      - .offset:         80
        .size:           4
        .value_kind:     by_value
      - .offset:         84
        .size:           1
        .value_kind:     by_value
    .group_segment_fixed_size: 2048
    .kernarg_segment_align: 8
    .kernarg_segment_size: 88
    .language:       OpenCL C
    .language_version:
      - 2
      - 0
    .max_flat_workgroup_size: 128
    .name:           _ZN9rocsparseL19gebsrmvn_4xn_kernelILj128ELj8ELj64E21rocsparse_complex_numIdEEEvi20rocsparse_direction_NS_24const_host_device_scalarIT2_EEPKiS8_PKS5_SA_S6_PS5_21rocsparse_index_base_b
    .private_segment_fixed_size: 0
    .sgpr_count:     20
    .sgpr_spill_count: 0
    .symbol:         _ZN9rocsparseL19gebsrmvn_4xn_kernelILj128ELj8ELj64E21rocsparse_complex_numIdEEEvi20rocsparse_direction_NS_24const_host_device_scalarIT2_EEPKiS8_PKS5_SA_S6_PS5_21rocsparse_index_base_b.kd
    .uniform_work_group_size: 1
    .uses_dynamic_stack: false
    .vgpr_count:     78
    .vgpr_spill_count: 0
    .wavefront_size: 32
    .workgroup_processor_mode: 1
  - .args:
      - .offset:         0
        .size:           4
        .value_kind:     by_value
      - .offset:         4
        .size:           4
        .value_kind:     by_value
      - .offset:         8
        .size:           16
        .value_kind:     by_value
      - .actual_access:  read_only
        .address_space:  global
        .offset:         24
        .size:           8
        .value_kind:     global_buffer
      - .actual_access:  read_only
        .address_space:  global
        .offset:         32
        .size:           8
        .value_kind:     global_buffer
      - .actual_access:  read_only
        .address_space:  global
        .offset:         40
        .size:           8
        .value_kind:     global_buffer
      - .offset:         48
        .size:           4
        .value_kind:     by_value
      - .offset:         52
        .size:           4
        .value_kind:     by_value
      - .actual_access:  read_only
        .address_space:  global
        .offset:         56
        .size:           8
        .value_kind:     global_buffer
      - .offset:         64
        .size:           16
        .value_kind:     by_value
      - .address_space:  global
        .offset:         80
        .size:           8
        .value_kind:     global_buffer
      - .offset:         88
        .size:           4
        .value_kind:     by_value
      - .offset:         92
        .size:           1
        .value_kind:     by_value
    .group_segment_fixed_size: 1024
    .kernarg_segment_align: 8
    .kernarg_segment_size: 96
    .language:       OpenCL C
    .language_version:
      - 2
      - 0
    .max_flat_workgroup_size: 64
    .name:           _ZN9rocsparseL23gebsrmvn_general_kernelILj64ELj16E21rocsparse_complex_numIdEEEvi20rocsparse_direction_NS_24const_host_device_scalarIT1_EEPKiS8_PKS5_iiSA_S6_PS5_21rocsparse_index_base_b
    .private_segment_fixed_size: 0
    .sgpr_count:     30
    .sgpr_spill_count: 0
    .symbol:         _ZN9rocsparseL23gebsrmvn_general_kernelILj64ELj16E21rocsparse_complex_numIdEEEvi20rocsparse_direction_NS_24const_host_device_scalarIT1_EEPKiS8_PKS5_iiSA_S6_PS5_21rocsparse_index_base_b.kd
    .uniform_work_group_size: 1
    .uses_dynamic_stack: false
    .vgpr_count:     31
    .vgpr_spill_count: 0
    .wavefront_size: 32
    .workgroup_processor_mode: 1
  - .args:
      - .offset:         0
        .size:           4
        .value_kind:     by_value
      - .offset:         4
        .size:           4
        .value_kind:     by_value
      - .offset:         8
        .size:           16
        .value_kind:     by_value
      - .actual_access:  read_only
        .address_space:  global
        .offset:         24
        .size:           8
        .value_kind:     global_buffer
      - .actual_access:  read_only
        .address_space:  global
        .offset:         32
        .size:           8
        .value_kind:     global_buffer
      - .actual_access:  read_only
        .address_space:  global
        .offset:         40
        .size:           8
        .value_kind:     global_buffer
      - .offset:         48
        .size:           4
        .value_kind:     by_value
      - .offset:         52
        .size:           4
        .value_kind:     by_value
      - .actual_access:  read_only
        .address_space:  global
        .offset:         56
        .size:           8
        .value_kind:     global_buffer
      - .offset:         64
        .size:           16
        .value_kind:     by_value
      - .address_space:  global
        .offset:         80
        .size:           8
        .value_kind:     global_buffer
      - .offset:         88
        .size:           4
        .value_kind:     by_value
      - .offset:         92
        .size:           1
        .value_kind:     by_value
    .group_segment_fixed_size: 2048
    .kernarg_segment_align: 8
    .kernarg_segment_size: 96
    .language:       OpenCL C
    .language_version:
      - 2
      - 0
    .max_flat_workgroup_size: 128
    .name:           _ZN9rocsparseL23gebsrmvn_general_kernelILj128ELj32E21rocsparse_complex_numIdEEEvi20rocsparse_direction_NS_24const_host_device_scalarIT1_EEPKiS8_PKS5_iiSA_S6_PS5_21rocsparse_index_base_b
    .private_segment_fixed_size: 0
    .sgpr_count:     30
    .sgpr_spill_count: 0
    .symbol:         _ZN9rocsparseL23gebsrmvn_general_kernelILj128ELj32E21rocsparse_complex_numIdEEEvi20rocsparse_direction_NS_24const_host_device_scalarIT1_EEPKiS8_PKS5_iiSA_S6_PS5_21rocsparse_index_base_b.kd
    .uniform_work_group_size: 1
    .uses_dynamic_stack: false
    .vgpr_count:     32
    .vgpr_spill_count: 0
    .wavefront_size: 32
    .workgroup_processor_mode: 1
amdhsa.target:   amdgcn-amd-amdhsa--gfx1100
amdhsa.version:
  - 1
  - 2
...

	.end_amdgpu_metadata
